;; amdgpu-corpus repo=ROCm/rocSPARSE kind=compiled arch=gfx1030 opt=O3
	.amdgcn_target "amdgcn-amd-amdhsa--gfx1030"
	.amdhsa_code_object_version 6
	.section	.text._ZN9rocsparseL35bsr2csr_block_dim_equals_one_kernelILj1024EiiiEEvT2_S1_21rocsparse_index_base_PKT0_PKT1_PKS1_S2_PS3_PS6_PS1_,"axG",@progbits,_ZN9rocsparseL35bsr2csr_block_dim_equals_one_kernelILj1024EiiiEEvT2_S1_21rocsparse_index_base_PKT0_PKT1_PKS1_S2_PS3_PS6_PS1_,comdat
	.globl	_ZN9rocsparseL35bsr2csr_block_dim_equals_one_kernelILj1024EiiiEEvT2_S1_21rocsparse_index_base_PKT0_PKT1_PKS1_S2_PS3_PS6_PS1_ ; -- Begin function _ZN9rocsparseL35bsr2csr_block_dim_equals_one_kernelILj1024EiiiEEvT2_S1_21rocsparse_index_base_PKT0_PKT1_PKS1_S2_PS3_PS6_PS1_
	.p2align	8
	.type	_ZN9rocsparseL35bsr2csr_block_dim_equals_one_kernelILj1024EiiiEEvT2_S1_21rocsparse_index_base_PKT0_PKT1_PKS1_S2_PS3_PS6_PS1_,@function
_ZN9rocsparseL35bsr2csr_block_dim_equals_one_kernelILj1024EiiiEEvT2_S1_21rocsparse_index_base_PKT0_PKT1_PKS1_S2_PS3_PS6_PS1_: ; @_ZN9rocsparseL35bsr2csr_block_dim_equals_one_kernelILj1024EiiiEEvT2_S1_21rocsparse_index_base_PKT0_PKT1_PKS1_S2_PS3_PS6_PS1_
; %bb.0:
	s_clause 0x6
	s_load_dword s0, s[4:5], 0x0
	s_load_dword s16, s[4:5], 0x8
	s_load_dwordx4 s[8:11], s[4:5], 0x10
	s_load_dwordx2 s[2:3], s[4:5], 0x20
	s_load_dwordx2 s[12:13], s[4:5], 0x40
	s_load_dword s17, s[4:5], 0x28
	s_load_dwordx2 s[14:15], s[4:5], 0x30
	v_lshl_or_b32 v0, s6, 10, v0
	s_mov_b32 s1, exec_lo
	s_waitcnt lgkmcnt(0)
	v_cmpx_gt_i32_e64 s0, v0
	s_cbranch_execz .LBB0_6
; %bb.1:
	s_load_dwordx2 s[6:7], s[4:5], 0x38
	s_mov_b32 s18, exec_lo
                                        ; implicit-def: $sgpr19
	v_cmpx_ne_u32_e32 0, v0
	s_xor_b32 s18, exec_lo, s18
; %bb.2:
	s_sub_i32 s19, s17, s16
; %bb.3:
	s_or_saveexec_b32 s18, s18
	v_mov_b32_e32 v2, s19
	s_xor_b32 exec_lo, exec_lo, s18
	s_cbranch_execz .LBB0_5
; %bb.4:
	s_load_dword s19, s[10:11], 0x0
	s_sub_i32 s20, s17, s16
	v_mov_b32_e32 v1, 0
	v_mov_b32_e32 v2, s20
	s_waitcnt lgkmcnt(0)
	s_add_i32 s19, s20, s19
	v_mov_b32_e32 v3, s19
	global_store_dword v1, v3, s[6:7]
.LBB0_5:
	s_or_b32 exec_lo, exec_lo, s18
	v_ashrrev_i32_e32 v1, 31, v0
	v_lshlrev_b64 v[3:4], 2, v[0:1]
	v_add_co_u32 v5, vcc_lo, s10, v3
	v_add_co_ci_u32_e64 v6, null, s11, v4, vcc_lo
	global_load_dword v1, v[5:6], off offset:4
	s_waitcnt vmcnt(0)
	v_add_nc_u32_e32 v5, v2, v1
	s_waitcnt lgkmcnt(0)
	v_add_co_u32 v1, vcc_lo, s6, v3
	v_add_co_ci_u32_e64 v2, null, s7, v4, vcc_lo
	global_store_dword v[1:2], v5, off offset:4
.LBB0_6:
	s_or_b32 exec_lo, exec_lo, s1
	s_ashr_i32 s1, s0, 31
	s_lshl_b64 s[0:1], s[0:1], 2
	s_add_u32 s0, s10, s0
	s_addc_u32 s1, s11, s1
	s_clause 0x1
	s_load_dword s0, s[0:1], 0x0
	s_load_dword s1, s[10:11], 0x0
	s_waitcnt lgkmcnt(0)
	s_sub_i32 s1, s0, s1
	s_mov_b32 s0, exec_lo
	v_cmpx_gt_i32_e64 s1, v0
	s_cbranch_execz .LBB0_9
; %bb.7:
	s_load_dword s0, s[4:5], 0x48
	s_sub_i32 s4, s17, s16
	s_mov_b32 s6, 0
	s_waitcnt lgkmcnt(0)
	s_lshl_b32 s5, s0, 10
	s_inst_prefetch 0x1
	.p2align	6
.LBB0_8:                                ; =>This Inner Loop Header: Depth=1
	v_ashrrev_i32_e32 v1, 31, v0
	v_lshlrev_b64 v[1:2], 2, v[0:1]
	v_add_nc_u32_e32 v0, s5, v0
	v_add_co_u32 v3, vcc_lo, s2, v1
	v_add_co_ci_u32_e64 v4, null, s3, v2, vcc_lo
	global_load_dword v5, v[3:4], off
	v_add_co_u32 v3, vcc_lo, s8, v1
	v_add_co_ci_u32_e64 v4, null, s9, v2, vcc_lo
	v_cmp_le_i32_e32 vcc_lo, s1, v0
	global_load_dword v6, v[3:4], off
	v_add_co_u32 v3, s0, s12, v1
	v_add_co_ci_u32_e64 v4, null, s13, v2, s0
	v_add_co_u32 v1, s0, s14, v1
	v_add_co_ci_u32_e64 v2, null, s15, v2, s0
	s_or_b32 s6, vcc_lo, s6
	s_waitcnt vmcnt(1)
	v_add_nc_u32_e32 v5, s4, v5
	global_store_dword v[3:4], v5, off
	s_waitcnt vmcnt(0)
	global_store_dword v[1:2], v6, off
	s_andn2_b32 exec_lo, exec_lo, s6
	s_cbranch_execnz .LBB0_8
.LBB0_9:
	s_inst_prefetch 0x2
	s_endpgm
	.section	.rodata,"a",@progbits
	.p2align	6, 0x0
	.amdhsa_kernel _ZN9rocsparseL35bsr2csr_block_dim_equals_one_kernelILj1024EiiiEEvT2_S1_21rocsparse_index_base_PKT0_PKT1_PKS1_S2_PS3_PS6_PS1_
		.amdhsa_group_segment_fixed_size 0
		.amdhsa_private_segment_fixed_size 0
		.amdhsa_kernarg_size 328
		.amdhsa_user_sgpr_count 6
		.amdhsa_user_sgpr_private_segment_buffer 1
		.amdhsa_user_sgpr_dispatch_ptr 0
		.amdhsa_user_sgpr_queue_ptr 0
		.amdhsa_user_sgpr_kernarg_segment_ptr 1
		.amdhsa_user_sgpr_dispatch_id 0
		.amdhsa_user_sgpr_flat_scratch_init 0
		.amdhsa_user_sgpr_private_segment_size 0
		.amdhsa_wavefront_size32 1
		.amdhsa_uses_dynamic_stack 0
		.amdhsa_system_sgpr_private_segment_wavefront_offset 0
		.amdhsa_system_sgpr_workgroup_id_x 1
		.amdhsa_system_sgpr_workgroup_id_y 0
		.amdhsa_system_sgpr_workgroup_id_z 0
		.amdhsa_system_sgpr_workgroup_info 0
		.amdhsa_system_vgpr_workitem_id 0
		.amdhsa_next_free_vgpr 7
		.amdhsa_next_free_sgpr 21
		.amdhsa_reserve_vcc 1
		.amdhsa_reserve_flat_scratch 0
		.amdhsa_float_round_mode_32 0
		.amdhsa_float_round_mode_16_64 0
		.amdhsa_float_denorm_mode_32 3
		.amdhsa_float_denorm_mode_16_64 3
		.amdhsa_dx10_clamp 1
		.amdhsa_ieee_mode 1
		.amdhsa_fp16_overflow 0
		.amdhsa_workgroup_processor_mode 1
		.amdhsa_memory_ordered 1
		.amdhsa_forward_progress 1
		.amdhsa_shared_vgpr_count 0
		.amdhsa_exception_fp_ieee_invalid_op 0
		.amdhsa_exception_fp_denorm_src 0
		.amdhsa_exception_fp_ieee_div_zero 0
		.amdhsa_exception_fp_ieee_overflow 0
		.amdhsa_exception_fp_ieee_underflow 0
		.amdhsa_exception_fp_ieee_inexact 0
		.amdhsa_exception_int_div_zero 0
	.end_amdhsa_kernel
	.section	.text._ZN9rocsparseL35bsr2csr_block_dim_equals_one_kernelILj1024EiiiEEvT2_S1_21rocsparse_index_base_PKT0_PKT1_PKS1_S2_PS3_PS6_PS1_,"axG",@progbits,_ZN9rocsparseL35bsr2csr_block_dim_equals_one_kernelILj1024EiiiEEvT2_S1_21rocsparse_index_base_PKT0_PKT1_PKS1_S2_PS3_PS6_PS1_,comdat
.Lfunc_end0:
	.size	_ZN9rocsparseL35bsr2csr_block_dim_equals_one_kernelILj1024EiiiEEvT2_S1_21rocsparse_index_base_PKT0_PKT1_PKS1_S2_PS3_PS6_PS1_, .Lfunc_end0-_ZN9rocsparseL35bsr2csr_block_dim_equals_one_kernelILj1024EiiiEEvT2_S1_21rocsparse_index_base_PKT0_PKT1_PKS1_S2_PS3_PS6_PS1_
                                        ; -- End function
	.set _ZN9rocsparseL35bsr2csr_block_dim_equals_one_kernelILj1024EiiiEEvT2_S1_21rocsparse_index_base_PKT0_PKT1_PKS1_S2_PS3_PS6_PS1_.num_vgpr, 7
	.set _ZN9rocsparseL35bsr2csr_block_dim_equals_one_kernelILj1024EiiiEEvT2_S1_21rocsparse_index_base_PKT0_PKT1_PKS1_S2_PS3_PS6_PS1_.num_agpr, 0
	.set _ZN9rocsparseL35bsr2csr_block_dim_equals_one_kernelILj1024EiiiEEvT2_S1_21rocsparse_index_base_PKT0_PKT1_PKS1_S2_PS3_PS6_PS1_.numbered_sgpr, 21
	.set _ZN9rocsparseL35bsr2csr_block_dim_equals_one_kernelILj1024EiiiEEvT2_S1_21rocsparse_index_base_PKT0_PKT1_PKS1_S2_PS3_PS6_PS1_.num_named_barrier, 0
	.set _ZN9rocsparseL35bsr2csr_block_dim_equals_one_kernelILj1024EiiiEEvT2_S1_21rocsparse_index_base_PKT0_PKT1_PKS1_S2_PS3_PS6_PS1_.private_seg_size, 0
	.set _ZN9rocsparseL35bsr2csr_block_dim_equals_one_kernelILj1024EiiiEEvT2_S1_21rocsparse_index_base_PKT0_PKT1_PKS1_S2_PS3_PS6_PS1_.uses_vcc, 1
	.set _ZN9rocsparseL35bsr2csr_block_dim_equals_one_kernelILj1024EiiiEEvT2_S1_21rocsparse_index_base_PKT0_PKT1_PKS1_S2_PS3_PS6_PS1_.uses_flat_scratch, 0
	.set _ZN9rocsparseL35bsr2csr_block_dim_equals_one_kernelILj1024EiiiEEvT2_S1_21rocsparse_index_base_PKT0_PKT1_PKS1_S2_PS3_PS6_PS1_.has_dyn_sized_stack, 0
	.set _ZN9rocsparseL35bsr2csr_block_dim_equals_one_kernelILj1024EiiiEEvT2_S1_21rocsparse_index_base_PKT0_PKT1_PKS1_S2_PS3_PS6_PS1_.has_recursion, 0
	.set _ZN9rocsparseL35bsr2csr_block_dim_equals_one_kernelILj1024EiiiEEvT2_S1_21rocsparse_index_base_PKT0_PKT1_PKS1_S2_PS3_PS6_PS1_.has_indirect_call, 0
	.section	.AMDGPU.csdata,"",@progbits
; Kernel info:
; codeLenInByte = 532
; TotalNumSgprs: 23
; NumVgprs: 7
; ScratchSize: 0
; MemoryBound: 0
; FloatMode: 240
; IeeeMode: 1
; LDSByteSize: 0 bytes/workgroup (compile time only)
; SGPRBlocks: 0
; VGPRBlocks: 0
; NumSGPRsForWavesPerEU: 23
; NumVGPRsForWavesPerEU: 7
; Occupancy: 16
; WaveLimiterHint : 0
; COMPUTE_PGM_RSRC2:SCRATCH_EN: 0
; COMPUTE_PGM_RSRC2:USER_SGPR: 6
; COMPUTE_PGM_RSRC2:TRAP_HANDLER: 0
; COMPUTE_PGM_RSRC2:TGID_X_EN: 1
; COMPUTE_PGM_RSRC2:TGID_Y_EN: 0
; COMPUTE_PGM_RSRC2:TGID_Z_EN: 0
; COMPUTE_PGM_RSRC2:TIDIG_COMP_CNT: 0
	.section	.text._ZN9rocsparseL32bsr2csr_block_per_row_2_7_kernelILj256ELj2EiiiEEv20rocsparse_direction_T3_S2_21rocsparse_index_base_PKT1_PKT2_PKS2_S2_S3_PS4_PS7_PS2_,"axG",@progbits,_ZN9rocsparseL32bsr2csr_block_per_row_2_7_kernelILj256ELj2EiiiEEv20rocsparse_direction_T3_S2_21rocsparse_index_base_PKT1_PKT2_PKS2_S2_S3_PS4_PS7_PS2_,comdat
	.globl	_ZN9rocsparseL32bsr2csr_block_per_row_2_7_kernelILj256ELj2EiiiEEv20rocsparse_direction_T3_S2_21rocsparse_index_base_PKT1_PKT2_PKS2_S2_S3_PS4_PS7_PS2_ ; -- Begin function _ZN9rocsparseL32bsr2csr_block_per_row_2_7_kernelILj256ELj2EiiiEEv20rocsparse_direction_T3_S2_21rocsparse_index_base_PKT1_PKT2_PKS2_S2_S3_PS4_PS7_PS2_
	.p2align	8
	.type	_ZN9rocsparseL32bsr2csr_block_per_row_2_7_kernelILj256ELj2EiiiEEv20rocsparse_direction_T3_S2_21rocsparse_index_base_PKT1_PKT2_PKS2_S2_S3_PS4_PS7_PS2_,@function
_ZN9rocsparseL32bsr2csr_block_per_row_2_7_kernelILj256ELj2EiiiEEv20rocsparse_direction_T3_S2_21rocsparse_index_base_PKT1_PKT2_PKS2_S2_S3_PS4_PS7_PS2_: ; @_ZN9rocsparseL32bsr2csr_block_per_row_2_7_kernelILj256ELj2EiiiEEv20rocsparse_direction_T3_S2_21rocsparse_index_base_PKT1_PKT2_PKS2_S2_S3_PS4_PS7_PS2_
; %bb.0:
	s_load_dwordx2 s[0:1], s[4:5], 0x18
	s_ashr_i32 s7, s6, 31
	s_clause 0x1
	s_load_dword s10, s[4:5], 0x2c
	s_load_dwordx2 s[2:3], s[4:5], 0x38
	s_lshl_b64 s[8:9], s[6:7], 2
	v_or_b32_e32 v1, s6, v0
	s_mov_b32 s7, exec_lo
	s_waitcnt lgkmcnt(0)
	s_add_u32 s0, s0, s8
	s_addc_u32 s1, s1, s9
	s_load_dwordx2 s[0:1], s[0:1], 0x0
	v_cmpx_eq_u32_e32 0, v1
	s_cbranch_execz .LBB1_2
; %bb.1:
	v_mov_b32_e32 v1, 0
	v_mov_b32_e32 v2, s10
	global_store_dword v1, v2, s[2:3]
.LBB1_2:
	s_or_b32 exec_lo, exec_lo, s7
	s_load_dword s11, s[4:5], 0xc
	v_and_b32_e32 v4, 1, v0
	v_mov_b32_e32 v2, 0
	v_lshrrev_b32_e32 v0, 1, v0
	v_lshl_or_b32 v1, s6, 1, v4
	v_add_nc_u32_e32 v1, 1, v1
	v_lshlrev_b64 v[6:7], 2, v[1:2]
	s_waitcnt lgkmcnt(0)
	s_sub_i32 s6, s0, s11
	s_sub_i32 s12, s1, s11
	s_lshl_b32 s7, s6, 2
	s_sub_i32 s1, s12, s6
	v_add_co_u32 v6, vcc_lo, s2, v6
	s_lshl_b32 s1, s1, 1
	v_add_nc_u32_e32 v3, s6, v0
	v_mul_lo_u32 v5, s1, v4
	s_add_i32 s1, s1, s10
	v_add_co_ci_u32_e64 v7, null, s3, v7, vcc_lo
	v_add3_u32 v1, s1, s7, v5
	s_mov_b32 s1, exec_lo
	global_store_dword v[6:7], v1, off
	v_cmpx_gt_i32_e64 s12, v3
	s_cbranch_execz .LBB1_5
; %bb.3:
	s_clause 0x4
	s_load_dwordx2 s[2:3], s[4:5], 0x20
	s_load_dwordx2 s[6:7], s[4:5], 0x30
	s_load_dword s1, s[4:5], 0x0
	s_load_dwordx2 s[8:9], s[4:5], 0x10
	s_load_dwordx2 s[4:5], s[4:5], 0x40
	v_lshlrev_b32_e32 v0, 1, v0
	v_lshlrev_b32_e32 v1, 2, v3
	s_mov_b32 s13, 0
	v_or_b32_e32 v6, v1, v4
	s_waitcnt lgkmcnt(0)
	s_cmp_eq_u32 s1, 0
	s_cselect_b32 vcc_lo, -1, 0
	s_lshl_b32 s0, s0, 2
	v_add3_u32 v0, v5, s0, v0
	s_lshl_b32 s0, s11, 2
	v_lshl_or_b32 v5, v4, 1, v1
	v_subrev_nc_u32_e32 v0, s0, v0
.LBB1_4:                                ; =>This Inner Loop Header: Depth=1
	v_ashrrev_i32_e32 v4, 31, v3
	v_cndmask_b32_e32 v1, v6, v5, vcc_lo
	v_add_nc_u32_e32 v11, 1, v5
	v_add_nc_u32_e32 v5, 0x200, v5
	v_lshlrev_b64 v[7:8], 2, v[3:4]
	v_add_nc_u32_e32 v4, 2, v6
	v_lshlrev_b64 v[9:10], 2, v[1:2]
	v_add_nc_u32_e32 v3, 0x80, v3
	v_add_nc_u32_e32 v6, 0x200, v6
	v_cndmask_b32_e32 v1, v4, v11, vcc_lo
	v_add_co_u32 v7, s0, s2, v7
	v_add_co_ci_u32_e64 v8, null, s3, v8, s0
	v_add_co_u32 v9, s0, s8, v9
	v_add_co_ci_u32_e64 v10, null, s9, v10, s0
	global_load_dword v4, v[7:8], off
	v_lshlrev_b64 v[7:8], 2, v[1:2]
	v_ashrrev_i32_e32 v1, 31, v0
	v_add_co_u32 v7, s0, s8, v7
	v_add_co_ci_u32_e64 v8, null, s9, v8, s0
	s_clause 0x1
	global_load_dword v9, v[9:10], off
	global_load_dword v10, v[7:8], off
	v_lshlrev_b64 v[7:8], 2, v[0:1]
	v_cmp_le_i32_e64 s0, s12, v3
	v_add_nc_u32_e32 v0, 0x100, v0
	v_add_co_u32 v11, s1, s4, v7
	v_add_co_ci_u32_e64 v12, null, s5, v8, s1
	v_add_co_u32 v7, s1, s6, v7
	v_add_co_ci_u32_e64 v8, null, s7, v8, s1
	s_or_b32 s13, s0, s13
	s_waitcnt vmcnt(2)
	v_subrev_nc_u32_e32 v1, s11, v4
	v_lshl_add_u32 v13, v1, 1, s10
	v_add_nc_u32_e32 v14, 1, v13
	s_waitcnt vmcnt(0)
	global_store_dwordx2 v[7:8], v[9:10], off
	global_store_dwordx2 v[11:12], v[13:14], off
	s_andn2_b32 exec_lo, exec_lo, s13
	s_cbranch_execnz .LBB1_4
.LBB1_5:
	s_endpgm
	.section	.rodata,"a",@progbits
	.p2align	6, 0x0
	.amdhsa_kernel _ZN9rocsparseL32bsr2csr_block_per_row_2_7_kernelILj256ELj2EiiiEEv20rocsparse_direction_T3_S2_21rocsparse_index_base_PKT1_PKT2_PKS2_S2_S3_PS4_PS7_PS2_
		.amdhsa_group_segment_fixed_size 0
		.amdhsa_private_segment_fixed_size 0
		.amdhsa_kernarg_size 72
		.amdhsa_user_sgpr_count 6
		.amdhsa_user_sgpr_private_segment_buffer 1
		.amdhsa_user_sgpr_dispatch_ptr 0
		.amdhsa_user_sgpr_queue_ptr 0
		.amdhsa_user_sgpr_kernarg_segment_ptr 1
		.amdhsa_user_sgpr_dispatch_id 0
		.amdhsa_user_sgpr_flat_scratch_init 0
		.amdhsa_user_sgpr_private_segment_size 0
		.amdhsa_wavefront_size32 1
		.amdhsa_uses_dynamic_stack 0
		.amdhsa_system_sgpr_private_segment_wavefront_offset 0
		.amdhsa_system_sgpr_workgroup_id_x 1
		.amdhsa_system_sgpr_workgroup_id_y 0
		.amdhsa_system_sgpr_workgroup_id_z 0
		.amdhsa_system_sgpr_workgroup_info 0
		.amdhsa_system_vgpr_workitem_id 0
		.amdhsa_next_free_vgpr 15
		.amdhsa_next_free_sgpr 14
		.amdhsa_reserve_vcc 1
		.amdhsa_reserve_flat_scratch 0
		.amdhsa_float_round_mode_32 0
		.amdhsa_float_round_mode_16_64 0
		.amdhsa_float_denorm_mode_32 3
		.amdhsa_float_denorm_mode_16_64 3
		.amdhsa_dx10_clamp 1
		.amdhsa_ieee_mode 1
		.amdhsa_fp16_overflow 0
		.amdhsa_workgroup_processor_mode 1
		.amdhsa_memory_ordered 1
		.amdhsa_forward_progress 1
		.amdhsa_shared_vgpr_count 0
		.amdhsa_exception_fp_ieee_invalid_op 0
		.amdhsa_exception_fp_denorm_src 0
		.amdhsa_exception_fp_ieee_div_zero 0
		.amdhsa_exception_fp_ieee_overflow 0
		.amdhsa_exception_fp_ieee_underflow 0
		.amdhsa_exception_fp_ieee_inexact 0
		.amdhsa_exception_int_div_zero 0
	.end_amdhsa_kernel
	.section	.text._ZN9rocsparseL32bsr2csr_block_per_row_2_7_kernelILj256ELj2EiiiEEv20rocsparse_direction_T3_S2_21rocsparse_index_base_PKT1_PKT2_PKS2_S2_S3_PS4_PS7_PS2_,"axG",@progbits,_ZN9rocsparseL32bsr2csr_block_per_row_2_7_kernelILj256ELj2EiiiEEv20rocsparse_direction_T3_S2_21rocsparse_index_base_PKT1_PKT2_PKS2_S2_S3_PS4_PS7_PS2_,comdat
.Lfunc_end1:
	.size	_ZN9rocsparseL32bsr2csr_block_per_row_2_7_kernelILj256ELj2EiiiEEv20rocsparse_direction_T3_S2_21rocsparse_index_base_PKT1_PKT2_PKS2_S2_S3_PS4_PS7_PS2_, .Lfunc_end1-_ZN9rocsparseL32bsr2csr_block_per_row_2_7_kernelILj256ELj2EiiiEEv20rocsparse_direction_T3_S2_21rocsparse_index_base_PKT1_PKT2_PKS2_S2_S3_PS4_PS7_PS2_
                                        ; -- End function
	.set _ZN9rocsparseL32bsr2csr_block_per_row_2_7_kernelILj256ELj2EiiiEEv20rocsparse_direction_T3_S2_21rocsparse_index_base_PKT1_PKT2_PKS2_S2_S3_PS4_PS7_PS2_.num_vgpr, 15
	.set _ZN9rocsparseL32bsr2csr_block_per_row_2_7_kernelILj256ELj2EiiiEEv20rocsparse_direction_T3_S2_21rocsparse_index_base_PKT1_PKT2_PKS2_S2_S3_PS4_PS7_PS2_.num_agpr, 0
	.set _ZN9rocsparseL32bsr2csr_block_per_row_2_7_kernelILj256ELj2EiiiEEv20rocsparse_direction_T3_S2_21rocsparse_index_base_PKT1_PKT2_PKS2_S2_S3_PS4_PS7_PS2_.numbered_sgpr, 14
	.set _ZN9rocsparseL32bsr2csr_block_per_row_2_7_kernelILj256ELj2EiiiEEv20rocsparse_direction_T3_S2_21rocsparse_index_base_PKT1_PKT2_PKS2_S2_S3_PS4_PS7_PS2_.num_named_barrier, 0
	.set _ZN9rocsparseL32bsr2csr_block_per_row_2_7_kernelILj256ELj2EiiiEEv20rocsparse_direction_T3_S2_21rocsparse_index_base_PKT1_PKT2_PKS2_S2_S3_PS4_PS7_PS2_.private_seg_size, 0
	.set _ZN9rocsparseL32bsr2csr_block_per_row_2_7_kernelILj256ELj2EiiiEEv20rocsparse_direction_T3_S2_21rocsparse_index_base_PKT1_PKT2_PKS2_S2_S3_PS4_PS7_PS2_.uses_vcc, 1
	.set _ZN9rocsparseL32bsr2csr_block_per_row_2_7_kernelILj256ELj2EiiiEEv20rocsparse_direction_T3_S2_21rocsparse_index_base_PKT1_PKT2_PKS2_S2_S3_PS4_PS7_PS2_.uses_flat_scratch, 0
	.set _ZN9rocsparseL32bsr2csr_block_per_row_2_7_kernelILj256ELj2EiiiEEv20rocsparse_direction_T3_S2_21rocsparse_index_base_PKT1_PKT2_PKS2_S2_S3_PS4_PS7_PS2_.has_dyn_sized_stack, 0
	.set _ZN9rocsparseL32bsr2csr_block_per_row_2_7_kernelILj256ELj2EiiiEEv20rocsparse_direction_T3_S2_21rocsparse_index_base_PKT1_PKT2_PKS2_S2_S3_PS4_PS7_PS2_.has_recursion, 0
	.set _ZN9rocsparseL32bsr2csr_block_per_row_2_7_kernelILj256ELj2EiiiEEv20rocsparse_direction_T3_S2_21rocsparse_index_base_PKT1_PKT2_PKS2_S2_S3_PS4_PS7_PS2_.has_indirect_call, 0
	.section	.AMDGPU.csdata,"",@progbits
; Kernel info:
; codeLenInByte = 580
; TotalNumSgprs: 16
; NumVgprs: 15
; ScratchSize: 0
; MemoryBound: 0
; FloatMode: 240
; IeeeMode: 1
; LDSByteSize: 0 bytes/workgroup (compile time only)
; SGPRBlocks: 0
; VGPRBlocks: 1
; NumSGPRsForWavesPerEU: 16
; NumVGPRsForWavesPerEU: 15
; Occupancy: 16
; WaveLimiterHint : 0
; COMPUTE_PGM_RSRC2:SCRATCH_EN: 0
; COMPUTE_PGM_RSRC2:USER_SGPR: 6
; COMPUTE_PGM_RSRC2:TRAP_HANDLER: 0
; COMPUTE_PGM_RSRC2:TGID_X_EN: 1
; COMPUTE_PGM_RSRC2:TGID_Y_EN: 0
; COMPUTE_PGM_RSRC2:TGID_Z_EN: 0
; COMPUTE_PGM_RSRC2:TIDIG_COMP_CNT: 0
	.section	.text._ZN9rocsparseL32bsr2csr_block_per_row_2_7_kernelILj256ELj3EiiiEEv20rocsparse_direction_T3_S2_21rocsparse_index_base_PKT1_PKT2_PKS2_S2_S3_PS4_PS7_PS2_,"axG",@progbits,_ZN9rocsparseL32bsr2csr_block_per_row_2_7_kernelILj256ELj3EiiiEEv20rocsparse_direction_T3_S2_21rocsparse_index_base_PKT1_PKT2_PKS2_S2_S3_PS4_PS7_PS2_,comdat
	.globl	_ZN9rocsparseL32bsr2csr_block_per_row_2_7_kernelILj256ELj3EiiiEEv20rocsparse_direction_T3_S2_21rocsparse_index_base_PKT1_PKT2_PKS2_S2_S3_PS4_PS7_PS2_ ; -- Begin function _ZN9rocsparseL32bsr2csr_block_per_row_2_7_kernelILj256ELj3EiiiEEv20rocsparse_direction_T3_S2_21rocsparse_index_base_PKT1_PKT2_PKS2_S2_S3_PS4_PS7_PS2_
	.p2align	8
	.type	_ZN9rocsparseL32bsr2csr_block_per_row_2_7_kernelILj256ELj3EiiiEEv20rocsparse_direction_T3_S2_21rocsparse_index_base_PKT1_PKT2_PKS2_S2_S3_PS4_PS7_PS2_,@function
_ZN9rocsparseL32bsr2csr_block_per_row_2_7_kernelILj256ELj3EiiiEEv20rocsparse_direction_T3_S2_21rocsparse_index_base_PKT1_PKT2_PKS2_S2_S3_PS4_PS7_PS2_: ; @_ZN9rocsparseL32bsr2csr_block_per_row_2_7_kernelILj256ELj3EiiiEEv20rocsparse_direction_T3_S2_21rocsparse_index_base_PKT1_PKT2_PKS2_S2_S3_PS4_PS7_PS2_
; %bb.0:
	s_clause 0x2
	s_load_dwordx2 s[8:9], s[4:5], 0x18
	s_load_dword s2, s[4:5], 0x2c
	s_load_dwordx2 s[0:1], s[4:5], 0x38
	s_ashr_i32 s7, s6, 31
	v_or_b32_e32 v1, s6, v0
	s_lshl_b64 s[10:11], s[6:7], 2
	s_mov_b32 s3, exec_lo
	s_waitcnt lgkmcnt(0)
	s_add_u32 s8, s8, s10
	s_addc_u32 s9, s9, s11
	v_cmpx_eq_u32_e32 0, v1
	s_cbranch_execz .LBB2_2
; %bb.1:
	v_mov_b32_e32 v1, 0
	v_mov_b32_e32 v2, s2
	global_store_dword v1, v2, s[0:1]
.LBB2_2:
	s_or_b32 exec_lo, exec_lo, s3
	v_and_b32_e32 v3, 3, v0
	s_mov_b32 s3, exec_lo
	v_cmpx_ne_u32_e32 3, v3
	s_cbranch_execz .LBB2_6
; %bb.3:
	s_load_dwordx2 s[12:13], s[8:9], 0x0
	s_load_dword s3, s[4:5], 0xc
	s_mul_i32 s6, s6, 3
	v_mov_b32_e32 v2, 0
	v_add3_u32 v1, v3, s6, 1
	v_lshrrev_b32_e32 v5, 2, v0
	v_lshlrev_b64 v[6:7], 2, v[1:2]
	v_add_co_u32 v6, vcc_lo, s0, v6
	v_add_co_ci_u32_e64 v7, null, s1, v7, vcc_lo
	s_waitcnt lgkmcnt(0)
	s_sub_i32 s7, s12, s3
	s_sub_i32 s13, s13, s3
	v_add_nc_u32_e32 v0, s7, v5
	s_sub_i32 s8, s13, s7
	s_mul_i32 s6, s7, 9
	s_mul_i32 s8, s8, 3
	v_mul_lo_u32 v4, s8, v3
	s_add_i32 s8, s8, s2
	v_cmp_gt_i32_e32 vcc_lo, s13, v0
	v_add3_u32 v1, s8, s6, v4
	global_store_dword v[6:7], v1, off
	s_and_b32 exec_lo, exec_lo, vcc_lo
	s_cbranch_execz .LBB2_6
; %bb.4:
	s_clause 0x3
	s_load_dwordx2 s[6:7], s[4:5], 0x20
	s_load_dwordx2 s[8:9], s[4:5], 0x30
	s_load_dword s0, s[4:5], 0x0
	s_load_dwordx2 s[10:11], s[4:5], 0x10
	v_add_nc_u32_e32 v1, s12, v5
	s_load_dwordx2 s[4:5], s[4:5], 0x40
	v_mul_u32_u24_e32 v5, 3, v5
	s_mul_i32 s1, s12, 9
	s_mov_b32 s12, 0
	v_lshl_add_u32 v1, v1, 3, v1
	s_mov_b32 s14, 0
	v_add3_u32 v5, v4, s1, v5
	s_mul_i32 s1, s3, 9
	v_mad_u32_u24 v1, v3, 3, v1
	v_mad_u64_u32 v[3:4], null, v0, 9, v[3:4]
	v_subrev_nc_u32_e32 v4, s1, v5
	v_subrev_nc_u32_e32 v6, s1, v1
	s_waitcnt lgkmcnt(0)
	s_cmp_eq_u32 s0, 0
	s_cselect_b32 vcc_lo, -1, 0
.LBB2_5:                                ; =>This Inner Loop Header: Depth=1
	v_ashrrev_i32_e32 v1, 31, v0
	v_add_nc_u32_e32 v5, s14, v3
	v_add_nc_u32_e32 v9, s14, v6
	s_addk_i32 s14, 0x240
	v_lshlrev_b64 v[7:8], 2, v[0:1]
	v_add_nc_u32_e32 v12, 3, v5
	v_cndmask_b32_e32 v1, v5, v9, vcc_lo
	v_add_nc_u32_e32 v11, 1, v9
	v_add_nc_u32_e32 v13, 2, v9
	;; [unrolled: 1-line block ×3, first 2 shown]
	v_add_co_u32 v7, s0, s6, v7
	v_add_co_ci_u32_e64 v8, null, s7, v8, s0
	v_lshlrev_b64 v[9:10], 2, v[1:2]
	v_cndmask_b32_e32 v1, v12, v11, vcc_lo
	v_add_nc_u32_e32 v0, 64, v0
	global_load_dword v14, v[7:8], off
	v_lshlrev_b64 v[11:12], 2, v[1:2]
	v_cndmask_b32_e32 v1, v5, v13, vcc_lo
	v_add_co_u32 v7, s0, s10, v9
	v_add_co_ci_u32_e64 v8, null, s11, v10, s0
	v_lshlrev_b64 v[9:10], 2, v[1:2]
	v_add_co_u32 v11, s0, s10, v11
	v_add_co_ci_u32_e64 v12, null, s11, v12, s0
	v_ashrrev_i32_e32 v5, 31, v4
	v_add_co_u32 v9, s0, s10, v9
	v_add_co_ci_u32_e64 v10, null, s11, v10, s0
	s_clause 0x2
	global_load_dword v7, v[7:8], off
	global_load_dword v8, v[11:12], off
	;; [unrolled: 1-line block ×3, first 2 shown]
	v_lshlrev_b64 v[12:13], 2, v[4:5]
	v_cmp_le_i32_e64 s0, s13, v0
	v_add_nc_u32_e32 v4, 0xc0, v4
	s_or_b32 s12, s0, s12
	s_waitcnt vmcnt(3)
	v_subrev_nc_u32_e32 v1, s3, v14
	v_add_co_u32 v14, s1, s4, v12
	v_add_co_ci_u32_e64 v15, null, s5, v13, s1
	v_mad_u64_u32 v[10:11], null, v1, 3, s[2:3]
	v_add_co_u32 v16, s1, s8, v12
	v_add_co_ci_u32_e64 v17, null, s9, v13, s1
	v_add_nc_u32_e32 v11, 1, v10
	v_add_nc_u32_e32 v12, 2, v10
	s_waitcnt vmcnt(0)
	global_store_dwordx3 v[16:17], v[7:9], off
	global_store_dwordx3 v[14:15], v[10:12], off
	s_andn2_b32 exec_lo, exec_lo, s12
	s_cbranch_execnz .LBB2_5
.LBB2_6:
	s_endpgm
	.section	.rodata,"a",@progbits
	.p2align	6, 0x0
	.amdhsa_kernel _ZN9rocsparseL32bsr2csr_block_per_row_2_7_kernelILj256ELj3EiiiEEv20rocsparse_direction_T3_S2_21rocsparse_index_base_PKT1_PKT2_PKS2_S2_S3_PS4_PS7_PS2_
		.amdhsa_group_segment_fixed_size 0
		.amdhsa_private_segment_fixed_size 0
		.amdhsa_kernarg_size 72
		.amdhsa_user_sgpr_count 6
		.amdhsa_user_sgpr_private_segment_buffer 1
		.amdhsa_user_sgpr_dispatch_ptr 0
		.amdhsa_user_sgpr_queue_ptr 0
		.amdhsa_user_sgpr_kernarg_segment_ptr 1
		.amdhsa_user_sgpr_dispatch_id 0
		.amdhsa_user_sgpr_flat_scratch_init 0
		.amdhsa_user_sgpr_private_segment_size 0
		.amdhsa_wavefront_size32 1
		.amdhsa_uses_dynamic_stack 0
		.amdhsa_system_sgpr_private_segment_wavefront_offset 0
		.amdhsa_system_sgpr_workgroup_id_x 1
		.amdhsa_system_sgpr_workgroup_id_y 0
		.amdhsa_system_sgpr_workgroup_id_z 0
		.amdhsa_system_sgpr_workgroup_info 0
		.amdhsa_system_vgpr_workitem_id 0
		.amdhsa_next_free_vgpr 18
		.amdhsa_next_free_sgpr 15
		.amdhsa_reserve_vcc 1
		.amdhsa_reserve_flat_scratch 0
		.amdhsa_float_round_mode_32 0
		.amdhsa_float_round_mode_16_64 0
		.amdhsa_float_denorm_mode_32 3
		.amdhsa_float_denorm_mode_16_64 3
		.amdhsa_dx10_clamp 1
		.amdhsa_ieee_mode 1
		.amdhsa_fp16_overflow 0
		.amdhsa_workgroup_processor_mode 1
		.amdhsa_memory_ordered 1
		.amdhsa_forward_progress 1
		.amdhsa_shared_vgpr_count 0
		.amdhsa_exception_fp_ieee_invalid_op 0
		.amdhsa_exception_fp_denorm_src 0
		.amdhsa_exception_fp_ieee_div_zero 0
		.amdhsa_exception_fp_ieee_overflow 0
		.amdhsa_exception_fp_ieee_underflow 0
		.amdhsa_exception_fp_ieee_inexact 0
		.amdhsa_exception_int_div_zero 0
	.end_amdhsa_kernel
	.section	.text._ZN9rocsparseL32bsr2csr_block_per_row_2_7_kernelILj256ELj3EiiiEEv20rocsparse_direction_T3_S2_21rocsparse_index_base_PKT1_PKT2_PKS2_S2_S3_PS4_PS7_PS2_,"axG",@progbits,_ZN9rocsparseL32bsr2csr_block_per_row_2_7_kernelILj256ELj3EiiiEEv20rocsparse_direction_T3_S2_21rocsparse_index_base_PKT1_PKT2_PKS2_S2_S3_PS4_PS7_PS2_,comdat
.Lfunc_end2:
	.size	_ZN9rocsparseL32bsr2csr_block_per_row_2_7_kernelILj256ELj3EiiiEEv20rocsparse_direction_T3_S2_21rocsparse_index_base_PKT1_PKT2_PKS2_S2_S3_PS4_PS7_PS2_, .Lfunc_end2-_ZN9rocsparseL32bsr2csr_block_per_row_2_7_kernelILj256ELj3EiiiEEv20rocsparse_direction_T3_S2_21rocsparse_index_base_PKT1_PKT2_PKS2_S2_S3_PS4_PS7_PS2_
                                        ; -- End function
	.set _ZN9rocsparseL32bsr2csr_block_per_row_2_7_kernelILj256ELj3EiiiEEv20rocsparse_direction_T3_S2_21rocsparse_index_base_PKT1_PKT2_PKS2_S2_S3_PS4_PS7_PS2_.num_vgpr, 18
	.set _ZN9rocsparseL32bsr2csr_block_per_row_2_7_kernelILj256ELj3EiiiEEv20rocsparse_direction_T3_S2_21rocsparse_index_base_PKT1_PKT2_PKS2_S2_S3_PS4_PS7_PS2_.num_agpr, 0
	.set _ZN9rocsparseL32bsr2csr_block_per_row_2_7_kernelILj256ELj3EiiiEEv20rocsparse_direction_T3_S2_21rocsparse_index_base_PKT1_PKT2_PKS2_S2_S3_PS4_PS7_PS2_.numbered_sgpr, 15
	.set _ZN9rocsparseL32bsr2csr_block_per_row_2_7_kernelILj256ELj3EiiiEEv20rocsparse_direction_T3_S2_21rocsparse_index_base_PKT1_PKT2_PKS2_S2_S3_PS4_PS7_PS2_.num_named_barrier, 0
	.set _ZN9rocsparseL32bsr2csr_block_per_row_2_7_kernelILj256ELj3EiiiEEv20rocsparse_direction_T3_S2_21rocsparse_index_base_PKT1_PKT2_PKS2_S2_S3_PS4_PS7_PS2_.private_seg_size, 0
	.set _ZN9rocsparseL32bsr2csr_block_per_row_2_7_kernelILj256ELj3EiiiEEv20rocsparse_direction_T3_S2_21rocsparse_index_base_PKT1_PKT2_PKS2_S2_S3_PS4_PS7_PS2_.uses_vcc, 1
	.set _ZN9rocsparseL32bsr2csr_block_per_row_2_7_kernelILj256ELj3EiiiEEv20rocsparse_direction_T3_S2_21rocsparse_index_base_PKT1_PKT2_PKS2_S2_S3_PS4_PS7_PS2_.uses_flat_scratch, 0
	.set _ZN9rocsparseL32bsr2csr_block_per_row_2_7_kernelILj256ELj3EiiiEEv20rocsparse_direction_T3_S2_21rocsparse_index_base_PKT1_PKT2_PKS2_S2_S3_PS4_PS7_PS2_.has_dyn_sized_stack, 0
	.set _ZN9rocsparseL32bsr2csr_block_per_row_2_7_kernelILj256ELj3EiiiEEv20rocsparse_direction_T3_S2_21rocsparse_index_base_PKT1_PKT2_PKS2_S2_S3_PS4_PS7_PS2_.has_recursion, 0
	.set _ZN9rocsparseL32bsr2csr_block_per_row_2_7_kernelILj256ELj3EiiiEEv20rocsparse_direction_T3_S2_21rocsparse_index_base_PKT1_PKT2_PKS2_S2_S3_PS4_PS7_PS2_.has_indirect_call, 0
	.section	.AMDGPU.csdata,"",@progbits
; Kernel info:
; codeLenInByte = 648
; TotalNumSgprs: 17
; NumVgprs: 18
; ScratchSize: 0
; MemoryBound: 0
; FloatMode: 240
; IeeeMode: 1
; LDSByteSize: 0 bytes/workgroup (compile time only)
; SGPRBlocks: 0
; VGPRBlocks: 2
; NumSGPRsForWavesPerEU: 17
; NumVGPRsForWavesPerEU: 18
; Occupancy: 16
; WaveLimiterHint : 1
; COMPUTE_PGM_RSRC2:SCRATCH_EN: 0
; COMPUTE_PGM_RSRC2:USER_SGPR: 6
; COMPUTE_PGM_RSRC2:TRAP_HANDLER: 0
; COMPUTE_PGM_RSRC2:TGID_X_EN: 1
; COMPUTE_PGM_RSRC2:TGID_Y_EN: 0
; COMPUTE_PGM_RSRC2:TGID_Z_EN: 0
; COMPUTE_PGM_RSRC2:TIDIG_COMP_CNT: 0
	.section	.text._ZN9rocsparseL32bsr2csr_block_per_row_2_7_kernelILj256ELj4EiiiEEv20rocsparse_direction_T3_S2_21rocsparse_index_base_PKT1_PKT2_PKS2_S2_S3_PS4_PS7_PS2_,"axG",@progbits,_ZN9rocsparseL32bsr2csr_block_per_row_2_7_kernelILj256ELj4EiiiEEv20rocsparse_direction_T3_S2_21rocsparse_index_base_PKT1_PKT2_PKS2_S2_S3_PS4_PS7_PS2_,comdat
	.globl	_ZN9rocsparseL32bsr2csr_block_per_row_2_7_kernelILj256ELj4EiiiEEv20rocsparse_direction_T3_S2_21rocsparse_index_base_PKT1_PKT2_PKS2_S2_S3_PS4_PS7_PS2_ ; -- Begin function _ZN9rocsparseL32bsr2csr_block_per_row_2_7_kernelILj256ELj4EiiiEEv20rocsparse_direction_T3_S2_21rocsparse_index_base_PKT1_PKT2_PKS2_S2_S3_PS4_PS7_PS2_
	.p2align	8
	.type	_ZN9rocsparseL32bsr2csr_block_per_row_2_7_kernelILj256ELj4EiiiEEv20rocsparse_direction_T3_S2_21rocsparse_index_base_PKT1_PKT2_PKS2_S2_S3_PS4_PS7_PS2_,@function
_ZN9rocsparseL32bsr2csr_block_per_row_2_7_kernelILj256ELj4EiiiEEv20rocsparse_direction_T3_S2_21rocsparse_index_base_PKT1_PKT2_PKS2_S2_S3_PS4_PS7_PS2_: ; @_ZN9rocsparseL32bsr2csr_block_per_row_2_7_kernelILj256ELj4EiiiEEv20rocsparse_direction_T3_S2_21rocsparse_index_base_PKT1_PKT2_PKS2_S2_S3_PS4_PS7_PS2_
; %bb.0:
	s_load_dwordx2 s[0:1], s[4:5], 0x18
	s_ashr_i32 s7, s6, 31
	s_clause 0x1
	s_load_dword s10, s[4:5], 0x2c
	s_load_dwordx2 s[2:3], s[4:5], 0x38
	s_lshl_b64 s[8:9], s[6:7], 2
	v_or_b32_e32 v1, s6, v0
	s_mov_b32 s7, exec_lo
	s_waitcnt lgkmcnt(0)
	s_add_u32 s0, s0, s8
	s_addc_u32 s1, s1, s9
	s_load_dwordx2 s[0:1], s[0:1], 0x0
	v_cmpx_eq_u32_e32 0, v1
	s_cbranch_execz .LBB3_2
; %bb.1:
	v_mov_b32_e32 v1, 0
	v_mov_b32_e32 v2, s10
	global_store_dword v1, v2, s[2:3]
.LBB3_2:
	s_or_b32 exec_lo, exec_lo, s7
	s_load_dword s11, s[4:5], 0xc
	v_and_b32_e32 v5, 3, v0
	v_mov_b32_e32 v2, 0
	v_lshrrev_b32_e32 v4, 2, v0
	v_lshl_or_b32 v1, s6, 2, v5
	v_add_nc_u32_e32 v1, 1, v1
	v_lshlrev_b64 v[6:7], 2, v[1:2]
	s_waitcnt lgkmcnt(0)
	s_sub_i32 s6, s0, s11
	s_sub_i32 s12, s1, s11
	s_lshl_b32 s7, s6, 4
	s_sub_i32 s1, s12, s6
	v_add_co_u32 v6, vcc_lo, s2, v6
	s_lshl_b32 s1, s1, 2
	v_add_nc_u32_e32 v0, s6, v4
	v_mul_lo_u32 v3, s1, v5
	s_add_i32 s1, s1, s10
	v_add_co_ci_u32_e64 v7, null, s3, v7, vcc_lo
	v_add3_u32 v1, s1, s7, v3
	s_mov_b32 s1, exec_lo
	global_store_dword v[6:7], v1, off
	v_cmpx_gt_i32_e64 s12, v0
	s_cbranch_execz .LBB3_5
; %bb.3:
	s_clause 0x4
	s_load_dwordx2 s[2:3], s[4:5], 0x20
	s_load_dwordx2 s[6:7], s[4:5], 0x30
	s_load_dword s1, s[4:5], 0x0
	s_load_dwordx2 s[8:9], s[4:5], 0x10
	s_load_dwordx2 s[4:5], s[4:5], 0x40
	v_lshlrev_b32_e32 v1, 2, v4
	v_lshlrev_b32_e32 v6, 2, v5
	;; [unrolled: 1-line block ×3, first 2 shown]
	s_mov_b32 s13, 0
	s_waitcnt lgkmcnt(0)
	s_cmp_eq_u32 s1, 0
	s_cselect_b32 vcc_lo, -1, 0
	s_lshl_b32 s0, s0, 4
	v_add3_u32 v1, v3, s0, v1
	s_lshl_b32 s0, s11, 4
	v_subrev_nc_u32_e32 v3, s0, v1
.LBB3_4:                                ; =>This Inner Loop Header: Depth=1
	v_ashrrev_i32_e32 v1, 31, v0
	v_add_nc_u32_e32 v4, v5, v7
	v_add_nc_u32_e32 v10, v6, v7
	;; [unrolled: 1-line block ×3, first 2 shown]
	v_lshlrev_b64 v[8:9], 2, v[0:1]
	v_add_nc_u32_e32 v13, 4, v4
	v_cndmask_b32_e32 v1, v4, v10, vcc_lo
	v_add_nc_u32_e32 v12, 1, v10
	v_add_nc_u32_e32 v14, 2, v10
	;; [unrolled: 1-line block ×4, first 2 shown]
	v_lshlrev_b64 v[10:11], 2, v[1:2]
	v_cndmask_b32_e32 v1, v13, v12, vcc_lo
	v_add_co_u32 v8, s0, s2, v8
	v_add_co_ci_u32_e64 v9, null, s3, v9, s0
	v_add_nc_u32_e32 v4, 12, v4
	v_lshlrev_b64 v[12:13], 2, v[1:2]
	v_cndmask_b32_e32 v1, v15, v14, vcc_lo
	global_load_dword v18, v[8:9], off
	v_add_co_u32 v8, s0, s8, v10
	v_add_co_ci_u32_e64 v9, null, s9, v11, s0
	v_lshlrev_b64 v[10:11], 2, v[1:2]
	v_cndmask_b32_e32 v1, v4, v16, vcc_lo
	v_add_co_u32 v12, s0, s8, v12
	v_add_co_ci_u32_e64 v13, null, s9, v13, s0
	v_lshlrev_b64 v[14:15], 2, v[1:2]
	v_add_co_u32 v10, s0, s8, v10
	v_add_co_ci_u32_e64 v11, null, s9, v11, s0
	v_ashrrev_i32_e32 v4, 31, v3
	v_add_co_u32 v14, s0, s8, v14
	v_add_co_ci_u32_e64 v15, null, s9, v15, s0
	s_clause 0x3
	global_load_dword v8, v[8:9], off
	global_load_dword v9, v[12:13], off
	;; [unrolled: 1-line block ×4, first 2 shown]
	v_lshlrev_b64 v[12:13], 2, v[3:4]
	v_add_nc_u32_e32 v0, 64, v0
	v_add_nc_u32_e32 v3, 0x100, v3
	v_add_co_u32 v16, s1, s4, v12
	v_add_co_ci_u32_e64 v17, null, s5, v13, s1
	v_cmp_le_i32_e64 s0, s12, v0
	s_or_b32 s13, s0, s13
	s_waitcnt vmcnt(4)
	v_subrev_nc_u32_e32 v1, s11, v18
	v_add_co_u32 v18, s1, s6, v12
	v_add_co_ci_u32_e64 v19, null, s7, v13, s1
	v_lshl_add_u32 v12, v1, 2, s10
	v_add_nc_u32_e32 v13, 1, v12
	v_add_nc_u32_e32 v14, 2, v12
	;; [unrolled: 1-line block ×3, first 2 shown]
	global_store_dwordx4 v[16:17], v[12:15], off
	s_waitcnt vmcnt(0)
	global_store_dwordx4 v[18:19], v[8:11], off
	s_andn2_b32 exec_lo, exec_lo, s13
	s_cbranch_execnz .LBB3_4
.LBB3_5:
	s_endpgm
	.section	.rodata,"a",@progbits
	.p2align	6, 0x0
	.amdhsa_kernel _ZN9rocsparseL32bsr2csr_block_per_row_2_7_kernelILj256ELj4EiiiEEv20rocsparse_direction_T3_S2_21rocsparse_index_base_PKT1_PKT2_PKS2_S2_S3_PS4_PS7_PS2_
		.amdhsa_group_segment_fixed_size 0
		.amdhsa_private_segment_fixed_size 0
		.amdhsa_kernarg_size 72
		.amdhsa_user_sgpr_count 6
		.amdhsa_user_sgpr_private_segment_buffer 1
		.amdhsa_user_sgpr_dispatch_ptr 0
		.amdhsa_user_sgpr_queue_ptr 0
		.amdhsa_user_sgpr_kernarg_segment_ptr 1
		.amdhsa_user_sgpr_dispatch_id 0
		.amdhsa_user_sgpr_flat_scratch_init 0
		.amdhsa_user_sgpr_private_segment_size 0
		.amdhsa_wavefront_size32 1
		.amdhsa_uses_dynamic_stack 0
		.amdhsa_system_sgpr_private_segment_wavefront_offset 0
		.amdhsa_system_sgpr_workgroup_id_x 1
		.amdhsa_system_sgpr_workgroup_id_y 0
		.amdhsa_system_sgpr_workgroup_id_z 0
		.amdhsa_system_sgpr_workgroup_info 0
		.amdhsa_system_vgpr_workitem_id 0
		.amdhsa_next_free_vgpr 20
		.amdhsa_next_free_sgpr 14
		.amdhsa_reserve_vcc 1
		.amdhsa_reserve_flat_scratch 0
		.amdhsa_float_round_mode_32 0
		.amdhsa_float_round_mode_16_64 0
		.amdhsa_float_denorm_mode_32 3
		.amdhsa_float_denorm_mode_16_64 3
		.amdhsa_dx10_clamp 1
		.amdhsa_ieee_mode 1
		.amdhsa_fp16_overflow 0
		.amdhsa_workgroup_processor_mode 1
		.amdhsa_memory_ordered 1
		.amdhsa_forward_progress 1
		.amdhsa_shared_vgpr_count 0
		.amdhsa_exception_fp_ieee_invalid_op 0
		.amdhsa_exception_fp_denorm_src 0
		.amdhsa_exception_fp_ieee_div_zero 0
		.amdhsa_exception_fp_ieee_overflow 0
		.amdhsa_exception_fp_ieee_underflow 0
		.amdhsa_exception_fp_ieee_inexact 0
		.amdhsa_exception_int_div_zero 0
	.end_amdhsa_kernel
	.section	.text._ZN9rocsparseL32bsr2csr_block_per_row_2_7_kernelILj256ELj4EiiiEEv20rocsparse_direction_T3_S2_21rocsparse_index_base_PKT1_PKT2_PKS2_S2_S3_PS4_PS7_PS2_,"axG",@progbits,_ZN9rocsparseL32bsr2csr_block_per_row_2_7_kernelILj256ELj4EiiiEEv20rocsparse_direction_T3_S2_21rocsparse_index_base_PKT1_PKT2_PKS2_S2_S3_PS4_PS7_PS2_,comdat
.Lfunc_end3:
	.size	_ZN9rocsparseL32bsr2csr_block_per_row_2_7_kernelILj256ELj4EiiiEEv20rocsparse_direction_T3_S2_21rocsparse_index_base_PKT1_PKT2_PKS2_S2_S3_PS4_PS7_PS2_, .Lfunc_end3-_ZN9rocsparseL32bsr2csr_block_per_row_2_7_kernelILj256ELj4EiiiEEv20rocsparse_direction_T3_S2_21rocsparse_index_base_PKT1_PKT2_PKS2_S2_S3_PS4_PS7_PS2_
                                        ; -- End function
	.set _ZN9rocsparseL32bsr2csr_block_per_row_2_7_kernelILj256ELj4EiiiEEv20rocsparse_direction_T3_S2_21rocsparse_index_base_PKT1_PKT2_PKS2_S2_S3_PS4_PS7_PS2_.num_vgpr, 20
	.set _ZN9rocsparseL32bsr2csr_block_per_row_2_7_kernelILj256ELj4EiiiEEv20rocsparse_direction_T3_S2_21rocsparse_index_base_PKT1_PKT2_PKS2_S2_S3_PS4_PS7_PS2_.num_agpr, 0
	.set _ZN9rocsparseL32bsr2csr_block_per_row_2_7_kernelILj256ELj4EiiiEEv20rocsparse_direction_T3_S2_21rocsparse_index_base_PKT1_PKT2_PKS2_S2_S3_PS4_PS7_PS2_.numbered_sgpr, 14
	.set _ZN9rocsparseL32bsr2csr_block_per_row_2_7_kernelILj256ELj4EiiiEEv20rocsparse_direction_T3_S2_21rocsparse_index_base_PKT1_PKT2_PKS2_S2_S3_PS4_PS7_PS2_.num_named_barrier, 0
	.set _ZN9rocsparseL32bsr2csr_block_per_row_2_7_kernelILj256ELj4EiiiEEv20rocsparse_direction_T3_S2_21rocsparse_index_base_PKT1_PKT2_PKS2_S2_S3_PS4_PS7_PS2_.private_seg_size, 0
	.set _ZN9rocsparseL32bsr2csr_block_per_row_2_7_kernelILj256ELj4EiiiEEv20rocsparse_direction_T3_S2_21rocsparse_index_base_PKT1_PKT2_PKS2_S2_S3_PS4_PS7_PS2_.uses_vcc, 1
	.set _ZN9rocsparseL32bsr2csr_block_per_row_2_7_kernelILj256ELj4EiiiEEv20rocsparse_direction_T3_S2_21rocsparse_index_base_PKT1_PKT2_PKS2_S2_S3_PS4_PS7_PS2_.uses_flat_scratch, 0
	.set _ZN9rocsparseL32bsr2csr_block_per_row_2_7_kernelILj256ELj4EiiiEEv20rocsparse_direction_T3_S2_21rocsparse_index_base_PKT1_PKT2_PKS2_S2_S3_PS4_PS7_PS2_.has_dyn_sized_stack, 0
	.set _ZN9rocsparseL32bsr2csr_block_per_row_2_7_kernelILj256ELj4EiiiEEv20rocsparse_direction_T3_S2_21rocsparse_index_base_PKT1_PKT2_PKS2_S2_S3_PS4_PS7_PS2_.has_recursion, 0
	.set _ZN9rocsparseL32bsr2csr_block_per_row_2_7_kernelILj256ELj4EiiiEEv20rocsparse_direction_T3_S2_21rocsparse_index_base_PKT1_PKT2_PKS2_S2_S3_PS4_PS7_PS2_.has_indirect_call, 0
	.section	.AMDGPU.csdata,"",@progbits
; Kernel info:
; codeLenInByte = 664
; TotalNumSgprs: 16
; NumVgprs: 20
; ScratchSize: 0
; MemoryBound: 0
; FloatMode: 240
; IeeeMode: 1
; LDSByteSize: 0 bytes/workgroup (compile time only)
; SGPRBlocks: 0
; VGPRBlocks: 2
; NumSGPRsForWavesPerEU: 16
; NumVGPRsForWavesPerEU: 20
; Occupancy: 16
; WaveLimiterHint : 0
; COMPUTE_PGM_RSRC2:SCRATCH_EN: 0
; COMPUTE_PGM_RSRC2:USER_SGPR: 6
; COMPUTE_PGM_RSRC2:TRAP_HANDLER: 0
; COMPUTE_PGM_RSRC2:TGID_X_EN: 1
; COMPUTE_PGM_RSRC2:TGID_Y_EN: 0
; COMPUTE_PGM_RSRC2:TGID_Z_EN: 0
; COMPUTE_PGM_RSRC2:TIDIG_COMP_CNT: 0
	.section	.text._ZN9rocsparseL32bsr2csr_block_per_row_2_7_kernelILj256ELj5EiiiEEv20rocsparse_direction_T3_S2_21rocsparse_index_base_PKT1_PKT2_PKS2_S2_S3_PS4_PS7_PS2_,"axG",@progbits,_ZN9rocsparseL32bsr2csr_block_per_row_2_7_kernelILj256ELj5EiiiEEv20rocsparse_direction_T3_S2_21rocsparse_index_base_PKT1_PKT2_PKS2_S2_S3_PS4_PS7_PS2_,comdat
	.globl	_ZN9rocsparseL32bsr2csr_block_per_row_2_7_kernelILj256ELj5EiiiEEv20rocsparse_direction_T3_S2_21rocsparse_index_base_PKT1_PKT2_PKS2_S2_S3_PS4_PS7_PS2_ ; -- Begin function _ZN9rocsparseL32bsr2csr_block_per_row_2_7_kernelILj256ELj5EiiiEEv20rocsparse_direction_T3_S2_21rocsparse_index_base_PKT1_PKT2_PKS2_S2_S3_PS4_PS7_PS2_
	.p2align	8
	.type	_ZN9rocsparseL32bsr2csr_block_per_row_2_7_kernelILj256ELj5EiiiEEv20rocsparse_direction_T3_S2_21rocsparse_index_base_PKT1_PKT2_PKS2_S2_S3_PS4_PS7_PS2_,@function
_ZN9rocsparseL32bsr2csr_block_per_row_2_7_kernelILj256ELj5EiiiEEv20rocsparse_direction_T3_S2_21rocsparse_index_base_PKT1_PKT2_PKS2_S2_S3_PS4_PS7_PS2_: ; @_ZN9rocsparseL32bsr2csr_block_per_row_2_7_kernelILj256ELj5EiiiEEv20rocsparse_direction_T3_S2_21rocsparse_index_base_PKT1_PKT2_PKS2_S2_S3_PS4_PS7_PS2_
; %bb.0:
	s_clause 0x2
	s_load_dwordx2 s[8:9], s[4:5], 0x18
	s_load_dword s2, s[4:5], 0x2c
	s_load_dwordx2 s[0:1], s[4:5], 0x38
	s_ashr_i32 s7, s6, 31
	v_or_b32_e32 v1, s6, v0
	s_lshl_b64 s[10:11], s[6:7], 2
	s_mov_b32 s3, exec_lo
	s_waitcnt lgkmcnt(0)
	s_add_u32 s8, s8, s10
	s_addc_u32 s9, s9, s11
	v_cmpx_eq_u32_e32 0, v1
	s_cbranch_execz .LBB4_2
; %bb.1:
	v_mov_b32_e32 v1, 0
	v_mov_b32_e32 v2, s2
	global_store_dword v1, v2, s[0:1]
.LBB4_2:
	s_or_b32 exec_lo, exec_lo, s3
	v_and_b32_e32 v3, 7, v0
	s_mov_b32 s3, exec_lo
	v_cmpx_gt_u32_e32 5, v3
	s_cbranch_execz .LBB4_6
; %bb.3:
	s_load_dwordx2 s[12:13], s[8:9], 0x0
	s_load_dword s3, s[4:5], 0xc
	s_mul_i32 s6, s6, 5
	v_mov_b32_e32 v2, 0
	v_add3_u32 v1, v3, s6, 1
	v_lshrrev_b32_e32 v5, 3, v0
	v_lshlrev_b64 v[6:7], 2, v[1:2]
	v_add_co_u32 v6, vcc_lo, s0, v6
	v_add_co_ci_u32_e64 v7, null, s1, v7, vcc_lo
	s_waitcnt lgkmcnt(0)
	s_sub_i32 s7, s12, s3
	s_sub_i32 s13, s13, s3
	v_add_nc_u32_e32 v0, s7, v5
	s_sub_i32 s8, s13, s7
	s_mul_i32 s6, s7, 25
	s_mul_i32 s8, s8, 5
	v_mul_lo_u32 v4, s8, v3
	s_add_i32 s8, s8, s2
	v_cmp_gt_i32_e32 vcc_lo, s13, v0
	v_add3_u32 v1, s8, s6, v4
	global_store_dword v[6:7], v1, off
	s_and_b32 exec_lo, exec_lo, vcc_lo
	s_cbranch_execz .LBB4_6
; %bb.4:
	s_clause 0x2
	s_load_dwordx2 s[6:7], s[4:5], 0x20
	s_load_dwordx2 s[8:9], s[4:5], 0x30
	s_load_dword s0, s[4:5], 0x0
	v_add_nc_u32_e32 v1, s12, v5
	s_clause 0x1
	s_load_dwordx2 s[10:11], s[4:5], 0x10
	s_load_dwordx2 s[4:5], s[4:5], 0x40
	v_mul_u32_u24_e32 v5, 5, v5
	s_mul_i32 s1, s12, 25
	s_mov_b32 s12, 0
	v_mul_lo_u32 v1, v1, 25
	s_mov_b32 s14, 0
	v_add3_u32 v5, v4, s1, v5
	s_mul_i32 s1, s3, 25
	v_mad_u32_u24 v1, v3, 5, v1
	v_mad_u64_u32 v[3:4], null, v0, 25, v[3:4]
	v_subrev_nc_u32_e32 v4, s1, v5
	v_subrev_nc_u32_e32 v6, s1, v1
	s_waitcnt lgkmcnt(0)
	s_cmp_eq_u32 s0, 0
	s_cselect_b32 vcc_lo, -1, 0
.LBB4_5:                                ; =>This Inner Loop Header: Depth=1
	v_ashrrev_i32_e32 v1, 31, v0
	v_add_nc_u32_e32 v5, s14, v3
	v_add_nc_u32_e32 v9, s14, v6
	s_addk_i32 s14, 0x320
	v_lshlrev_b64 v[7:8], 2, v[0:1]
	v_add_nc_u32_e32 v12, 5, v5
	v_cndmask_b32_e32 v1, v5, v9, vcc_lo
	v_add_nc_u32_e32 v11, 1, v9
	v_add_nc_u32_e32 v13, 2, v9
	;; [unrolled: 1-line block ×5, first 2 shown]
	v_lshlrev_b64 v[9:10], 2, v[1:2]
	v_cndmask_b32_e32 v1, v12, v11, vcc_lo
	v_add_co_u32 v7, s0, s6, v7
	v_add_co_ci_u32_e64 v8, null, s7, v8, s0
	v_add_nc_u32_e32 v16, 15, v5
	v_lshlrev_b64 v[11:12], 2, v[1:2]
	v_cndmask_b32_e32 v1, v14, v13, vcc_lo
	global_load_dword v18, v[7:8], off
	v_add_co_u32 v7, s0, s10, v9
	v_add_nc_u32_e32 v5, 20, v5
	v_add_co_ci_u32_e64 v8, null, s11, v10, s0
	v_lshlrev_b64 v[9:10], 2, v[1:2]
	v_cndmask_b32_e32 v1, v16, v15, vcc_lo
	v_add_co_u32 v11, s0, s10, v11
	v_add_co_ci_u32_e64 v12, null, s11, v12, s0
	v_lshlrev_b64 v[13:14], 2, v[1:2]
	v_cndmask_b32_e32 v1, v5, v17, vcc_lo
	v_add_co_u32 v9, s0, s10, v9
	v_add_co_ci_u32_e64 v10, null, s11, v10, s0
	v_lshlrev_b64 v[15:16], 2, v[1:2]
	v_add_co_u32 v13, s0, s10, v13
	v_add_co_ci_u32_e64 v14, null, s11, v14, s0
	v_ashrrev_i32_e32 v5, 31, v4
	v_add_co_u32 v15, s0, s10, v15
	v_add_co_ci_u32_e64 v16, null, s11, v16, s0
	s_clause 0x4
	global_load_dword v7, v[7:8], off
	global_load_dword v8, v[11:12], off
	global_load_dword v9, v[9:10], off
	global_load_dword v10, v[13:14], off
	global_load_dword v1, v[15:16], off
	v_lshlrev_b64 v[12:13], 2, v[4:5]
	v_add_nc_u32_e32 v0, 32, v0
	v_add_nc_u32_e32 v4, 0xa0, v4
	v_add_co_u32 v15, s1, s4, v12
	v_add_co_ci_u32_e64 v16, null, s5, v13, s1
	v_add_co_u32 v17, s1, s8, v12
	v_cmp_le_i32_e64 s0, s13, v0
	s_or_b32 s12, s0, s12
	s_waitcnt vmcnt(5)
	v_subrev_nc_u32_e32 v5, s3, v18
	v_add_co_ci_u32_e64 v18, null, s9, v13, s1
	v_mad_u64_u32 v[11:12], null, v5, 5, s[2:3]
	v_add_nc_u32_e32 v12, 1, v11
	v_add_nc_u32_e32 v13, 2, v11
	;; [unrolled: 1-line block ×4, first 2 shown]
	global_store_dwordx4 v[15:16], v[11:14], off
	global_store_dword v[15:16], v5, off offset:16
	s_waitcnt vmcnt(1)
	global_store_dwordx4 v[17:18], v[7:10], off
	s_waitcnt vmcnt(0)
	global_store_dword v[17:18], v1, off offset:16
	s_andn2_b32 exec_lo, exec_lo, s12
	s_cbranch_execnz .LBB4_5
.LBB4_6:
	s_endpgm
	.section	.rodata,"a",@progbits
	.p2align	6, 0x0
	.amdhsa_kernel _ZN9rocsparseL32bsr2csr_block_per_row_2_7_kernelILj256ELj5EiiiEEv20rocsparse_direction_T3_S2_21rocsparse_index_base_PKT1_PKT2_PKS2_S2_S3_PS4_PS7_PS2_
		.amdhsa_group_segment_fixed_size 0
		.amdhsa_private_segment_fixed_size 0
		.amdhsa_kernarg_size 72
		.amdhsa_user_sgpr_count 6
		.amdhsa_user_sgpr_private_segment_buffer 1
		.amdhsa_user_sgpr_dispatch_ptr 0
		.amdhsa_user_sgpr_queue_ptr 0
		.amdhsa_user_sgpr_kernarg_segment_ptr 1
		.amdhsa_user_sgpr_dispatch_id 0
		.amdhsa_user_sgpr_flat_scratch_init 0
		.amdhsa_user_sgpr_private_segment_size 0
		.amdhsa_wavefront_size32 1
		.amdhsa_uses_dynamic_stack 0
		.amdhsa_system_sgpr_private_segment_wavefront_offset 0
		.amdhsa_system_sgpr_workgroup_id_x 1
		.amdhsa_system_sgpr_workgroup_id_y 0
		.amdhsa_system_sgpr_workgroup_id_z 0
		.amdhsa_system_sgpr_workgroup_info 0
		.amdhsa_system_vgpr_workitem_id 0
		.amdhsa_next_free_vgpr 19
		.amdhsa_next_free_sgpr 15
		.amdhsa_reserve_vcc 1
		.amdhsa_reserve_flat_scratch 0
		.amdhsa_float_round_mode_32 0
		.amdhsa_float_round_mode_16_64 0
		.amdhsa_float_denorm_mode_32 3
		.amdhsa_float_denorm_mode_16_64 3
		.amdhsa_dx10_clamp 1
		.amdhsa_ieee_mode 1
		.amdhsa_fp16_overflow 0
		.amdhsa_workgroup_processor_mode 1
		.amdhsa_memory_ordered 1
		.amdhsa_forward_progress 1
		.amdhsa_shared_vgpr_count 0
		.amdhsa_exception_fp_ieee_invalid_op 0
		.amdhsa_exception_fp_denorm_src 0
		.amdhsa_exception_fp_ieee_div_zero 0
		.amdhsa_exception_fp_ieee_overflow 0
		.amdhsa_exception_fp_ieee_underflow 0
		.amdhsa_exception_fp_ieee_inexact 0
		.amdhsa_exception_int_div_zero 0
	.end_amdhsa_kernel
	.section	.text._ZN9rocsparseL32bsr2csr_block_per_row_2_7_kernelILj256ELj5EiiiEEv20rocsparse_direction_T3_S2_21rocsparse_index_base_PKT1_PKT2_PKS2_S2_S3_PS4_PS7_PS2_,"axG",@progbits,_ZN9rocsparseL32bsr2csr_block_per_row_2_7_kernelILj256ELj5EiiiEEv20rocsparse_direction_T3_S2_21rocsparse_index_base_PKT1_PKT2_PKS2_S2_S3_PS4_PS7_PS2_,comdat
.Lfunc_end4:
	.size	_ZN9rocsparseL32bsr2csr_block_per_row_2_7_kernelILj256ELj5EiiiEEv20rocsparse_direction_T3_S2_21rocsparse_index_base_PKT1_PKT2_PKS2_S2_S3_PS4_PS7_PS2_, .Lfunc_end4-_ZN9rocsparseL32bsr2csr_block_per_row_2_7_kernelILj256ELj5EiiiEEv20rocsparse_direction_T3_S2_21rocsparse_index_base_PKT1_PKT2_PKS2_S2_S3_PS4_PS7_PS2_
                                        ; -- End function
	.set _ZN9rocsparseL32bsr2csr_block_per_row_2_7_kernelILj256ELj5EiiiEEv20rocsparse_direction_T3_S2_21rocsparse_index_base_PKT1_PKT2_PKS2_S2_S3_PS4_PS7_PS2_.num_vgpr, 19
	.set _ZN9rocsparseL32bsr2csr_block_per_row_2_7_kernelILj256ELj5EiiiEEv20rocsparse_direction_T3_S2_21rocsparse_index_base_PKT1_PKT2_PKS2_S2_S3_PS4_PS7_PS2_.num_agpr, 0
	.set _ZN9rocsparseL32bsr2csr_block_per_row_2_7_kernelILj256ELj5EiiiEEv20rocsparse_direction_T3_S2_21rocsparse_index_base_PKT1_PKT2_PKS2_S2_S3_PS4_PS7_PS2_.numbered_sgpr, 15
	.set _ZN9rocsparseL32bsr2csr_block_per_row_2_7_kernelILj256ELj5EiiiEEv20rocsparse_direction_T3_S2_21rocsparse_index_base_PKT1_PKT2_PKS2_S2_S3_PS4_PS7_PS2_.num_named_barrier, 0
	.set _ZN9rocsparseL32bsr2csr_block_per_row_2_7_kernelILj256ELj5EiiiEEv20rocsparse_direction_T3_S2_21rocsparse_index_base_PKT1_PKT2_PKS2_S2_S3_PS4_PS7_PS2_.private_seg_size, 0
	.set _ZN9rocsparseL32bsr2csr_block_per_row_2_7_kernelILj256ELj5EiiiEEv20rocsparse_direction_T3_S2_21rocsparse_index_base_PKT1_PKT2_PKS2_S2_S3_PS4_PS7_PS2_.uses_vcc, 1
	.set _ZN9rocsparseL32bsr2csr_block_per_row_2_7_kernelILj256ELj5EiiiEEv20rocsparse_direction_T3_S2_21rocsparse_index_base_PKT1_PKT2_PKS2_S2_S3_PS4_PS7_PS2_.uses_flat_scratch, 0
	.set _ZN9rocsparseL32bsr2csr_block_per_row_2_7_kernelILj256ELj5EiiiEEv20rocsparse_direction_T3_S2_21rocsparse_index_base_PKT1_PKT2_PKS2_S2_S3_PS4_PS7_PS2_.has_dyn_sized_stack, 0
	.set _ZN9rocsparseL32bsr2csr_block_per_row_2_7_kernelILj256ELj5EiiiEEv20rocsparse_direction_T3_S2_21rocsparse_index_base_PKT1_PKT2_PKS2_S2_S3_PS4_PS7_PS2_.has_recursion, 0
	.set _ZN9rocsparseL32bsr2csr_block_per_row_2_7_kernelILj256ELj5EiiiEEv20rocsparse_direction_T3_S2_21rocsparse_index_base_PKT1_PKT2_PKS2_S2_S3_PS4_PS7_PS2_.has_indirect_call, 0
	.section	.AMDGPU.csdata,"",@progbits
; Kernel info:
; codeLenInByte = 768
; TotalNumSgprs: 17
; NumVgprs: 19
; ScratchSize: 0
; MemoryBound: 0
; FloatMode: 240
; IeeeMode: 1
; LDSByteSize: 0 bytes/workgroup (compile time only)
; SGPRBlocks: 0
; VGPRBlocks: 2
; NumSGPRsForWavesPerEU: 17
; NumVGPRsForWavesPerEU: 19
; Occupancy: 16
; WaveLimiterHint : 1
; COMPUTE_PGM_RSRC2:SCRATCH_EN: 0
; COMPUTE_PGM_RSRC2:USER_SGPR: 6
; COMPUTE_PGM_RSRC2:TRAP_HANDLER: 0
; COMPUTE_PGM_RSRC2:TGID_X_EN: 1
; COMPUTE_PGM_RSRC2:TGID_Y_EN: 0
; COMPUTE_PGM_RSRC2:TGID_Z_EN: 0
; COMPUTE_PGM_RSRC2:TIDIG_COMP_CNT: 0
	.section	.text._ZN9rocsparseL32bsr2csr_block_per_row_2_7_kernelILj256ELj6EiiiEEv20rocsparse_direction_T3_S2_21rocsparse_index_base_PKT1_PKT2_PKS2_S2_S3_PS4_PS7_PS2_,"axG",@progbits,_ZN9rocsparseL32bsr2csr_block_per_row_2_7_kernelILj256ELj6EiiiEEv20rocsparse_direction_T3_S2_21rocsparse_index_base_PKT1_PKT2_PKS2_S2_S3_PS4_PS7_PS2_,comdat
	.globl	_ZN9rocsparseL32bsr2csr_block_per_row_2_7_kernelILj256ELj6EiiiEEv20rocsparse_direction_T3_S2_21rocsparse_index_base_PKT1_PKT2_PKS2_S2_S3_PS4_PS7_PS2_ ; -- Begin function _ZN9rocsparseL32bsr2csr_block_per_row_2_7_kernelILj256ELj6EiiiEEv20rocsparse_direction_T3_S2_21rocsparse_index_base_PKT1_PKT2_PKS2_S2_S3_PS4_PS7_PS2_
	.p2align	8
	.type	_ZN9rocsparseL32bsr2csr_block_per_row_2_7_kernelILj256ELj6EiiiEEv20rocsparse_direction_T3_S2_21rocsparse_index_base_PKT1_PKT2_PKS2_S2_S3_PS4_PS7_PS2_,@function
_ZN9rocsparseL32bsr2csr_block_per_row_2_7_kernelILj256ELj6EiiiEEv20rocsparse_direction_T3_S2_21rocsparse_index_base_PKT1_PKT2_PKS2_S2_S3_PS4_PS7_PS2_: ; @_ZN9rocsparseL32bsr2csr_block_per_row_2_7_kernelILj256ELj6EiiiEEv20rocsparse_direction_T3_S2_21rocsparse_index_base_PKT1_PKT2_PKS2_S2_S3_PS4_PS7_PS2_
; %bb.0:
	s_clause 0x2
	s_load_dwordx2 s[8:9], s[4:5], 0x18
	s_load_dword s2, s[4:5], 0x2c
	s_load_dwordx2 s[0:1], s[4:5], 0x38
	s_ashr_i32 s7, s6, 31
	v_or_b32_e32 v1, s6, v0
	s_lshl_b64 s[10:11], s[6:7], 2
	s_mov_b32 s3, exec_lo
	s_waitcnt lgkmcnt(0)
	s_add_u32 s8, s8, s10
	s_addc_u32 s9, s9, s11
	v_cmpx_eq_u32_e32 0, v1
	s_cbranch_execz .LBB5_2
; %bb.1:
	v_mov_b32_e32 v1, 0
	v_mov_b32_e32 v2, s2
	global_store_dword v1, v2, s[0:1]
.LBB5_2:
	s_or_b32 exec_lo, exec_lo, s3
	v_and_b32_e32 v5, 7, v0
	s_mov_b32 s3, exec_lo
	v_cmpx_gt_u32_e32 6, v5
	s_cbranch_execz .LBB5_6
; %bb.3:
	s_load_dwordx2 s[12:13], s[8:9], 0x0
	s_load_dword s3, s[4:5], 0xc
	s_mul_i32 s6, s6, 6
	v_mov_b32_e32 v2, 0
	v_add3_u32 v1, v5, s6, 1
	v_lshrrev_b32_e32 v4, 3, v0
	v_lshlrev_b64 v[6:7], 2, v[1:2]
	v_add_co_u32 v6, vcc_lo, s0, v6
	v_add_co_ci_u32_e64 v7, null, s1, v7, vcc_lo
	s_waitcnt lgkmcnt(0)
	s_sub_i32 s7, s12, s3
	s_sub_i32 s13, s13, s3
	v_add_nc_u32_e32 v0, s7, v4
	s_sub_i32 s8, s13, s7
	s_mul_i32 s6, s7, 36
	s_mul_i32 s8, s8, 6
	v_mul_lo_u32 v3, s8, v5
	s_add_i32 s8, s8, s2
	v_cmp_gt_i32_e32 vcc_lo, s13, v0
	v_add3_u32 v1, s8, s6, v3
	global_store_dword v[6:7], v1, off
	s_and_b32 exec_lo, exec_lo, vcc_lo
	s_cbranch_execz .LBB5_6
; %bb.4:
	s_clause 0x4
	s_load_dwordx2 s[6:7], s[4:5], 0x20
	s_load_dwordx2 s[8:9], s[4:5], 0x30
	s_load_dword s0, s[4:5], 0x0
	s_load_dwordx2 s[10:11], s[4:5], 0x10
	s_load_dwordx2 s[4:5], s[4:5], 0x40
	v_mul_u32_u24_e32 v1, 6, v4
	s_mul_i32 s1, s12, 36
	s_mov_b32 s12, 0
	v_add3_u32 v1, v3, s1, v1
	v_mad_u64_u32 v[3:4], null, v0, 36, v[5:6]
	s_mul_i32 s1, s3, 36
	v_mul_u32_u24_e32 v6, 5, v5
	v_subrev_nc_u32_e32 v4, s1, v1
	s_waitcnt lgkmcnt(0)
	s_cmp_eq_u32 s0, 0
	s_cselect_b32 vcc_lo, -1, 0
.LBB5_5:                                ; =>This Inner Loop Header: Depth=1
	v_ashrrev_i32_e32 v1, 31, v0
	v_add_nc_u32_e32 v5, v6, v3
	v_add_nc_u32_e32 v11, 6, v3
	;; [unrolled: 1-line block ×4, first 2 shown]
	v_lshlrev_b64 v[7:8], 2, v[0:1]
	v_cndmask_b32_e32 v1, v3, v5, vcc_lo
	v_add_nc_u32_e32 v12, 1, v5
	v_add_nc_u32_e32 v14, 2, v5
	;; [unrolled: 1-line block ×4, first 2 shown]
	v_lshlrev_b64 v[9:10], 2, v[1:2]
	v_cndmask_b32_e32 v1, v11, v12, vcc_lo
	v_add_co_u32 v7, s0, s6, v7
	v_add_co_ci_u32_e64 v8, null, s7, v8, s0
	v_lshlrev_b64 v[11:12], 2, v[1:2]
	v_cndmask_b32_e32 v1, v13, v14, vcc_lo
	v_add_co_u32 v9, s0, s10, v9
	v_add_nc_u32_e32 v19, 4, v5
	v_add_co_ci_u32_e64 v10, null, s11, v10, s0
	v_lshlrev_b64 v[13:14], 2, v[1:2]
	v_cndmask_b32_e32 v1, v15, v18, vcc_lo
	v_add_nc_u32_e32 v17, 30, v3
	v_add_nc_u32_e32 v5, 5, v5
	global_load_dword v20, v[7:8], off
	global_load_dword v7, v[9:10], off
	v_add_co_u32 v8, s0, s10, v11
	v_lshlrev_b64 v[10:11], 2, v[1:2]
	v_cndmask_b32_e32 v1, v16, v19, vcc_lo
	v_add_co_ci_u32_e64 v9, null, s11, v12, s0
	v_add_co_u32 v12, s0, s10, v13
	v_add_co_ci_u32_e64 v13, null, s11, v14, s0
	v_lshlrev_b64 v[14:15], 2, v[1:2]
	v_cndmask_b32_e32 v1, v17, v5, vcc_lo
	v_add_co_u32 v10, s0, s10, v10
	v_add_co_ci_u32_e64 v11, null, s11, v11, s0
	v_lshlrev_b64 v[16:17], 2, v[1:2]
	v_add_co_u32 v14, s0, s10, v14
	v_add_co_ci_u32_e64 v15, null, s11, v15, s0
	v_ashrrev_i32_e32 v5, 31, v4
	v_add_co_u32 v16, s0, s10, v16
	v_add_co_ci_u32_e64 v17, null, s11, v17, s0
	s_clause 0x4
	global_load_dword v8, v[8:9], off
	global_load_dword v9, v[12:13], off
	;; [unrolled: 1-line block ×5, first 2 shown]
	v_lshlrev_b64 v[12:13], 2, v[4:5]
	v_add_nc_u32_e32 v0, 32, v0
	v_add_nc_u32_e32 v3, 0x480, v3
	;; [unrolled: 1-line block ×3, first 2 shown]
	v_add_co_u32 v17, s1, s4, v12
	v_add_co_ci_u32_e64 v18, null, s5, v13, s1
	v_add_co_u32 v19, s1, s8, v12
	v_cmp_le_i32_e64 s0, s13, v0
	s_or_b32 s12, s0, s12
	s_waitcnt vmcnt(6)
	v_subrev_nc_u32_e32 v1, s3, v20
	v_add_co_ci_u32_e64 v20, null, s9, v13, s1
	v_mad_u64_u32 v[11:12], null, v1, 6, s[2:3]
	v_add_nc_u32_e32 v12, 1, v11
	v_add_nc_u32_e32 v13, 2, v11
	v_add_nc_u32_e32 v14, 3, v11
	v_add_nc_u32_e32 v21, 4, v11
	v_add_nc_u32_e32 v22, 5, v11
	global_store_dwordx4 v[17:18], v[11:14], off
	global_store_dwordx2 v[17:18], v[21:22], off offset:16
	s_waitcnt vmcnt(2)
	global_store_dwordx4 v[19:20], v[7:10], off
	s_waitcnt vmcnt(0)
	global_store_dwordx2 v[19:20], v[15:16], off offset:16
	s_andn2_b32 exec_lo, exec_lo, s12
	s_cbranch_execnz .LBB5_5
.LBB5_6:
	s_endpgm
	.section	.rodata,"a",@progbits
	.p2align	6, 0x0
	.amdhsa_kernel _ZN9rocsparseL32bsr2csr_block_per_row_2_7_kernelILj256ELj6EiiiEEv20rocsparse_direction_T3_S2_21rocsparse_index_base_PKT1_PKT2_PKS2_S2_S3_PS4_PS7_PS2_
		.amdhsa_group_segment_fixed_size 0
		.amdhsa_private_segment_fixed_size 0
		.amdhsa_kernarg_size 72
		.amdhsa_user_sgpr_count 6
		.amdhsa_user_sgpr_private_segment_buffer 1
		.amdhsa_user_sgpr_dispatch_ptr 0
		.amdhsa_user_sgpr_queue_ptr 0
		.amdhsa_user_sgpr_kernarg_segment_ptr 1
		.amdhsa_user_sgpr_dispatch_id 0
		.amdhsa_user_sgpr_flat_scratch_init 0
		.amdhsa_user_sgpr_private_segment_size 0
		.amdhsa_wavefront_size32 1
		.amdhsa_uses_dynamic_stack 0
		.amdhsa_system_sgpr_private_segment_wavefront_offset 0
		.amdhsa_system_sgpr_workgroup_id_x 1
		.amdhsa_system_sgpr_workgroup_id_y 0
		.amdhsa_system_sgpr_workgroup_id_z 0
		.amdhsa_system_sgpr_workgroup_info 0
		.amdhsa_system_vgpr_workitem_id 0
		.amdhsa_next_free_vgpr 23
		.amdhsa_next_free_sgpr 14
		.amdhsa_reserve_vcc 1
		.amdhsa_reserve_flat_scratch 0
		.amdhsa_float_round_mode_32 0
		.amdhsa_float_round_mode_16_64 0
		.amdhsa_float_denorm_mode_32 3
		.amdhsa_float_denorm_mode_16_64 3
		.amdhsa_dx10_clamp 1
		.amdhsa_ieee_mode 1
		.amdhsa_fp16_overflow 0
		.amdhsa_workgroup_processor_mode 1
		.amdhsa_memory_ordered 1
		.amdhsa_forward_progress 1
		.amdhsa_shared_vgpr_count 0
		.amdhsa_exception_fp_ieee_invalid_op 0
		.amdhsa_exception_fp_denorm_src 0
		.amdhsa_exception_fp_ieee_div_zero 0
		.amdhsa_exception_fp_ieee_overflow 0
		.amdhsa_exception_fp_ieee_underflow 0
		.amdhsa_exception_fp_ieee_inexact 0
		.amdhsa_exception_int_div_zero 0
	.end_amdhsa_kernel
	.section	.text._ZN9rocsparseL32bsr2csr_block_per_row_2_7_kernelILj256ELj6EiiiEEv20rocsparse_direction_T3_S2_21rocsparse_index_base_PKT1_PKT2_PKS2_S2_S3_PS4_PS7_PS2_,"axG",@progbits,_ZN9rocsparseL32bsr2csr_block_per_row_2_7_kernelILj256ELj6EiiiEEv20rocsparse_direction_T3_S2_21rocsparse_index_base_PKT1_PKT2_PKS2_S2_S3_PS4_PS7_PS2_,comdat
.Lfunc_end5:
	.size	_ZN9rocsparseL32bsr2csr_block_per_row_2_7_kernelILj256ELj6EiiiEEv20rocsparse_direction_T3_S2_21rocsparse_index_base_PKT1_PKT2_PKS2_S2_S3_PS4_PS7_PS2_, .Lfunc_end5-_ZN9rocsparseL32bsr2csr_block_per_row_2_7_kernelILj256ELj6EiiiEEv20rocsparse_direction_T3_S2_21rocsparse_index_base_PKT1_PKT2_PKS2_S2_S3_PS4_PS7_PS2_
                                        ; -- End function
	.set _ZN9rocsparseL32bsr2csr_block_per_row_2_7_kernelILj256ELj6EiiiEEv20rocsparse_direction_T3_S2_21rocsparse_index_base_PKT1_PKT2_PKS2_S2_S3_PS4_PS7_PS2_.num_vgpr, 23
	.set _ZN9rocsparseL32bsr2csr_block_per_row_2_7_kernelILj256ELj6EiiiEEv20rocsparse_direction_T3_S2_21rocsparse_index_base_PKT1_PKT2_PKS2_S2_S3_PS4_PS7_PS2_.num_agpr, 0
	.set _ZN9rocsparseL32bsr2csr_block_per_row_2_7_kernelILj256ELj6EiiiEEv20rocsparse_direction_T3_S2_21rocsparse_index_base_PKT1_PKT2_PKS2_S2_S3_PS4_PS7_PS2_.numbered_sgpr, 14
	.set _ZN9rocsparseL32bsr2csr_block_per_row_2_7_kernelILj256ELj6EiiiEEv20rocsparse_direction_T3_S2_21rocsparse_index_base_PKT1_PKT2_PKS2_S2_S3_PS4_PS7_PS2_.num_named_barrier, 0
	.set _ZN9rocsparseL32bsr2csr_block_per_row_2_7_kernelILj256ELj6EiiiEEv20rocsparse_direction_T3_S2_21rocsparse_index_base_PKT1_PKT2_PKS2_S2_S3_PS4_PS7_PS2_.private_seg_size, 0
	.set _ZN9rocsparseL32bsr2csr_block_per_row_2_7_kernelILj256ELj6EiiiEEv20rocsparse_direction_T3_S2_21rocsparse_index_base_PKT1_PKT2_PKS2_S2_S3_PS4_PS7_PS2_.uses_vcc, 1
	.set _ZN9rocsparseL32bsr2csr_block_per_row_2_7_kernelILj256ELj6EiiiEEv20rocsparse_direction_T3_S2_21rocsparse_index_base_PKT1_PKT2_PKS2_S2_S3_PS4_PS7_PS2_.uses_flat_scratch, 0
	.set _ZN9rocsparseL32bsr2csr_block_per_row_2_7_kernelILj256ELj6EiiiEEv20rocsparse_direction_T3_S2_21rocsparse_index_base_PKT1_PKT2_PKS2_S2_S3_PS4_PS7_PS2_.has_dyn_sized_stack, 0
	.set _ZN9rocsparseL32bsr2csr_block_per_row_2_7_kernelILj256ELj6EiiiEEv20rocsparse_direction_T3_S2_21rocsparse_index_base_PKT1_PKT2_PKS2_S2_S3_PS4_PS7_PS2_.has_recursion, 0
	.set _ZN9rocsparseL32bsr2csr_block_per_row_2_7_kernelILj256ELj6EiiiEEv20rocsparse_direction_T3_S2_21rocsparse_index_base_PKT1_PKT2_PKS2_S2_S3_PS4_PS7_PS2_.has_indirect_call, 0
	.section	.AMDGPU.csdata,"",@progbits
; Kernel info:
; codeLenInByte = 788
; TotalNumSgprs: 16
; NumVgprs: 23
; ScratchSize: 0
; MemoryBound: 0
; FloatMode: 240
; IeeeMode: 1
; LDSByteSize: 0 bytes/workgroup (compile time only)
; SGPRBlocks: 0
; VGPRBlocks: 2
; NumSGPRsForWavesPerEU: 16
; NumVGPRsForWavesPerEU: 23
; Occupancy: 16
; WaveLimiterHint : 0
; COMPUTE_PGM_RSRC2:SCRATCH_EN: 0
; COMPUTE_PGM_RSRC2:USER_SGPR: 6
; COMPUTE_PGM_RSRC2:TRAP_HANDLER: 0
; COMPUTE_PGM_RSRC2:TGID_X_EN: 1
; COMPUTE_PGM_RSRC2:TGID_Y_EN: 0
; COMPUTE_PGM_RSRC2:TGID_Z_EN: 0
; COMPUTE_PGM_RSRC2:TIDIG_COMP_CNT: 0
	.section	.text._ZN9rocsparseL32bsr2csr_block_per_row_2_7_kernelILj256ELj7EiiiEEv20rocsparse_direction_T3_S2_21rocsparse_index_base_PKT1_PKT2_PKS2_S2_S3_PS4_PS7_PS2_,"axG",@progbits,_ZN9rocsparseL32bsr2csr_block_per_row_2_7_kernelILj256ELj7EiiiEEv20rocsparse_direction_T3_S2_21rocsparse_index_base_PKT1_PKT2_PKS2_S2_S3_PS4_PS7_PS2_,comdat
	.globl	_ZN9rocsparseL32bsr2csr_block_per_row_2_7_kernelILj256ELj7EiiiEEv20rocsparse_direction_T3_S2_21rocsparse_index_base_PKT1_PKT2_PKS2_S2_S3_PS4_PS7_PS2_ ; -- Begin function _ZN9rocsparseL32bsr2csr_block_per_row_2_7_kernelILj256ELj7EiiiEEv20rocsparse_direction_T3_S2_21rocsparse_index_base_PKT1_PKT2_PKS2_S2_S3_PS4_PS7_PS2_
	.p2align	8
	.type	_ZN9rocsparseL32bsr2csr_block_per_row_2_7_kernelILj256ELj7EiiiEEv20rocsparse_direction_T3_S2_21rocsparse_index_base_PKT1_PKT2_PKS2_S2_S3_PS4_PS7_PS2_,@function
_ZN9rocsparseL32bsr2csr_block_per_row_2_7_kernelILj256ELj7EiiiEEv20rocsparse_direction_T3_S2_21rocsparse_index_base_PKT1_PKT2_PKS2_S2_S3_PS4_PS7_PS2_: ; @_ZN9rocsparseL32bsr2csr_block_per_row_2_7_kernelILj256ELj7EiiiEEv20rocsparse_direction_T3_S2_21rocsparse_index_base_PKT1_PKT2_PKS2_S2_S3_PS4_PS7_PS2_
; %bb.0:
	s_clause 0x2
	s_load_dwordx2 s[8:9], s[4:5], 0x18
	s_load_dword s2, s[4:5], 0x2c
	s_load_dwordx2 s[0:1], s[4:5], 0x38
	s_ashr_i32 s7, s6, 31
	v_or_b32_e32 v1, s6, v0
	s_lshl_b64 s[10:11], s[6:7], 2
	s_mov_b32 s3, exec_lo
	s_waitcnt lgkmcnt(0)
	s_add_u32 s8, s8, s10
	s_addc_u32 s9, s9, s11
	v_cmpx_eq_u32_e32 0, v1
	s_cbranch_execz .LBB6_2
; %bb.1:
	v_mov_b32_e32 v1, 0
	v_mov_b32_e32 v2, s2
	global_store_dword v1, v2, s[0:1]
.LBB6_2:
	s_or_b32 exec_lo, exec_lo, s3
	v_and_b32_e32 v5, 7, v0
	s_mov_b32 s3, exec_lo
	v_cmpx_ne_u32_e32 7, v5
	s_cbranch_execz .LBB6_6
; %bb.3:
	s_load_dwordx2 s[12:13], s[8:9], 0x0
	s_load_dword s3, s[4:5], 0xc
	s_mul_i32 s6, s6, 7
	v_mov_b32_e32 v2, 0
	v_add3_u32 v1, v5, s6, 1
	v_lshrrev_b32_e32 v4, 3, v0
	v_lshlrev_b64 v[6:7], 2, v[1:2]
	v_add_co_u32 v6, vcc_lo, s0, v6
	v_add_co_ci_u32_e64 v7, null, s1, v7, vcc_lo
	s_waitcnt lgkmcnt(0)
	s_sub_i32 s7, s12, s3
	s_sub_i32 s13, s13, s3
	v_add_nc_u32_e32 v0, s7, v4
	s_sub_i32 s8, s13, s7
	s_mul_i32 s6, s7, 49
	s_mul_i32 s8, s8, 7
	v_mul_lo_u32 v3, s8, v5
	s_add_i32 s8, s8, s2
	v_cmp_gt_i32_e32 vcc_lo, s13, v0
	v_add3_u32 v1, s8, s6, v3
	global_store_dword v[6:7], v1, off
	s_and_b32 exec_lo, exec_lo, vcc_lo
	s_cbranch_execz .LBB6_6
; %bb.4:
	s_clause 0x4
	s_load_dwordx2 s[6:7], s[4:5], 0x20
	s_load_dwordx2 s[8:9], s[4:5], 0x30
	s_load_dword s0, s[4:5], 0x0
	s_load_dwordx2 s[10:11], s[4:5], 0x10
	s_load_dwordx2 s[4:5], s[4:5], 0x40
	v_mul_u32_u24_e32 v1, 7, v4
	s_mul_i32 s1, s12, 49
	s_mov_b32 s12, 0
	v_add3_u32 v1, v3, s1, v1
	v_mad_u64_u32 v[3:4], null, v0, 49, v[5:6]
	s_mul_i32 s1, s3, 49
	v_mul_u32_u24_e32 v6, 6, v5
	v_subrev_nc_u32_e32 v4, s1, v1
	s_waitcnt lgkmcnt(0)
	s_cmp_eq_u32 s0, 0
	s_cselect_b32 vcc_lo, -1, 0
.LBB6_5:                                ; =>This Inner Loop Header: Depth=1
	v_ashrrev_i32_e32 v1, 31, v0
	v_add_nc_u32_e32 v5, v6, v3
	v_add_nc_u32_e32 v11, 7, v3
	;; [unrolled: 1-line block ×4, first 2 shown]
	v_lshlrev_b64 v[7:8], 2, v[0:1]
	v_cndmask_b32_e32 v1, v3, v5, vcc_lo
	v_add_nc_u32_e32 v12, 1, v5
	v_add_nc_u32_e32 v18, 2, v5
	;; [unrolled: 1-line block ×4, first 2 shown]
	v_lshlrev_b64 v[9:10], 2, v[1:2]
	v_cndmask_b32_e32 v1, v11, v12, vcc_lo
	v_add_co_u32 v7, s0, s6, v7
	v_add_co_ci_u32_e64 v8, null, s7, v8, s0
	v_lshlrev_b64 v[11:12], 2, v[1:2]
	v_cndmask_b32_e32 v1, v13, v18, vcc_lo
	v_add_nc_u32_e32 v20, 4, v5
	global_load_dword v25, v[7:8], off
	v_add_co_u32 v7, s0, s10, v9
	v_add_co_ci_u32_e64 v8, null, s11, v10, s0
	v_lshlrev_b64 v[9:10], 2, v[1:2]
	v_cndmask_b32_e32 v1, v14, v19, vcc_lo
	v_add_co_u32 v11, s0, s10, v11
	v_add_nc_u32_e32 v16, 35, v3
	v_add_nc_u32_e32 v21, 5, v5
	v_add_co_ci_u32_e64 v12, null, s11, v12, s0
	v_lshlrev_b64 v[13:14], 2, v[1:2]
	v_cndmask_b32_e32 v1, v15, v20, vcc_lo
	v_add_nc_u32_e32 v17, 42, v3
	v_add_nc_u32_e32 v5, 6, v5
	s_clause 0x1
	global_load_dword v7, v[7:8], off
	global_load_dword v8, v[11:12], off
	v_lshlrev_b64 v[11:12], 2, v[1:2]
	v_cndmask_b32_e32 v1, v16, v21, vcc_lo
	v_add_co_u32 v9, s0, s10, v9
	v_add_co_ci_u32_e64 v10, null, s11, v10, s0
	v_lshlrev_b64 v[15:16], 2, v[1:2]
	v_cndmask_b32_e32 v1, v17, v5, vcc_lo
	v_add_co_u32 v13, s0, s10, v13
	v_add_co_ci_u32_e64 v14, null, s11, v14, s0
	v_lshlrev_b64 v[17:18], 2, v[1:2]
	v_add_co_u32 v11, s0, s10, v11
	v_add_co_ci_u32_e64 v12, null, s11, v12, s0
	v_add_co_u32 v19, s0, s10, v15
	v_add_co_ci_u32_e64 v20, null, s11, v16, s0
	;; [unrolled: 2-line block ×3, first 2 shown]
	s_clause 0x4
	global_load_dword v9, v[9:10], off
	global_load_dword v10, v[13:14], off
	;; [unrolled: 1-line block ×5, first 2 shown]
	v_ashrrev_i32_e32 v5, 31, v4
	v_add_nc_u32_e32 v0, 32, v0
	v_add_nc_u32_e32 v3, 0x620, v3
	v_lshlrev_b64 v[11:12], 2, v[4:5]
	v_cmp_le_i32_e64 s0, s13, v0
	v_add_nc_u32_e32 v4, 0xe0, v4
	v_add_co_u32 v21, s1, s4, v11
	v_add_co_ci_u32_e64 v22, null, s5, v12, s1
	v_add_co_u32 v23, s1, s8, v11
	v_add_co_ci_u32_e64 v24, null, s9, v12, s1
	s_or_b32 s12, s0, s12
	s_waitcnt vmcnt(7)
	v_subrev_nc_u32_e32 v1, s3, v25
	v_mad_u64_u32 v[11:12], null, v1, 7, s[2:3]
	v_add_nc_u32_e32 v12, 1, v11
	v_add_nc_u32_e32 v13, 2, v11
	;; [unrolled: 1-line block ×6, first 2 shown]
	global_store_dwordx4 v[21:22], v[11:14], off
	global_store_dwordx3 v[21:22], v[18:20], off offset:16
	s_waitcnt vmcnt(3)
	global_store_dwordx4 v[23:24], v[7:10], off
	s_waitcnt vmcnt(0)
	global_store_dwordx3 v[23:24], v[15:17], off offset:16
	s_andn2_b32 exec_lo, exec_lo, s12
	s_cbranch_execnz .LBB6_5
.LBB6_6:
	s_endpgm
	.section	.rodata,"a",@progbits
	.p2align	6, 0x0
	.amdhsa_kernel _ZN9rocsparseL32bsr2csr_block_per_row_2_7_kernelILj256ELj7EiiiEEv20rocsparse_direction_T3_S2_21rocsparse_index_base_PKT1_PKT2_PKS2_S2_S3_PS4_PS7_PS2_
		.amdhsa_group_segment_fixed_size 0
		.amdhsa_private_segment_fixed_size 0
		.amdhsa_kernarg_size 72
		.amdhsa_user_sgpr_count 6
		.amdhsa_user_sgpr_private_segment_buffer 1
		.amdhsa_user_sgpr_dispatch_ptr 0
		.amdhsa_user_sgpr_queue_ptr 0
		.amdhsa_user_sgpr_kernarg_segment_ptr 1
		.amdhsa_user_sgpr_dispatch_id 0
		.amdhsa_user_sgpr_flat_scratch_init 0
		.amdhsa_user_sgpr_private_segment_size 0
		.amdhsa_wavefront_size32 1
		.amdhsa_uses_dynamic_stack 0
		.amdhsa_system_sgpr_private_segment_wavefront_offset 0
		.amdhsa_system_sgpr_workgroup_id_x 1
		.amdhsa_system_sgpr_workgroup_id_y 0
		.amdhsa_system_sgpr_workgroup_id_z 0
		.amdhsa_system_sgpr_workgroup_info 0
		.amdhsa_system_vgpr_workitem_id 0
		.amdhsa_next_free_vgpr 26
		.amdhsa_next_free_sgpr 14
		.amdhsa_reserve_vcc 1
		.amdhsa_reserve_flat_scratch 0
		.amdhsa_float_round_mode_32 0
		.amdhsa_float_round_mode_16_64 0
		.amdhsa_float_denorm_mode_32 3
		.amdhsa_float_denorm_mode_16_64 3
		.amdhsa_dx10_clamp 1
		.amdhsa_ieee_mode 1
		.amdhsa_fp16_overflow 0
		.amdhsa_workgroup_processor_mode 1
		.amdhsa_memory_ordered 1
		.amdhsa_forward_progress 1
		.amdhsa_shared_vgpr_count 0
		.amdhsa_exception_fp_ieee_invalid_op 0
		.amdhsa_exception_fp_denorm_src 0
		.amdhsa_exception_fp_ieee_div_zero 0
		.amdhsa_exception_fp_ieee_overflow 0
		.amdhsa_exception_fp_ieee_underflow 0
		.amdhsa_exception_fp_ieee_inexact 0
		.amdhsa_exception_int_div_zero 0
	.end_amdhsa_kernel
	.section	.text._ZN9rocsparseL32bsr2csr_block_per_row_2_7_kernelILj256ELj7EiiiEEv20rocsparse_direction_T3_S2_21rocsparse_index_base_PKT1_PKT2_PKS2_S2_S3_PS4_PS7_PS2_,"axG",@progbits,_ZN9rocsparseL32bsr2csr_block_per_row_2_7_kernelILj256ELj7EiiiEEv20rocsparse_direction_T3_S2_21rocsparse_index_base_PKT1_PKT2_PKS2_S2_S3_PS4_PS7_PS2_,comdat
.Lfunc_end6:
	.size	_ZN9rocsparseL32bsr2csr_block_per_row_2_7_kernelILj256ELj7EiiiEEv20rocsparse_direction_T3_S2_21rocsparse_index_base_PKT1_PKT2_PKS2_S2_S3_PS4_PS7_PS2_, .Lfunc_end6-_ZN9rocsparseL32bsr2csr_block_per_row_2_7_kernelILj256ELj7EiiiEEv20rocsparse_direction_T3_S2_21rocsparse_index_base_PKT1_PKT2_PKS2_S2_S3_PS4_PS7_PS2_
                                        ; -- End function
	.set _ZN9rocsparseL32bsr2csr_block_per_row_2_7_kernelILj256ELj7EiiiEEv20rocsparse_direction_T3_S2_21rocsparse_index_base_PKT1_PKT2_PKS2_S2_S3_PS4_PS7_PS2_.num_vgpr, 26
	.set _ZN9rocsparseL32bsr2csr_block_per_row_2_7_kernelILj256ELj7EiiiEEv20rocsparse_direction_T3_S2_21rocsparse_index_base_PKT1_PKT2_PKS2_S2_S3_PS4_PS7_PS2_.num_agpr, 0
	.set _ZN9rocsparseL32bsr2csr_block_per_row_2_7_kernelILj256ELj7EiiiEEv20rocsparse_direction_T3_S2_21rocsparse_index_base_PKT1_PKT2_PKS2_S2_S3_PS4_PS7_PS2_.numbered_sgpr, 14
	.set _ZN9rocsparseL32bsr2csr_block_per_row_2_7_kernelILj256ELj7EiiiEEv20rocsparse_direction_T3_S2_21rocsparse_index_base_PKT1_PKT2_PKS2_S2_S3_PS4_PS7_PS2_.num_named_barrier, 0
	.set _ZN9rocsparseL32bsr2csr_block_per_row_2_7_kernelILj256ELj7EiiiEEv20rocsparse_direction_T3_S2_21rocsparse_index_base_PKT1_PKT2_PKS2_S2_S3_PS4_PS7_PS2_.private_seg_size, 0
	.set _ZN9rocsparseL32bsr2csr_block_per_row_2_7_kernelILj256ELj7EiiiEEv20rocsparse_direction_T3_S2_21rocsparse_index_base_PKT1_PKT2_PKS2_S2_S3_PS4_PS7_PS2_.uses_vcc, 1
	.set _ZN9rocsparseL32bsr2csr_block_per_row_2_7_kernelILj256ELj7EiiiEEv20rocsparse_direction_T3_S2_21rocsparse_index_base_PKT1_PKT2_PKS2_S2_S3_PS4_PS7_PS2_.uses_flat_scratch, 0
	.set _ZN9rocsparseL32bsr2csr_block_per_row_2_7_kernelILj256ELj7EiiiEEv20rocsparse_direction_T3_S2_21rocsparse_index_base_PKT1_PKT2_PKS2_S2_S3_PS4_PS7_PS2_.has_dyn_sized_stack, 0
	.set _ZN9rocsparseL32bsr2csr_block_per_row_2_7_kernelILj256ELj7EiiiEEv20rocsparse_direction_T3_S2_21rocsparse_index_base_PKT1_PKT2_PKS2_S2_S3_PS4_PS7_PS2_.has_recursion, 0
	.set _ZN9rocsparseL32bsr2csr_block_per_row_2_7_kernelILj256ELj7EiiiEEv20rocsparse_direction_T3_S2_21rocsparse_index_base_PKT1_PKT2_PKS2_S2_S3_PS4_PS7_PS2_.has_indirect_call, 0
	.section	.AMDGPU.csdata,"",@progbits
; Kernel info:
; codeLenInByte = 840
; TotalNumSgprs: 16
; NumVgprs: 26
; ScratchSize: 0
; MemoryBound: 0
; FloatMode: 240
; IeeeMode: 1
; LDSByteSize: 0 bytes/workgroup (compile time only)
; SGPRBlocks: 0
; VGPRBlocks: 3
; NumSGPRsForWavesPerEU: 16
; NumVGPRsForWavesPerEU: 26
; Occupancy: 16
; WaveLimiterHint : 0
; COMPUTE_PGM_RSRC2:SCRATCH_EN: 0
; COMPUTE_PGM_RSRC2:USER_SGPR: 6
; COMPUTE_PGM_RSRC2:TRAP_HANDLER: 0
; COMPUTE_PGM_RSRC2:TGID_X_EN: 1
; COMPUTE_PGM_RSRC2:TGID_Y_EN: 0
; COMPUTE_PGM_RSRC2:TGID_Z_EN: 0
; COMPUTE_PGM_RSRC2:TIDIG_COMP_CNT: 0
	.section	.text._ZN9rocsparseL33bsr2csr_block_per_row_8_32_kernelILj1024ELj8EiiiEEv20rocsparse_direction_T3_S2_21rocsparse_index_base_PKT1_PKT2_PKS2_S2_S3_PS4_PS7_PS2_,"axG",@progbits,_ZN9rocsparseL33bsr2csr_block_per_row_8_32_kernelILj1024ELj8EiiiEEv20rocsparse_direction_T3_S2_21rocsparse_index_base_PKT1_PKT2_PKS2_S2_S3_PS4_PS7_PS2_,comdat
	.globl	_ZN9rocsparseL33bsr2csr_block_per_row_8_32_kernelILj1024ELj8EiiiEEv20rocsparse_direction_T3_S2_21rocsparse_index_base_PKT1_PKT2_PKS2_S2_S3_PS4_PS7_PS2_ ; -- Begin function _ZN9rocsparseL33bsr2csr_block_per_row_8_32_kernelILj1024ELj8EiiiEEv20rocsparse_direction_T3_S2_21rocsparse_index_base_PKT1_PKT2_PKS2_S2_S3_PS4_PS7_PS2_
	.p2align	8
	.type	_ZN9rocsparseL33bsr2csr_block_per_row_8_32_kernelILj1024ELj8EiiiEEv20rocsparse_direction_T3_S2_21rocsparse_index_base_PKT1_PKT2_PKS2_S2_S3_PS4_PS7_PS2_,@function
_ZN9rocsparseL33bsr2csr_block_per_row_8_32_kernelILj1024ELj8EiiiEEv20rocsparse_direction_T3_S2_21rocsparse_index_base_PKT1_PKT2_PKS2_S2_S3_PS4_PS7_PS2_: ; @_ZN9rocsparseL33bsr2csr_block_per_row_8_32_kernelILj1024ELj8EiiiEEv20rocsparse_direction_T3_S2_21rocsparse_index_base_PKT1_PKT2_PKS2_S2_S3_PS4_PS7_PS2_
; %bb.0:
	s_clause 0x2
	s_load_dwordx2 s[8:9], s[4:5], 0x18
	s_load_dwordx2 s[2:3], s[4:5], 0x28
	;; [unrolled: 1-line block ×3, first 2 shown]
	s_ashr_i32 s7, s6, 31
	v_or_b32_e32 v1, s6, v0
	s_lshl_b64 s[10:11], s[6:7], 2
	s_mov_b32 s7, exec_lo
	s_waitcnt lgkmcnt(0)
	s_add_u32 s8, s8, s10
	s_addc_u32 s9, s9, s11
	v_cmpx_eq_u32_e32 0, v1
	s_cbranch_execz .LBB7_2
; %bb.1:
	v_mov_b32_e32 v1, 0
	v_mov_b32_e32 v2, s3
	global_store_dword v1, v2, s[0:1]
.LBB7_2:
	s_or_b32 exec_lo, exec_lo, s7
	v_and_b32_e32 v1, 7, v0
	v_bfe_u32 v2, v0, 3, 3
	s_mov_b32 s7, exec_lo
	v_max_i32_e32 v3, v2, v1
	v_cmpx_gt_i32_e64 s2, v3
	s_cbranch_execz .LBB7_6
; %bb.3:
	s_load_dwordx2 s[8:9], s[8:9], 0x0
	s_load_dword s12, s[4:5], 0xc
	v_mad_u64_u32 v[4:5], null, s2, s6, v[2:3]
	v_lshrrev_b32_e32 v3, 6, v0
	s_mul_i32 s14, s2, s2
	v_ashrrev_i32_e32 v5, 31, v4
	v_lshlrev_b64 v[4:5], 2, v[4:5]
	v_add_co_u32 v4, vcc_lo, s0, v4
	s_waitcnt lgkmcnt(0)
	s_sub_i32 s15, s8, s12
	s_sub_i32 s13, s9, s12
	v_add_nc_u32_e32 v0, s15, v3
	s_sub_i32 s16, s13, s15
	s_mul_i32 s7, s15, s14
	s_mul_i32 s6, s16, s2
	v_add_co_ci_u32_e64 v5, null, s1, v5, vcc_lo
	v_mul_lo_u32 v6, s6, v2
	s_add_i32 s6, s6, s3
	v_cmp_gt_i32_e32 vcc_lo, s13, v0
	v_add3_u32 v6, s6, s7, v6
	global_store_dword v[4:5], v6, off offset:4
	s_and_b32 exec_lo, exec_lo, vcc_lo
	s_cbranch_execz .LBB7_6
; %bb.4:
	s_clause 0x2
	s_load_dwordx2 s[6:7], s[4:5], 0x20
	s_load_dwordx2 s[8:9], s[4:5], 0x30
	s_load_dword s0, s[4:5], 0x0
	v_mad_u64_u32 v[4:5], null, s2, v1, v[2:3]
	v_mad_u64_u32 v[5:6], null, s2, v2, v[1:2]
	v_mul_lo_u32 v6, s16, v2
	s_clause 0x1
	s_load_dwordx2 s[10:11], s[4:5], 0x10
	s_load_dwordx2 s[4:5], s[4:5], 0x40
	s_mov_b32 s1, 0
	s_waitcnt lgkmcnt(0)
	s_cmp_eq_u32 s0, 0
	s_mul_i32 s0, s2, s15
	s_cselect_b32 vcc_lo, -1, 0
	v_cndmask_b32_e32 v2, v4, v5, vcc_lo
	v_add3_u32 v4, v3, s0, v6
	v_add_nc_u32_e32 v6, s3, v1
	s_lshl_b32 s3, s14, 4
	v_mad_u64_u32 v[2:3], null, s14, v0, v[2:3]
	s_lshl_b32 s14, s2, 4
	v_mad_u64_u32 v[4:5], null, s2, v4, v[1:2]
	s_inst_prefetch 0x1
	.p2align	6
.LBB7_5:                                ; =>This Inner Loop Header: Depth=1
	v_ashrrev_i32_e32 v1, 31, v0
	v_ashrrev_i32_e32 v3, 31, v2
	;; [unrolled: 1-line block ×3, first 2 shown]
	v_lshlrev_b64 v[7:8], 2, v[0:1]
	v_add_nc_u32_e32 v0, 16, v0
	v_add_co_u32 v7, vcc_lo, s6, v7
	v_add_co_ci_u32_e64 v8, null, s7, v8, vcc_lo
	global_load_dword v1, v[7:8], off
	v_lshlrev_b64 v[7:8], 2, v[2:3]
	v_add_nc_u32_e32 v2, s3, v2
	v_add_co_u32 v7, vcc_lo, s10, v7
	v_add_co_ci_u32_e64 v8, null, s11, v8, vcc_lo
	v_cmp_le_i32_e32 vcc_lo, s13, v0
	global_load_dword v3, v[7:8], off
	v_lshlrev_b64 v[7:8], 2, v[4:5]
	v_add_nc_u32_e32 v4, s14, v4
	s_or_b32 s1, vcc_lo, s1
	v_add_co_u32 v9, s0, s4, v7
	v_add_co_ci_u32_e64 v10, null, s5, v8, s0
	s_waitcnt vmcnt(1)
	v_subrev_nc_u32_e32 v1, s12, v1
	v_mad_u64_u32 v[11:12], null, v1, s2, v[6:7]
	v_add_co_u32 v7, s0, s8, v7
	v_add_co_ci_u32_e64 v8, null, s9, v8, s0
	global_store_dword v[9:10], v11, off
	s_waitcnt vmcnt(0)
	global_store_dword v[7:8], v3, off
	s_andn2_b32 exec_lo, exec_lo, s1
	s_cbranch_execnz .LBB7_5
.LBB7_6:
	s_inst_prefetch 0x2
	s_endpgm
	.section	.rodata,"a",@progbits
	.p2align	6, 0x0
	.amdhsa_kernel _ZN9rocsparseL33bsr2csr_block_per_row_8_32_kernelILj1024ELj8EiiiEEv20rocsparse_direction_T3_S2_21rocsparse_index_base_PKT1_PKT2_PKS2_S2_S3_PS4_PS7_PS2_
		.amdhsa_group_segment_fixed_size 0
		.amdhsa_private_segment_fixed_size 0
		.amdhsa_kernarg_size 72
		.amdhsa_user_sgpr_count 6
		.amdhsa_user_sgpr_private_segment_buffer 1
		.amdhsa_user_sgpr_dispatch_ptr 0
		.amdhsa_user_sgpr_queue_ptr 0
		.amdhsa_user_sgpr_kernarg_segment_ptr 1
		.amdhsa_user_sgpr_dispatch_id 0
		.amdhsa_user_sgpr_flat_scratch_init 0
		.amdhsa_user_sgpr_private_segment_size 0
		.amdhsa_wavefront_size32 1
		.amdhsa_uses_dynamic_stack 0
		.amdhsa_system_sgpr_private_segment_wavefront_offset 0
		.amdhsa_system_sgpr_workgroup_id_x 1
		.amdhsa_system_sgpr_workgroup_id_y 0
		.amdhsa_system_sgpr_workgroup_id_z 0
		.amdhsa_system_sgpr_workgroup_info 0
		.amdhsa_system_vgpr_workitem_id 0
		.amdhsa_next_free_vgpr 13
		.amdhsa_next_free_sgpr 17
		.amdhsa_reserve_vcc 1
		.amdhsa_reserve_flat_scratch 0
		.amdhsa_float_round_mode_32 0
		.amdhsa_float_round_mode_16_64 0
		.amdhsa_float_denorm_mode_32 3
		.amdhsa_float_denorm_mode_16_64 3
		.amdhsa_dx10_clamp 1
		.amdhsa_ieee_mode 1
		.amdhsa_fp16_overflow 0
		.amdhsa_workgroup_processor_mode 1
		.amdhsa_memory_ordered 1
		.amdhsa_forward_progress 1
		.amdhsa_shared_vgpr_count 0
		.amdhsa_exception_fp_ieee_invalid_op 0
		.amdhsa_exception_fp_denorm_src 0
		.amdhsa_exception_fp_ieee_div_zero 0
		.amdhsa_exception_fp_ieee_overflow 0
		.amdhsa_exception_fp_ieee_underflow 0
		.amdhsa_exception_fp_ieee_inexact 0
		.amdhsa_exception_int_div_zero 0
	.end_amdhsa_kernel
	.section	.text._ZN9rocsparseL33bsr2csr_block_per_row_8_32_kernelILj1024ELj8EiiiEEv20rocsparse_direction_T3_S2_21rocsparse_index_base_PKT1_PKT2_PKS2_S2_S3_PS4_PS7_PS2_,"axG",@progbits,_ZN9rocsparseL33bsr2csr_block_per_row_8_32_kernelILj1024ELj8EiiiEEv20rocsparse_direction_T3_S2_21rocsparse_index_base_PKT1_PKT2_PKS2_S2_S3_PS4_PS7_PS2_,comdat
.Lfunc_end7:
	.size	_ZN9rocsparseL33bsr2csr_block_per_row_8_32_kernelILj1024ELj8EiiiEEv20rocsparse_direction_T3_S2_21rocsparse_index_base_PKT1_PKT2_PKS2_S2_S3_PS4_PS7_PS2_, .Lfunc_end7-_ZN9rocsparseL33bsr2csr_block_per_row_8_32_kernelILj1024ELj8EiiiEEv20rocsparse_direction_T3_S2_21rocsparse_index_base_PKT1_PKT2_PKS2_S2_S3_PS4_PS7_PS2_
                                        ; -- End function
	.set _ZN9rocsparseL33bsr2csr_block_per_row_8_32_kernelILj1024ELj8EiiiEEv20rocsparse_direction_T3_S2_21rocsparse_index_base_PKT1_PKT2_PKS2_S2_S3_PS4_PS7_PS2_.num_vgpr, 13
	.set _ZN9rocsparseL33bsr2csr_block_per_row_8_32_kernelILj1024ELj8EiiiEEv20rocsparse_direction_T3_S2_21rocsparse_index_base_PKT1_PKT2_PKS2_S2_S3_PS4_PS7_PS2_.num_agpr, 0
	.set _ZN9rocsparseL33bsr2csr_block_per_row_8_32_kernelILj1024ELj8EiiiEEv20rocsparse_direction_T3_S2_21rocsparse_index_base_PKT1_PKT2_PKS2_S2_S3_PS4_PS7_PS2_.numbered_sgpr, 17
	.set _ZN9rocsparseL33bsr2csr_block_per_row_8_32_kernelILj1024ELj8EiiiEEv20rocsparse_direction_T3_S2_21rocsparse_index_base_PKT1_PKT2_PKS2_S2_S3_PS4_PS7_PS2_.num_named_barrier, 0
	.set _ZN9rocsparseL33bsr2csr_block_per_row_8_32_kernelILj1024ELj8EiiiEEv20rocsparse_direction_T3_S2_21rocsparse_index_base_PKT1_PKT2_PKS2_S2_S3_PS4_PS7_PS2_.private_seg_size, 0
	.set _ZN9rocsparseL33bsr2csr_block_per_row_8_32_kernelILj1024ELj8EiiiEEv20rocsparse_direction_T3_S2_21rocsparse_index_base_PKT1_PKT2_PKS2_S2_S3_PS4_PS7_PS2_.uses_vcc, 1
	.set _ZN9rocsparseL33bsr2csr_block_per_row_8_32_kernelILj1024ELj8EiiiEEv20rocsparse_direction_T3_S2_21rocsparse_index_base_PKT1_PKT2_PKS2_S2_S3_PS4_PS7_PS2_.uses_flat_scratch, 0
	.set _ZN9rocsparseL33bsr2csr_block_per_row_8_32_kernelILj1024ELj8EiiiEEv20rocsparse_direction_T3_S2_21rocsparse_index_base_PKT1_PKT2_PKS2_S2_S3_PS4_PS7_PS2_.has_dyn_sized_stack, 0
	.set _ZN9rocsparseL33bsr2csr_block_per_row_8_32_kernelILj1024ELj8EiiiEEv20rocsparse_direction_T3_S2_21rocsparse_index_base_PKT1_PKT2_PKS2_S2_S3_PS4_PS7_PS2_.has_recursion, 0
	.set _ZN9rocsparseL33bsr2csr_block_per_row_8_32_kernelILj1024ELj8EiiiEEv20rocsparse_direction_T3_S2_21rocsparse_index_base_PKT1_PKT2_PKS2_S2_S3_PS4_PS7_PS2_.has_indirect_call, 0
	.section	.AMDGPU.csdata,"",@progbits
; Kernel info:
; codeLenInByte = 572
; TotalNumSgprs: 19
; NumVgprs: 13
; ScratchSize: 0
; MemoryBound: 0
; FloatMode: 240
; IeeeMode: 1
; LDSByteSize: 0 bytes/workgroup (compile time only)
; SGPRBlocks: 0
; VGPRBlocks: 1
; NumSGPRsForWavesPerEU: 19
; NumVGPRsForWavesPerEU: 13
; Occupancy: 16
; WaveLimiterHint : 0
; COMPUTE_PGM_RSRC2:SCRATCH_EN: 0
; COMPUTE_PGM_RSRC2:USER_SGPR: 6
; COMPUTE_PGM_RSRC2:TRAP_HANDLER: 0
; COMPUTE_PGM_RSRC2:TGID_X_EN: 1
; COMPUTE_PGM_RSRC2:TGID_Y_EN: 0
; COMPUTE_PGM_RSRC2:TGID_Z_EN: 0
; COMPUTE_PGM_RSRC2:TIDIG_COMP_CNT: 0
	.section	.text._ZN9rocsparseL33bsr2csr_block_per_row_8_32_kernelILj1024ELj16EiiiEEv20rocsparse_direction_T3_S2_21rocsparse_index_base_PKT1_PKT2_PKS2_S2_S3_PS4_PS7_PS2_,"axG",@progbits,_ZN9rocsparseL33bsr2csr_block_per_row_8_32_kernelILj1024ELj16EiiiEEv20rocsparse_direction_T3_S2_21rocsparse_index_base_PKT1_PKT2_PKS2_S2_S3_PS4_PS7_PS2_,comdat
	.globl	_ZN9rocsparseL33bsr2csr_block_per_row_8_32_kernelILj1024ELj16EiiiEEv20rocsparse_direction_T3_S2_21rocsparse_index_base_PKT1_PKT2_PKS2_S2_S3_PS4_PS7_PS2_ ; -- Begin function _ZN9rocsparseL33bsr2csr_block_per_row_8_32_kernelILj1024ELj16EiiiEEv20rocsparse_direction_T3_S2_21rocsparse_index_base_PKT1_PKT2_PKS2_S2_S3_PS4_PS7_PS2_
	.p2align	8
	.type	_ZN9rocsparseL33bsr2csr_block_per_row_8_32_kernelILj1024ELj16EiiiEEv20rocsparse_direction_T3_S2_21rocsparse_index_base_PKT1_PKT2_PKS2_S2_S3_PS4_PS7_PS2_,@function
_ZN9rocsparseL33bsr2csr_block_per_row_8_32_kernelILj1024ELj16EiiiEEv20rocsparse_direction_T3_S2_21rocsparse_index_base_PKT1_PKT2_PKS2_S2_S3_PS4_PS7_PS2_: ; @_ZN9rocsparseL33bsr2csr_block_per_row_8_32_kernelILj1024ELj16EiiiEEv20rocsparse_direction_T3_S2_21rocsparse_index_base_PKT1_PKT2_PKS2_S2_S3_PS4_PS7_PS2_
; %bb.0:
	s_clause 0x2
	s_load_dwordx2 s[8:9], s[4:5], 0x18
	s_load_dwordx2 s[2:3], s[4:5], 0x28
	;; [unrolled: 1-line block ×3, first 2 shown]
	s_ashr_i32 s7, s6, 31
	v_or_b32_e32 v1, s6, v0
	s_lshl_b64 s[10:11], s[6:7], 2
	s_mov_b32 s7, exec_lo
	s_waitcnt lgkmcnt(0)
	s_add_u32 s8, s8, s10
	s_addc_u32 s9, s9, s11
	v_cmpx_eq_u32_e32 0, v1
	s_cbranch_execz .LBB8_2
; %bb.1:
	v_mov_b32_e32 v1, 0
	v_mov_b32_e32 v2, s3
	global_store_dword v1, v2, s[0:1]
.LBB8_2:
	s_or_b32 exec_lo, exec_lo, s7
	v_and_b32_e32 v1, 15, v0
	v_bfe_u32 v2, v0, 4, 4
	s_mov_b32 s7, exec_lo
	v_max_i32_e32 v3, v2, v1
	v_cmpx_gt_i32_e64 s2, v3
	s_cbranch_execz .LBB8_6
; %bb.3:
	s_load_dwordx2 s[8:9], s[8:9], 0x0
	s_load_dword s12, s[4:5], 0xc
	v_mad_u64_u32 v[4:5], null, s2, s6, v[2:3]
	v_lshrrev_b32_e32 v3, 8, v0
	s_mul_i32 s14, s2, s2
	v_ashrrev_i32_e32 v5, 31, v4
	v_lshlrev_b64 v[4:5], 2, v[4:5]
	v_add_co_u32 v4, vcc_lo, s0, v4
	s_waitcnt lgkmcnt(0)
	s_sub_i32 s15, s8, s12
	s_sub_i32 s13, s9, s12
	v_add_nc_u32_e32 v0, s15, v3
	s_sub_i32 s16, s13, s15
	s_mul_i32 s7, s15, s14
	s_mul_i32 s6, s16, s2
	v_add_co_ci_u32_e64 v5, null, s1, v5, vcc_lo
	v_mul_lo_u32 v6, s6, v2
	s_add_i32 s6, s6, s3
	v_cmp_gt_i32_e32 vcc_lo, s13, v0
	v_add3_u32 v6, s6, s7, v6
	global_store_dword v[4:5], v6, off offset:4
	s_and_b32 exec_lo, exec_lo, vcc_lo
	s_cbranch_execz .LBB8_6
; %bb.4:
	s_clause 0x2
	s_load_dwordx2 s[6:7], s[4:5], 0x20
	s_load_dwordx2 s[8:9], s[4:5], 0x30
	s_load_dword s0, s[4:5], 0x0
	v_mad_u64_u32 v[4:5], null, s2, v1, v[2:3]
	v_mad_u64_u32 v[5:6], null, s2, v2, v[1:2]
	v_mul_lo_u32 v6, s16, v2
	s_clause 0x1
	s_load_dwordx2 s[10:11], s[4:5], 0x10
	s_load_dwordx2 s[4:5], s[4:5], 0x40
	s_mov_b32 s1, 0
	s_waitcnt lgkmcnt(0)
	s_cmp_eq_u32 s0, 0
	s_mul_i32 s0, s2, s15
	s_cselect_b32 vcc_lo, -1, 0
	v_cndmask_b32_e32 v2, v4, v5, vcc_lo
	v_add3_u32 v4, v3, s0, v6
	v_add_nc_u32_e32 v6, s3, v1
	s_lshl_b32 s3, s14, 2
	v_mad_u64_u32 v[2:3], null, s14, v0, v[2:3]
	s_lshl_b32 s14, s2, 2
	v_mad_u64_u32 v[4:5], null, s2, v4, v[1:2]
	s_inst_prefetch 0x1
	.p2align	6
.LBB8_5:                                ; =>This Inner Loop Header: Depth=1
	v_ashrrev_i32_e32 v1, 31, v0
	v_ashrrev_i32_e32 v3, 31, v2
	;; [unrolled: 1-line block ×3, first 2 shown]
	v_lshlrev_b64 v[7:8], 2, v[0:1]
	v_add_nc_u32_e32 v0, 4, v0
	v_add_co_u32 v7, vcc_lo, s6, v7
	v_add_co_ci_u32_e64 v8, null, s7, v8, vcc_lo
	global_load_dword v1, v[7:8], off
	v_lshlrev_b64 v[7:8], 2, v[2:3]
	v_add_nc_u32_e32 v2, s3, v2
	v_add_co_u32 v7, vcc_lo, s10, v7
	v_add_co_ci_u32_e64 v8, null, s11, v8, vcc_lo
	v_cmp_le_i32_e32 vcc_lo, s13, v0
	global_load_dword v3, v[7:8], off
	v_lshlrev_b64 v[7:8], 2, v[4:5]
	v_add_nc_u32_e32 v4, s14, v4
	s_or_b32 s1, vcc_lo, s1
	v_add_co_u32 v9, s0, s4, v7
	v_add_co_ci_u32_e64 v10, null, s5, v8, s0
	s_waitcnt vmcnt(1)
	v_subrev_nc_u32_e32 v1, s12, v1
	v_mad_u64_u32 v[11:12], null, v1, s2, v[6:7]
	v_add_co_u32 v7, s0, s8, v7
	v_add_co_ci_u32_e64 v8, null, s9, v8, s0
	global_store_dword v[9:10], v11, off
	s_waitcnt vmcnt(0)
	global_store_dword v[7:8], v3, off
	s_andn2_b32 exec_lo, exec_lo, s1
	s_cbranch_execnz .LBB8_5
.LBB8_6:
	s_inst_prefetch 0x2
	s_endpgm
	.section	.rodata,"a",@progbits
	.p2align	6, 0x0
	.amdhsa_kernel _ZN9rocsparseL33bsr2csr_block_per_row_8_32_kernelILj1024ELj16EiiiEEv20rocsparse_direction_T3_S2_21rocsparse_index_base_PKT1_PKT2_PKS2_S2_S3_PS4_PS7_PS2_
		.amdhsa_group_segment_fixed_size 0
		.amdhsa_private_segment_fixed_size 0
		.amdhsa_kernarg_size 72
		.amdhsa_user_sgpr_count 6
		.amdhsa_user_sgpr_private_segment_buffer 1
		.amdhsa_user_sgpr_dispatch_ptr 0
		.amdhsa_user_sgpr_queue_ptr 0
		.amdhsa_user_sgpr_kernarg_segment_ptr 1
		.amdhsa_user_sgpr_dispatch_id 0
		.amdhsa_user_sgpr_flat_scratch_init 0
		.amdhsa_user_sgpr_private_segment_size 0
		.amdhsa_wavefront_size32 1
		.amdhsa_uses_dynamic_stack 0
		.amdhsa_system_sgpr_private_segment_wavefront_offset 0
		.amdhsa_system_sgpr_workgroup_id_x 1
		.amdhsa_system_sgpr_workgroup_id_y 0
		.amdhsa_system_sgpr_workgroup_id_z 0
		.amdhsa_system_sgpr_workgroup_info 0
		.amdhsa_system_vgpr_workitem_id 0
		.amdhsa_next_free_vgpr 13
		.amdhsa_next_free_sgpr 17
		.amdhsa_reserve_vcc 1
		.amdhsa_reserve_flat_scratch 0
		.amdhsa_float_round_mode_32 0
		.amdhsa_float_round_mode_16_64 0
		.amdhsa_float_denorm_mode_32 3
		.amdhsa_float_denorm_mode_16_64 3
		.amdhsa_dx10_clamp 1
		.amdhsa_ieee_mode 1
		.amdhsa_fp16_overflow 0
		.amdhsa_workgroup_processor_mode 1
		.amdhsa_memory_ordered 1
		.amdhsa_forward_progress 1
		.amdhsa_shared_vgpr_count 0
		.amdhsa_exception_fp_ieee_invalid_op 0
		.amdhsa_exception_fp_denorm_src 0
		.amdhsa_exception_fp_ieee_div_zero 0
		.amdhsa_exception_fp_ieee_overflow 0
		.amdhsa_exception_fp_ieee_underflow 0
		.amdhsa_exception_fp_ieee_inexact 0
		.amdhsa_exception_int_div_zero 0
	.end_amdhsa_kernel
	.section	.text._ZN9rocsparseL33bsr2csr_block_per_row_8_32_kernelILj1024ELj16EiiiEEv20rocsparse_direction_T3_S2_21rocsparse_index_base_PKT1_PKT2_PKS2_S2_S3_PS4_PS7_PS2_,"axG",@progbits,_ZN9rocsparseL33bsr2csr_block_per_row_8_32_kernelILj1024ELj16EiiiEEv20rocsparse_direction_T3_S2_21rocsparse_index_base_PKT1_PKT2_PKS2_S2_S3_PS4_PS7_PS2_,comdat
.Lfunc_end8:
	.size	_ZN9rocsparseL33bsr2csr_block_per_row_8_32_kernelILj1024ELj16EiiiEEv20rocsparse_direction_T3_S2_21rocsparse_index_base_PKT1_PKT2_PKS2_S2_S3_PS4_PS7_PS2_, .Lfunc_end8-_ZN9rocsparseL33bsr2csr_block_per_row_8_32_kernelILj1024ELj16EiiiEEv20rocsparse_direction_T3_S2_21rocsparse_index_base_PKT1_PKT2_PKS2_S2_S3_PS4_PS7_PS2_
                                        ; -- End function
	.set _ZN9rocsparseL33bsr2csr_block_per_row_8_32_kernelILj1024ELj16EiiiEEv20rocsparse_direction_T3_S2_21rocsparse_index_base_PKT1_PKT2_PKS2_S2_S3_PS4_PS7_PS2_.num_vgpr, 13
	.set _ZN9rocsparseL33bsr2csr_block_per_row_8_32_kernelILj1024ELj16EiiiEEv20rocsparse_direction_T3_S2_21rocsparse_index_base_PKT1_PKT2_PKS2_S2_S3_PS4_PS7_PS2_.num_agpr, 0
	.set _ZN9rocsparseL33bsr2csr_block_per_row_8_32_kernelILj1024ELj16EiiiEEv20rocsparse_direction_T3_S2_21rocsparse_index_base_PKT1_PKT2_PKS2_S2_S3_PS4_PS7_PS2_.numbered_sgpr, 17
	.set _ZN9rocsparseL33bsr2csr_block_per_row_8_32_kernelILj1024ELj16EiiiEEv20rocsparse_direction_T3_S2_21rocsparse_index_base_PKT1_PKT2_PKS2_S2_S3_PS4_PS7_PS2_.num_named_barrier, 0
	.set _ZN9rocsparseL33bsr2csr_block_per_row_8_32_kernelILj1024ELj16EiiiEEv20rocsparse_direction_T3_S2_21rocsparse_index_base_PKT1_PKT2_PKS2_S2_S3_PS4_PS7_PS2_.private_seg_size, 0
	.set _ZN9rocsparseL33bsr2csr_block_per_row_8_32_kernelILj1024ELj16EiiiEEv20rocsparse_direction_T3_S2_21rocsparse_index_base_PKT1_PKT2_PKS2_S2_S3_PS4_PS7_PS2_.uses_vcc, 1
	.set _ZN9rocsparseL33bsr2csr_block_per_row_8_32_kernelILj1024ELj16EiiiEEv20rocsparse_direction_T3_S2_21rocsparse_index_base_PKT1_PKT2_PKS2_S2_S3_PS4_PS7_PS2_.uses_flat_scratch, 0
	.set _ZN9rocsparseL33bsr2csr_block_per_row_8_32_kernelILj1024ELj16EiiiEEv20rocsparse_direction_T3_S2_21rocsparse_index_base_PKT1_PKT2_PKS2_S2_S3_PS4_PS7_PS2_.has_dyn_sized_stack, 0
	.set _ZN9rocsparseL33bsr2csr_block_per_row_8_32_kernelILj1024ELj16EiiiEEv20rocsparse_direction_T3_S2_21rocsparse_index_base_PKT1_PKT2_PKS2_S2_S3_PS4_PS7_PS2_.has_recursion, 0
	.set _ZN9rocsparseL33bsr2csr_block_per_row_8_32_kernelILj1024ELj16EiiiEEv20rocsparse_direction_T3_S2_21rocsparse_index_base_PKT1_PKT2_PKS2_S2_S3_PS4_PS7_PS2_.has_indirect_call, 0
	.section	.AMDGPU.csdata,"",@progbits
; Kernel info:
; codeLenInByte = 572
; TotalNumSgprs: 19
; NumVgprs: 13
; ScratchSize: 0
; MemoryBound: 0
; FloatMode: 240
; IeeeMode: 1
; LDSByteSize: 0 bytes/workgroup (compile time only)
; SGPRBlocks: 0
; VGPRBlocks: 1
; NumSGPRsForWavesPerEU: 19
; NumVGPRsForWavesPerEU: 13
; Occupancy: 16
; WaveLimiterHint : 0
; COMPUTE_PGM_RSRC2:SCRATCH_EN: 0
; COMPUTE_PGM_RSRC2:USER_SGPR: 6
; COMPUTE_PGM_RSRC2:TRAP_HANDLER: 0
; COMPUTE_PGM_RSRC2:TGID_X_EN: 1
; COMPUTE_PGM_RSRC2:TGID_Y_EN: 0
; COMPUTE_PGM_RSRC2:TGID_Z_EN: 0
; COMPUTE_PGM_RSRC2:TIDIG_COMP_CNT: 0
	.section	.text._ZN9rocsparseL33bsr2csr_block_per_row_8_32_kernelILj1024ELj32EiiiEEv20rocsparse_direction_T3_S2_21rocsparse_index_base_PKT1_PKT2_PKS2_S2_S3_PS4_PS7_PS2_,"axG",@progbits,_ZN9rocsparseL33bsr2csr_block_per_row_8_32_kernelILj1024ELj32EiiiEEv20rocsparse_direction_T3_S2_21rocsparse_index_base_PKT1_PKT2_PKS2_S2_S3_PS4_PS7_PS2_,comdat
	.globl	_ZN9rocsparseL33bsr2csr_block_per_row_8_32_kernelILj1024ELj32EiiiEEv20rocsparse_direction_T3_S2_21rocsparse_index_base_PKT1_PKT2_PKS2_S2_S3_PS4_PS7_PS2_ ; -- Begin function _ZN9rocsparseL33bsr2csr_block_per_row_8_32_kernelILj1024ELj32EiiiEEv20rocsparse_direction_T3_S2_21rocsparse_index_base_PKT1_PKT2_PKS2_S2_S3_PS4_PS7_PS2_
	.p2align	8
	.type	_ZN9rocsparseL33bsr2csr_block_per_row_8_32_kernelILj1024ELj32EiiiEEv20rocsparse_direction_T3_S2_21rocsparse_index_base_PKT1_PKT2_PKS2_S2_S3_PS4_PS7_PS2_,@function
_ZN9rocsparseL33bsr2csr_block_per_row_8_32_kernelILj1024ELj32EiiiEEv20rocsparse_direction_T3_S2_21rocsparse_index_base_PKT1_PKT2_PKS2_S2_S3_PS4_PS7_PS2_: ; @_ZN9rocsparseL33bsr2csr_block_per_row_8_32_kernelILj1024ELj32EiiiEEv20rocsparse_direction_T3_S2_21rocsparse_index_base_PKT1_PKT2_PKS2_S2_S3_PS4_PS7_PS2_
; %bb.0:
	s_clause 0x2
	s_load_dwordx2 s[2:3], s[4:5], 0x18
	s_load_dwordx2 s[0:1], s[4:5], 0x28
	;; [unrolled: 1-line block ×3, first 2 shown]
	s_ashr_i32 s7, s6, 31
	v_or_b32_e32 v1, s6, v0
	s_lshl_b64 s[10:11], s[6:7], 2
	s_mov_b32 s7, exec_lo
	s_waitcnt lgkmcnt(0)
	s_add_u32 s2, s2, s10
	s_addc_u32 s3, s3, s11
	v_cmpx_eq_u32_e32 0, v1
	s_cbranch_execz .LBB9_2
; %bb.1:
	v_mov_b32_e32 v1, 0
	v_mov_b32_e32 v2, s1
	global_store_dword v1, v2, s[8:9]
.LBB9_2:
	s_or_b32 exec_lo, exec_lo, s7
	v_and_b32_e32 v1, 31, v0
	v_lshrrev_b32_e32 v0, 5, v0
	s_mov_b32 s7, exec_lo
	v_max_i32_e32 v2, v0, v1
	v_cmpx_gt_i32_e64 s0, v2
	s_cbranch_execz .LBB9_6
; %bb.3:
	s_load_dwordx2 s[16:17], s[2:3], 0x0
	s_load_dword s12, s[4:5], 0xc
	v_mad_u64_u32 v[2:3], null, s0, s6, v[0:1]
	s_mul_i32 s14, s0, s0
	v_ashrrev_i32_e32 v3, 31, v2
	v_lshlrev_b64 v[2:3], 2, v[2:3]
	v_add_co_u32 v2, vcc_lo, s8, v2
	s_waitcnt lgkmcnt(0)
	s_sub_i32 s2, s16, s12
	s_sub_i32 s13, s17, s12
	s_mul_i32 s10, s2, s14
	s_sub_i32 s3, s13, s2
	v_add_co_ci_u32_e64 v3, null, s9, v3, vcc_lo
	s_mul_i32 s6, s3, s0
	v_mul_lo_u32 v4, s6, v0
	s_add_i32 s6, s6, s1
	s_cmp_ge_i32 s16, s17
	v_add3_u32 v4, s6, s10, v4
	global_store_dword v[2:3], v4, off offset:4
	s_cbranch_scc1 .LBB9_6
; %bb.4:
	s_clause 0x3
	s_load_dwordx2 s[16:17], s[4:5], 0x20
	s_load_dwordx2 s[6:7], s[4:5], 0x30
	s_load_dword s11, s[4:5], 0x0
	s_load_dwordx2 s[8:9], s[4:5], 0x10
	v_mul_lo_u32 v2, v0, s3
	v_mad_u64_u32 v[3:4], null, s0, v1, v[0:1]
	s_load_dwordx2 s[4:5], s[4:5], 0x40
	v_mad_u64_u32 v[4:5], null, s0, v0, v[1:2]
	v_mad_u64_u32 v[5:6], null, s0, s2, v[2:3]
	v_add_nc_u32_e32 v0, s1, v1
	v_mad_u64_u32 v[1:2], null, s0, v5, v[1:2]
	s_waitcnt lgkmcnt(0)
	s_cmp_eq_u32 s11, 0
	s_cselect_b32 vcc_lo, -1, 0
	s_ashr_i32 s3, s2, 31
	v_cndmask_b32_e32 v3, v3, v4, vcc_lo
	v_add_nc_u32_e32 v3, s10, v3
	s_lshl_b64 s[10:11], s[2:3], 2
	s_add_u32 s10, s16, s10
	s_addc_u32 s11, s17, s11
	s_inst_prefetch 0x1
	.p2align	6
.LBB9_5:                                ; =>This Inner Loop Header: Depth=1
	v_ashrrev_i32_e32 v4, 31, v3
	s_load_dword s1, s[10:11], 0x0
	v_ashrrev_i32_e32 v2, 31, v1
	s_add_i32 s2, s2, 1
	v_lshlrev_b64 v[4:5], 2, v[3:4]
	v_add_nc_u32_e32 v3, s14, v3
	v_add_co_u32 v4, vcc_lo, s8, v4
	v_add_co_ci_u32_e64 v5, null, s9, v5, vcc_lo
	global_load_dword v10, v[4:5], off
	v_lshlrev_b64 v[4:5], 2, v[1:2]
	v_add_nc_u32_e32 v1, s0, v1
	s_waitcnt lgkmcnt(0)
	s_sub_i32 s1, s1, s12
	s_add_u32 s10, s10, 4
	s_addc_u32 s11, s11, 0
	s_cmp_lt_i32 s2, s13
	v_add_co_u32 v6, vcc_lo, s4, v4
	v_mad_u64_u32 v[8:9], null, s1, s0, v[0:1]
	v_add_co_ci_u32_e64 v7, null, s5, v5, vcc_lo
	v_add_co_u32 v4, vcc_lo, s6, v4
	v_add_co_ci_u32_e64 v5, null, s7, v5, vcc_lo
	global_store_dword v[6:7], v8, off
	s_waitcnt vmcnt(0)
	global_store_dword v[4:5], v10, off
	s_cbranch_scc1 .LBB9_5
.LBB9_6:
	s_inst_prefetch 0x2
	s_endpgm
	.section	.rodata,"a",@progbits
	.p2align	6, 0x0
	.amdhsa_kernel _ZN9rocsparseL33bsr2csr_block_per_row_8_32_kernelILj1024ELj32EiiiEEv20rocsparse_direction_T3_S2_21rocsparse_index_base_PKT1_PKT2_PKS2_S2_S3_PS4_PS7_PS2_
		.amdhsa_group_segment_fixed_size 0
		.amdhsa_private_segment_fixed_size 0
		.amdhsa_kernarg_size 72
		.amdhsa_user_sgpr_count 6
		.amdhsa_user_sgpr_private_segment_buffer 1
		.amdhsa_user_sgpr_dispatch_ptr 0
		.amdhsa_user_sgpr_queue_ptr 0
		.amdhsa_user_sgpr_kernarg_segment_ptr 1
		.amdhsa_user_sgpr_dispatch_id 0
		.amdhsa_user_sgpr_flat_scratch_init 0
		.amdhsa_user_sgpr_private_segment_size 0
		.amdhsa_wavefront_size32 1
		.amdhsa_uses_dynamic_stack 0
		.amdhsa_system_sgpr_private_segment_wavefront_offset 0
		.amdhsa_system_sgpr_workgroup_id_x 1
		.amdhsa_system_sgpr_workgroup_id_y 0
		.amdhsa_system_sgpr_workgroup_id_z 0
		.amdhsa_system_sgpr_workgroup_info 0
		.amdhsa_system_vgpr_workitem_id 0
		.amdhsa_next_free_vgpr 11
		.amdhsa_next_free_sgpr 18
		.amdhsa_reserve_vcc 1
		.amdhsa_reserve_flat_scratch 0
		.amdhsa_float_round_mode_32 0
		.amdhsa_float_round_mode_16_64 0
		.amdhsa_float_denorm_mode_32 3
		.amdhsa_float_denorm_mode_16_64 3
		.amdhsa_dx10_clamp 1
		.amdhsa_ieee_mode 1
		.amdhsa_fp16_overflow 0
		.amdhsa_workgroup_processor_mode 1
		.amdhsa_memory_ordered 1
		.amdhsa_forward_progress 1
		.amdhsa_shared_vgpr_count 0
		.amdhsa_exception_fp_ieee_invalid_op 0
		.amdhsa_exception_fp_denorm_src 0
		.amdhsa_exception_fp_ieee_div_zero 0
		.amdhsa_exception_fp_ieee_overflow 0
		.amdhsa_exception_fp_ieee_underflow 0
		.amdhsa_exception_fp_ieee_inexact 0
		.amdhsa_exception_int_div_zero 0
	.end_amdhsa_kernel
	.section	.text._ZN9rocsparseL33bsr2csr_block_per_row_8_32_kernelILj1024ELj32EiiiEEv20rocsparse_direction_T3_S2_21rocsparse_index_base_PKT1_PKT2_PKS2_S2_S3_PS4_PS7_PS2_,"axG",@progbits,_ZN9rocsparseL33bsr2csr_block_per_row_8_32_kernelILj1024ELj32EiiiEEv20rocsparse_direction_T3_S2_21rocsparse_index_base_PKT1_PKT2_PKS2_S2_S3_PS4_PS7_PS2_,comdat
.Lfunc_end9:
	.size	_ZN9rocsparseL33bsr2csr_block_per_row_8_32_kernelILj1024ELj32EiiiEEv20rocsparse_direction_T3_S2_21rocsparse_index_base_PKT1_PKT2_PKS2_S2_S3_PS4_PS7_PS2_, .Lfunc_end9-_ZN9rocsparseL33bsr2csr_block_per_row_8_32_kernelILj1024ELj32EiiiEEv20rocsparse_direction_T3_S2_21rocsparse_index_base_PKT1_PKT2_PKS2_S2_S3_PS4_PS7_PS2_
                                        ; -- End function
	.set _ZN9rocsparseL33bsr2csr_block_per_row_8_32_kernelILj1024ELj32EiiiEEv20rocsparse_direction_T3_S2_21rocsparse_index_base_PKT1_PKT2_PKS2_S2_S3_PS4_PS7_PS2_.num_vgpr, 11
	.set _ZN9rocsparseL33bsr2csr_block_per_row_8_32_kernelILj1024ELj32EiiiEEv20rocsparse_direction_T3_S2_21rocsparse_index_base_PKT1_PKT2_PKS2_S2_S3_PS4_PS7_PS2_.num_agpr, 0
	.set _ZN9rocsparseL33bsr2csr_block_per_row_8_32_kernelILj1024ELj32EiiiEEv20rocsparse_direction_T3_S2_21rocsparse_index_base_PKT1_PKT2_PKS2_S2_S3_PS4_PS7_PS2_.numbered_sgpr, 18
	.set _ZN9rocsparseL33bsr2csr_block_per_row_8_32_kernelILj1024ELj32EiiiEEv20rocsparse_direction_T3_S2_21rocsparse_index_base_PKT1_PKT2_PKS2_S2_S3_PS4_PS7_PS2_.num_named_barrier, 0
	.set _ZN9rocsparseL33bsr2csr_block_per_row_8_32_kernelILj1024ELj32EiiiEEv20rocsparse_direction_T3_S2_21rocsparse_index_base_PKT1_PKT2_PKS2_S2_S3_PS4_PS7_PS2_.private_seg_size, 0
	.set _ZN9rocsparseL33bsr2csr_block_per_row_8_32_kernelILj1024ELj32EiiiEEv20rocsparse_direction_T3_S2_21rocsparse_index_base_PKT1_PKT2_PKS2_S2_S3_PS4_PS7_PS2_.uses_vcc, 1
	.set _ZN9rocsparseL33bsr2csr_block_per_row_8_32_kernelILj1024ELj32EiiiEEv20rocsparse_direction_T3_S2_21rocsparse_index_base_PKT1_PKT2_PKS2_S2_S3_PS4_PS7_PS2_.uses_flat_scratch, 0
	.set _ZN9rocsparseL33bsr2csr_block_per_row_8_32_kernelILj1024ELj32EiiiEEv20rocsparse_direction_T3_S2_21rocsparse_index_base_PKT1_PKT2_PKS2_S2_S3_PS4_PS7_PS2_.has_dyn_sized_stack, 0
	.set _ZN9rocsparseL33bsr2csr_block_per_row_8_32_kernelILj1024ELj32EiiiEEv20rocsparse_direction_T3_S2_21rocsparse_index_base_PKT1_PKT2_PKS2_S2_S3_PS4_PS7_PS2_.has_recursion, 0
	.set _ZN9rocsparseL33bsr2csr_block_per_row_8_32_kernelILj1024ELj32EiiiEEv20rocsparse_direction_T3_S2_21rocsparse_index_base_PKT1_PKT2_PKS2_S2_S3_PS4_PS7_PS2_.has_indirect_call, 0
	.section	.AMDGPU.csdata,"",@progbits
; Kernel info:
; codeLenInByte = 544
; TotalNumSgprs: 20
; NumVgprs: 11
; ScratchSize: 0
; MemoryBound: 0
; FloatMode: 240
; IeeeMode: 1
; LDSByteSize: 0 bytes/workgroup (compile time only)
; SGPRBlocks: 0
; VGPRBlocks: 1
; NumSGPRsForWavesPerEU: 20
; NumVGPRsForWavesPerEU: 11
; Occupancy: 16
; WaveLimiterHint : 0
; COMPUTE_PGM_RSRC2:SCRATCH_EN: 0
; COMPUTE_PGM_RSRC2:USER_SGPR: 6
; COMPUTE_PGM_RSRC2:TRAP_HANDLER: 0
; COMPUTE_PGM_RSRC2:TGID_X_EN: 1
; COMPUTE_PGM_RSRC2:TGID_Y_EN: 0
; COMPUTE_PGM_RSRC2:TGID_Z_EN: 0
; COMPUTE_PGM_RSRC2:TIDIG_COMP_CNT: 0
	.section	.text._ZN9rocsparseL35bsr2csr_block_per_row_33_256_kernelILj1024ELj64ELj32EiiiEEv20rocsparse_direction_T4_S2_21rocsparse_index_base_PKT2_PKT3_PKS2_S2_S3_PS4_PS7_PS2_,"axG",@progbits,_ZN9rocsparseL35bsr2csr_block_per_row_33_256_kernelILj1024ELj64ELj32EiiiEEv20rocsparse_direction_T4_S2_21rocsparse_index_base_PKT2_PKT3_PKS2_S2_S3_PS4_PS7_PS2_,comdat
	.globl	_ZN9rocsparseL35bsr2csr_block_per_row_33_256_kernelILj1024ELj64ELj32EiiiEEv20rocsparse_direction_T4_S2_21rocsparse_index_base_PKT2_PKT3_PKS2_S2_S3_PS4_PS7_PS2_ ; -- Begin function _ZN9rocsparseL35bsr2csr_block_per_row_33_256_kernelILj1024ELj64ELj32EiiiEEv20rocsparse_direction_T4_S2_21rocsparse_index_base_PKT2_PKT3_PKS2_S2_S3_PS4_PS7_PS2_
	.p2align	8
	.type	_ZN9rocsparseL35bsr2csr_block_per_row_33_256_kernelILj1024ELj64ELj32EiiiEEv20rocsparse_direction_T4_S2_21rocsparse_index_base_PKT2_PKT3_PKS2_S2_S3_PS4_PS7_PS2_,@function
_ZN9rocsparseL35bsr2csr_block_per_row_33_256_kernelILj1024ELj64ELj32EiiiEEv20rocsparse_direction_T4_S2_21rocsparse_index_base_PKT2_PKT3_PKS2_S2_S3_PS4_PS7_PS2_: ; @_ZN9rocsparseL35bsr2csr_block_per_row_33_256_kernelILj1024ELj64ELj32EiiiEEv20rocsparse_direction_T4_S2_21rocsparse_index_base_PKT2_PKT3_PKS2_S2_S3_PS4_PS7_PS2_
; %bb.0:
	s_load_dwordx2 s[0:1], s[4:5], 0x18
	s_ashr_i32 s7, s6, 31
	s_clause 0x1
	s_load_dwordx2 s[8:9], s[4:5], 0x28
	s_load_dwordx2 s[2:3], s[4:5], 0x38
	s_lshl_b64 s[10:11], s[6:7], 2
	v_or_b32_e32 v1, s6, v0
	s_waitcnt lgkmcnt(0)
	s_add_u32 s0, s0, s10
	s_addc_u32 s1, s1, s11
	s_load_dwordx2 s[14:15], s[0:1], 0x0
	s_mov_b32 s0, exec_lo
	v_cmpx_eq_u32_e32 0, v1
	s_cbranch_execz .LBB10_2
; %bb.1:
	v_mov_b32_e32 v1, 0
	v_mov_b32_e32 v2, s9
	global_store_dword v1, v2, s[2:3]
.LBB10_2:
	s_or_b32 exec_lo, exec_lo, s0
	s_load_dword s17, s[4:5], 0xc
	v_lshrrev_b32_e32 v1, 5, v0
	s_mul_i32 s6, s8, s6
	v_cmp_gt_i32_e64 s0, s8, v1
	s_waitcnt lgkmcnt(0)
	s_sub_i32 s10, s14, s17
	s_sub_i32 s18, s15, s17
	s_mul_i32 s16, s8, s10
	s_sub_i32 s11, s18, s10
	s_mul_i32 s1, s16, s8
	s_mul_i32 s7, s11, s8
	s_add_i32 s1, s1, s9
	s_add_i32 s12, s1, s7
	s_and_saveexec_b32 s1, s0
	s_cbranch_execz .LBB10_4
; %bb.3:
	v_add_nc_u32_e32 v2, s6, v1
	v_mad_u64_u32 v[4:5], null, v1, s7, s[12:13]
	v_ashrrev_i32_e32 v3, 31, v2
	v_lshlrev_b64 v[2:3], 2, v[2:3]
	v_add_co_u32 v2, vcc_lo, s2, v2
	v_add_co_ci_u32_e64 v3, null, s3, v3, vcc_lo
	global_store_dword v[2:3], v4, off offset:4
.LBB10_4:
	s_or_b32 exec_lo, exec_lo, s1
	v_or_b32_e32 v2, 32, v1
	v_cmp_gt_i32_e64 s1, s8, v2
	s_and_saveexec_b32 s13, s1
	s_cbranch_execz .LBB10_6
; %bb.5:
	s_ashr_i32 s19, s6, 31
	v_add_co_u32 v3, s6, v1, s6
	v_add_co_ci_u32_e64 v4, null, 0, s19, s6
	v_mad_u64_u32 v[5:6], null, v2, s7, s[12:13]
	v_lshlrev_b64 v[3:4], 2, v[3:4]
	v_add_co_u32 v2, vcc_lo, s2, v3
	v_add_co_ci_u32_e64 v3, null, s3, v4, vcc_lo
	global_store_dword v[2:3], v5, off offset:132
.LBB10_6:
	s_or_b32 exec_lo, exec_lo, s13
	s_cmp_lt_i32 s14, s15
	s_cbranch_scc0 .LBB10_17
; %bb.7:
	s_clause 0x3
	s_load_dwordx2 s[20:21], s[4:5], 0x20
	s_load_dwordx2 s[6:7], s[4:5], 0x30
	s_load_dword s22, s[4:5], 0x0
	s_load_dwordx2 s[12:13], s[4:5], 0x10
	v_mad_u64_u32 v[8:9], null, v1, s11, s[16:17]
	v_and_b32_e32 v0, 31, v0
	s_load_dwordx2 s[4:5], s[4:5], 0x40
	v_add_nc_u32_e32 v3, s16, v1
	s_mul_i32 s19, s8, s8
	v_add_nc_u32_e32 v5, s16, v0
	v_lshl_add_u32 v6, s15, 5, v8
	v_or_b32_e32 v2, 32, v0
	v_add_nc_u32_e32 v4, 32, v3
	v_cmp_gt_i32_e64 s2, s8, v0
	v_add_nc_u32_e32 v7, 32, v5
	v_mul_lo_u32 v3, s8, v3
	v_cmp_gt_i32_e64 s3, s8, v2
	v_mul_lo_u32 v4, s8, v4
	v_mul_lo_u32 v5, s8, v5
	;; [unrolled: 1-line block ×3, first 2 shown]
	s_waitcnt lgkmcnt(0)
	s_cmp_eq_u32 s22, 0
	s_cselect_b32 vcc_lo, -1, 0
	s_lshl_b32 s11, s14, 5
	s_and_b32 s14, s0, s2
	v_subrev_nc_u32_e32 v9, s11, v6
	v_mul_lo_u32 v6, s8, v7
	s_ashr_i32 s11, s10, 31
	s_and_b32 s15, s0, s3
	s_lshl_b64 s[22:23], s[10:11], 2
	v_mul_lo_u32 v7, s8, v9
	s_and_b32 s16, s1, s2
	s_and_b32 s1, s1, s3
	s_add_u32 s2, s20, s22
	s_addc_u32 s3, s21, s23
	s_branch .LBB10_9
.LBB10_8:                               ;   in Loop: Header=BB10_9 Depth=1
	s_or_b32 exec_lo, exec_lo, s11
	s_add_i32 s10, s10, 1
	v_add_nc_u32_e32 v4, s19, v4
	v_add_nc_u32_e32 v3, s19, v3
	;; [unrolled: 1-line block ×5, first 2 shown]
	s_add_u32 s2, s2, 4
	s_addc_u32 s3, s3, 0
	s_cmp_ge_i32 s10, s18
	s_cbranch_scc1 .LBB10_17
.LBB10_9:                               ; =>This Inner Loop Header: Depth=1
	s_load_dword s0, s[2:3], 0x0
	s_waitcnt lgkmcnt(0)
	s_sub_i32 s0, s0, s17
	s_mul_i32 s11, s0, s8
	s_add_i32 s11, s11, s9
	v_add_nc_u32_e32 v9, s11, v0
	s_and_saveexec_b32 s20, s14
	s_cbranch_execz .LBB10_11
; %bb.10:                               ;   in Loop: Header=BB10_9 Depth=1
	v_add_nc_u32_e32 v10, v0, v3
	v_add_nc_u32_e32 v11, v5, v1
	v_cndmask_b32_e32 v10, v11, v10, vcc_lo
	v_ashrrev_i32_e32 v11, 31, v10
	v_lshlrev_b64 v[10:11], 2, v[10:11]
	v_add_co_u32 v10, s0, s12, v10
	v_add_co_ci_u32_e64 v11, null, s13, v11, s0
	global_load_dword v14, v[10:11], off
	v_add_nc_u32_e32 v10, v0, v8
	v_ashrrev_i32_e32 v11, 31, v10
	v_lshlrev_b64 v[10:11], 2, v[10:11]
	v_add_co_u32 v12, s0, s4, v10
	v_add_co_ci_u32_e64 v13, null, s5, v11, s0
	v_add_co_u32 v10, s0, s6, v10
	v_add_co_ci_u32_e64 v11, null, s7, v11, s0
	global_store_dword v[12:13], v9, off
	s_waitcnt vmcnt(0)
	global_store_dword v[10:11], v14, off
.LBB10_11:                              ;   in Loop: Header=BB10_9 Depth=1
	s_or_b32 exec_lo, exec_lo, s20
	v_add_nc_u32_e32 v10, s11, v2
	v_add_nc_u32_e32 v11, v6, v1
	s_and_saveexec_b32 s11, s15
	s_cbranch_execnz .LBB10_14
; %bb.12:                               ;   in Loop: Header=BB10_9 Depth=1
	s_or_b32 exec_lo, exec_lo, s11
	v_add_nc_u32_e32 v12, v0, v4
	s_and_saveexec_b32 s11, s16
	s_cbranch_execnz .LBB10_15
.LBB10_13:                              ;   in Loop: Header=BB10_9 Depth=1
	s_or_b32 exec_lo, exec_lo, s11
	s_and_saveexec_b32 s11, s1
	s_cbranch_execz .LBB10_8
	s_branch .LBB10_16
.LBB10_14:                              ;   in Loop: Header=BB10_9 Depth=1
	v_add3_u32 v12, v0, v3, 32
	v_cndmask_b32_e32 v12, v11, v12, vcc_lo
	v_ashrrev_i32_e32 v13, 31, v12
	v_lshlrev_b64 v[12:13], 2, v[12:13]
	v_add_co_u32 v12, s0, s12, v12
	v_add_co_ci_u32_e64 v13, null, s13, v13, s0
	global_load_dword v16, v[12:13], off
	v_add3_u32 v12, v0, v8, 32
	v_ashrrev_i32_e32 v13, 31, v12
	v_lshlrev_b64 v[12:13], 2, v[12:13]
	v_add_co_u32 v14, s0, s4, v12
	v_add_co_ci_u32_e64 v15, null, s5, v13, s0
	v_add_co_u32 v12, s0, s6, v12
	v_add_co_ci_u32_e64 v13, null, s7, v13, s0
	global_store_dword v[14:15], v10, off
	s_waitcnt vmcnt(0)
	global_store_dword v[12:13], v16, off
	s_or_b32 exec_lo, exec_lo, s11
	v_add_nc_u32_e32 v12, v0, v4
	s_and_saveexec_b32 s11, s16
	s_cbranch_execz .LBB10_13
.LBB10_15:                              ;   in Loop: Header=BB10_9 Depth=1
	v_add3_u32 v13, v5, v1, 32
	v_cndmask_b32_e32 v13, v13, v12, vcc_lo
	v_ashrrev_i32_e32 v14, 31, v13
	v_lshlrev_b64 v[13:14], 2, v[13:14]
	v_add_co_u32 v13, s0, s12, v13
	v_add_co_ci_u32_e64 v14, null, s13, v14, s0
	global_load_dword v17, v[13:14], off
	v_add_nc_u32_e32 v13, v0, v7
	v_ashrrev_i32_e32 v14, 31, v13
	v_lshlrev_b64 v[13:14], 2, v[13:14]
	v_add_co_u32 v15, s0, s4, v13
	v_add_co_ci_u32_e64 v16, null, s5, v14, s0
	v_add_co_u32 v13, s0, s6, v13
	v_add_co_ci_u32_e64 v14, null, s7, v14, s0
	global_store_dword v[15:16], v9, off
	s_waitcnt vmcnt(0)
	global_store_dword v[13:14], v17, off
	s_or_b32 exec_lo, exec_lo, s11
	s_and_saveexec_b32 s11, s1
	s_cbranch_execz .LBB10_8
.LBB10_16:                              ;   in Loop: Header=BB10_9 Depth=1
	v_cndmask_b32_e32 v9, v11, v12, vcc_lo
	v_add_nc_u32_e32 v11, 32, v9
	v_ashrrev_i32_e32 v12, 31, v11
	v_lshlrev_b64 v[11:12], 2, v[11:12]
	v_add_co_u32 v11, s0, s12, v11
	v_add_co_ci_u32_e64 v12, null, s13, v12, s0
	global_load_dword v9, v[11:12], off
	v_add3_u32 v11, v0, v7, 32
	v_ashrrev_i32_e32 v12, 31, v11
	v_lshlrev_b64 v[11:12], 2, v[11:12]
	v_add_co_u32 v13, s0, s4, v11
	v_add_co_ci_u32_e64 v14, null, s5, v12, s0
	v_add_co_u32 v11, s0, s6, v11
	v_add_co_ci_u32_e64 v12, null, s7, v12, s0
	global_store_dword v[13:14], v10, off
	s_waitcnt vmcnt(0)
	global_store_dword v[11:12], v9, off
	s_branch .LBB10_8
.LBB10_17:
	s_endpgm
	.section	.rodata,"a",@progbits
	.p2align	6, 0x0
	.amdhsa_kernel _ZN9rocsparseL35bsr2csr_block_per_row_33_256_kernelILj1024ELj64ELj32EiiiEEv20rocsparse_direction_T4_S2_21rocsparse_index_base_PKT2_PKT3_PKS2_S2_S3_PS4_PS7_PS2_
		.amdhsa_group_segment_fixed_size 0
		.amdhsa_private_segment_fixed_size 0
		.amdhsa_kernarg_size 72
		.amdhsa_user_sgpr_count 6
		.amdhsa_user_sgpr_private_segment_buffer 1
		.amdhsa_user_sgpr_dispatch_ptr 0
		.amdhsa_user_sgpr_queue_ptr 0
		.amdhsa_user_sgpr_kernarg_segment_ptr 1
		.amdhsa_user_sgpr_dispatch_id 0
		.amdhsa_user_sgpr_flat_scratch_init 0
		.amdhsa_user_sgpr_private_segment_size 0
		.amdhsa_wavefront_size32 1
		.amdhsa_uses_dynamic_stack 0
		.amdhsa_system_sgpr_private_segment_wavefront_offset 0
		.amdhsa_system_sgpr_workgroup_id_x 1
		.amdhsa_system_sgpr_workgroup_id_y 0
		.amdhsa_system_sgpr_workgroup_id_z 0
		.amdhsa_system_sgpr_workgroup_info 0
		.amdhsa_system_vgpr_workitem_id 0
		.amdhsa_next_free_vgpr 18
		.amdhsa_next_free_sgpr 24
		.amdhsa_reserve_vcc 1
		.amdhsa_reserve_flat_scratch 0
		.amdhsa_float_round_mode_32 0
		.amdhsa_float_round_mode_16_64 0
		.amdhsa_float_denorm_mode_32 3
		.amdhsa_float_denorm_mode_16_64 3
		.amdhsa_dx10_clamp 1
		.amdhsa_ieee_mode 1
		.amdhsa_fp16_overflow 0
		.amdhsa_workgroup_processor_mode 1
		.amdhsa_memory_ordered 1
		.amdhsa_forward_progress 1
		.amdhsa_shared_vgpr_count 0
		.amdhsa_exception_fp_ieee_invalid_op 0
		.amdhsa_exception_fp_denorm_src 0
		.amdhsa_exception_fp_ieee_div_zero 0
		.amdhsa_exception_fp_ieee_overflow 0
		.amdhsa_exception_fp_ieee_underflow 0
		.amdhsa_exception_fp_ieee_inexact 0
		.amdhsa_exception_int_div_zero 0
	.end_amdhsa_kernel
	.section	.text._ZN9rocsparseL35bsr2csr_block_per_row_33_256_kernelILj1024ELj64ELj32EiiiEEv20rocsparse_direction_T4_S2_21rocsparse_index_base_PKT2_PKT3_PKS2_S2_S3_PS4_PS7_PS2_,"axG",@progbits,_ZN9rocsparseL35bsr2csr_block_per_row_33_256_kernelILj1024ELj64ELj32EiiiEEv20rocsparse_direction_T4_S2_21rocsparse_index_base_PKT2_PKT3_PKS2_S2_S3_PS4_PS7_PS2_,comdat
.Lfunc_end10:
	.size	_ZN9rocsparseL35bsr2csr_block_per_row_33_256_kernelILj1024ELj64ELj32EiiiEEv20rocsparse_direction_T4_S2_21rocsparse_index_base_PKT2_PKT3_PKS2_S2_S3_PS4_PS7_PS2_, .Lfunc_end10-_ZN9rocsparseL35bsr2csr_block_per_row_33_256_kernelILj1024ELj64ELj32EiiiEEv20rocsparse_direction_T4_S2_21rocsparse_index_base_PKT2_PKT3_PKS2_S2_S3_PS4_PS7_PS2_
                                        ; -- End function
	.set _ZN9rocsparseL35bsr2csr_block_per_row_33_256_kernelILj1024ELj64ELj32EiiiEEv20rocsparse_direction_T4_S2_21rocsparse_index_base_PKT2_PKT3_PKS2_S2_S3_PS4_PS7_PS2_.num_vgpr, 18
	.set _ZN9rocsparseL35bsr2csr_block_per_row_33_256_kernelILj1024ELj64ELj32EiiiEEv20rocsparse_direction_T4_S2_21rocsparse_index_base_PKT2_PKT3_PKS2_S2_S3_PS4_PS7_PS2_.num_agpr, 0
	.set _ZN9rocsparseL35bsr2csr_block_per_row_33_256_kernelILj1024ELj64ELj32EiiiEEv20rocsparse_direction_T4_S2_21rocsparse_index_base_PKT2_PKT3_PKS2_S2_S3_PS4_PS7_PS2_.numbered_sgpr, 24
	.set _ZN9rocsparseL35bsr2csr_block_per_row_33_256_kernelILj1024ELj64ELj32EiiiEEv20rocsparse_direction_T4_S2_21rocsparse_index_base_PKT2_PKT3_PKS2_S2_S3_PS4_PS7_PS2_.num_named_barrier, 0
	.set _ZN9rocsparseL35bsr2csr_block_per_row_33_256_kernelILj1024ELj64ELj32EiiiEEv20rocsparse_direction_T4_S2_21rocsparse_index_base_PKT2_PKT3_PKS2_S2_S3_PS4_PS7_PS2_.private_seg_size, 0
	.set _ZN9rocsparseL35bsr2csr_block_per_row_33_256_kernelILj1024ELj64ELj32EiiiEEv20rocsparse_direction_T4_S2_21rocsparse_index_base_PKT2_PKT3_PKS2_S2_S3_PS4_PS7_PS2_.uses_vcc, 1
	.set _ZN9rocsparseL35bsr2csr_block_per_row_33_256_kernelILj1024ELj64ELj32EiiiEEv20rocsparse_direction_T4_S2_21rocsparse_index_base_PKT2_PKT3_PKS2_S2_S3_PS4_PS7_PS2_.uses_flat_scratch, 0
	.set _ZN9rocsparseL35bsr2csr_block_per_row_33_256_kernelILj1024ELj64ELj32EiiiEEv20rocsparse_direction_T4_S2_21rocsparse_index_base_PKT2_PKT3_PKS2_S2_S3_PS4_PS7_PS2_.has_dyn_sized_stack, 0
	.set _ZN9rocsparseL35bsr2csr_block_per_row_33_256_kernelILj1024ELj64ELj32EiiiEEv20rocsparse_direction_T4_S2_21rocsparse_index_base_PKT2_PKT3_PKS2_S2_S3_PS4_PS7_PS2_.has_recursion, 0
	.set _ZN9rocsparseL35bsr2csr_block_per_row_33_256_kernelILj1024ELj64ELj32EiiiEEv20rocsparse_direction_T4_S2_21rocsparse_index_base_PKT2_PKT3_PKS2_S2_S3_PS4_PS7_PS2_.has_indirect_call, 0
	.section	.AMDGPU.csdata,"",@progbits
; Kernel info:
; codeLenInByte = 1148
; TotalNumSgprs: 26
; NumVgprs: 18
; ScratchSize: 0
; MemoryBound: 0
; FloatMode: 240
; IeeeMode: 1
; LDSByteSize: 0 bytes/workgroup (compile time only)
; SGPRBlocks: 0
; VGPRBlocks: 2
; NumSGPRsForWavesPerEU: 26
; NumVGPRsForWavesPerEU: 18
; Occupancy: 16
; WaveLimiterHint : 1
; COMPUTE_PGM_RSRC2:SCRATCH_EN: 0
; COMPUTE_PGM_RSRC2:USER_SGPR: 6
; COMPUTE_PGM_RSRC2:TRAP_HANDLER: 0
; COMPUTE_PGM_RSRC2:TGID_X_EN: 1
; COMPUTE_PGM_RSRC2:TGID_Y_EN: 0
; COMPUTE_PGM_RSRC2:TGID_Z_EN: 0
; COMPUTE_PGM_RSRC2:TIDIG_COMP_CNT: 0
	.section	.text._ZN9rocsparseL35bsr2csr_block_per_row_33_256_kernelILj1024ELj128ELj32EiiiEEv20rocsparse_direction_T4_S2_21rocsparse_index_base_PKT2_PKT3_PKS2_S2_S3_PS4_PS7_PS2_,"axG",@progbits,_ZN9rocsparseL35bsr2csr_block_per_row_33_256_kernelILj1024ELj128ELj32EiiiEEv20rocsparse_direction_T4_S2_21rocsparse_index_base_PKT2_PKT3_PKS2_S2_S3_PS4_PS7_PS2_,comdat
	.globl	_ZN9rocsparseL35bsr2csr_block_per_row_33_256_kernelILj1024ELj128ELj32EiiiEEv20rocsparse_direction_T4_S2_21rocsparse_index_base_PKT2_PKT3_PKS2_S2_S3_PS4_PS7_PS2_ ; -- Begin function _ZN9rocsparseL35bsr2csr_block_per_row_33_256_kernelILj1024ELj128ELj32EiiiEEv20rocsparse_direction_T4_S2_21rocsparse_index_base_PKT2_PKT3_PKS2_S2_S3_PS4_PS7_PS2_
	.p2align	8
	.type	_ZN9rocsparseL35bsr2csr_block_per_row_33_256_kernelILj1024ELj128ELj32EiiiEEv20rocsparse_direction_T4_S2_21rocsparse_index_base_PKT2_PKT3_PKS2_S2_S3_PS4_PS7_PS2_,@function
_ZN9rocsparseL35bsr2csr_block_per_row_33_256_kernelILj1024ELj128ELj32EiiiEEv20rocsparse_direction_T4_S2_21rocsparse_index_base_PKT2_PKT3_PKS2_S2_S3_PS4_PS7_PS2_: ; @_ZN9rocsparseL35bsr2csr_block_per_row_33_256_kernelILj1024ELj128ELj32EiiiEEv20rocsparse_direction_T4_S2_21rocsparse_index_base_PKT2_PKT3_PKS2_S2_S3_PS4_PS7_PS2_
; %bb.0:
	s_load_dwordx2 s[0:1], s[4:5], 0x18
	s_ashr_i32 s7, s6, 31
	s_clause 0x1
	s_load_dwordx2 s[8:9], s[4:5], 0x28
	s_load_dwordx2 s[12:13], s[4:5], 0x38
	s_lshl_b64 s[2:3], s[6:7], 2
	v_or_b32_e32 v1, s6, v0
	s_waitcnt lgkmcnt(0)
	s_add_u32 s0, s0, s2
	s_addc_u32 s1, s1, s3
	s_load_dwordx2 s[18:19], s[0:1], 0x0
	s_mov_b32 s0, exec_lo
	v_cmpx_eq_u32_e32 0, v1
	s_cbranch_execz .LBB11_2
; %bb.1:
	v_mov_b32_e32 v1, 0
	v_mov_b32_e32 v2, s9
	global_store_dword v1, v2, s[12:13]
.LBB11_2:
	s_or_b32 exec_lo, exec_lo, s0
	s_load_dword s21, s[4:5], 0xc
	v_lshrrev_b32_e32 v4, 5, v0
	s_mul_i32 s6, s8, s6
	v_cmp_gt_i32_e64 s0, s8, v4
	s_waitcnt lgkmcnt(0)
	s_sub_i32 s10, s18, s21
	s_sub_i32 s24, s19, s21
	s_mul_i32 s20, s8, s10
	s_sub_i32 s11, s24, s10
	s_mul_i32 s1, s20, s8
	s_mul_i32 s7, s11, s8
	s_add_i32 s1, s1, s9
	s_add_i32 s14, s1, s7
	s_and_saveexec_b32 s1, s0
	s_cbranch_execz .LBB11_4
; %bb.3:
	v_add_nc_u32_e32 v1, s6, v4
	v_mad_u64_u32 v[5:6], null, v4, s7, s[14:15]
	v_ashrrev_i32_e32 v2, 31, v1
	v_lshlrev_b64 v[1:2], 2, v[1:2]
	v_add_co_u32 v1, vcc_lo, s12, v1
	v_add_co_ci_u32_e64 v2, null, s13, v2, vcc_lo
	global_store_dword v[1:2], v5, off offset:4
.LBB11_4:
	s_or_b32 exec_lo, exec_lo, s1
	v_or_b32_e32 v1, 32, v4
	v_cmp_gt_i32_e64 s2, s8, v1
	s_and_saveexec_b32 s1, s2
	s_cbranch_execz .LBB11_6
; %bb.5:
	s_ashr_i32 s3, s6, 31
	v_add_co_u32 v2, s15, v4, s6
	v_add_co_ci_u32_e64 v3, null, 0, s3, s15
	v_mad_u64_u32 v[5:6], null, v1, s7, s[14:15]
	v_lshlrev_b64 v[2:3], 2, v[2:3]
	v_add_co_u32 v1, vcc_lo, s12, v2
	v_add_co_ci_u32_e64 v2, null, s13, v3, vcc_lo
	global_store_dword v[1:2], v5, off offset:132
.LBB11_6:
	s_or_b32 exec_lo, exec_lo, s1
	v_or_b32_e32 v1, 64, v4
	v_cmp_gt_i32_e64 s3, s8, v1
	s_and_saveexec_b32 s1, s3
	s_cbranch_execz .LBB11_8
; %bb.7:
	s_ashr_i32 s15, s6, 31
	v_add_co_u32 v2, s16, v4, s6
	v_add_co_ci_u32_e64 v3, null, 0, s15, s16
	v_mad_u64_u32 v[5:6], null, v1, s7, s[14:15]
	v_lshlrev_b64 v[2:3], 2, v[2:3]
	v_add_co_u32 v1, vcc_lo, s12, v2
	v_add_co_ci_u32_e64 v2, null, s13, v3, vcc_lo
	global_store_dword v[1:2], v5, off offset:260
.LBB11_8:
	;; [unrolled: 15-line block ×3, first 2 shown]
	s_or_b32 exec_lo, exec_lo, s15
	s_cmp_lt_i32 s18, s19
	s_cbranch_scc0 .LBB11_45
; %bb.11:
	s_clause 0x2
	s_load_dwordx2 s[22:23], s[4:5], 0x20
	s_load_dwordx2 s[12:13], s[4:5], 0x30
	s_load_dword s7, s[4:5], 0x0
	v_mad_u64_u32 v[15:16], null, v4, s11, s[20:21]
	v_and_b32_e32 v5, 31, v0
	v_add_nc_u32_e32 v0, s20, v4
	s_clause 0x1
	s_load_dwordx2 s[14:15], s[4:5], 0x10
	s_load_dwordx2 s[16:17], s[4:5], 0x40
	s_mul_i32 s25, s8, s8
	s_mov_b32 s26, 0
	v_or_b32_e32 v6, 32, v5
	v_or_b32_e32 v7, 64, v5
	;; [unrolled: 1-line block ×3, first 2 shown]
	v_add_nc_u32_e32 v1, 32, v0
	v_add_nc_u32_e32 v17, s20, v5
	;; [unrolled: 1-line block ×3, first 2 shown]
	v_lshl_add_u32 v16, s19, 5, v15
	v_cmp_gt_i32_e64 s4, s8, v5
	v_cmp_gt_i32_e64 s5, s8, v6
	;; [unrolled: 1-line block ×3, first 2 shown]
	v_mul_lo_u32 v9, s8, v1
	v_add_nc_u32_e32 v1, 0x60, v17
	s_waitcnt lgkmcnt(0)
	s_cmp_eq_u32 s7, 0
	v_cmp_gt_i32_e64 s7, s8, v8
	v_mul_lo_u32 v10, s8, v2
	v_add_nc_u32_e32 v2, 64, v17
	v_mad_u64_u32 v[13:14], null, 0x60, s19, v[15:16]
	v_lshl_add_u32 v14, s19, 6, v15
	s_cselect_b32 vcc_lo, -1, 0
	s_and_b32 s27, s0, s4
	s_and_b32 s28, s0, s5
	;; [unrolled: 1-line block ×4, first 2 shown]
	v_add_nc_u32_e32 v3, 0x60, v0
	v_mul_lo_u32 v12, s8, v0
	v_mad_u64_u32 v[0:1], null, s8, v1, v[4:5]
	s_lshl_b32 s0, s18, 5
	v_mad_u64_u32 v[1:2], null, s8, v2, v[4:5]
	s_and_b32 s31, s2, s4
	s_and_b32 s33, s2, s5
	;; [unrolled: 1-line block ×4, first 2 shown]
	v_add_nc_u32_e32 v2, 32, v17
	v_subrev_nc_u32_e32 v16, s0, v16
	s_lshl_b32 s0, s18, 6
	s_mul_i32 s2, s18, 0x60
	v_subrev_nc_u32_e32 v14, s0, v14
	v_subrev_nc_u32_e32 v18, s2, v13
	v_mul_lo_u32 v11, s8, v3
	v_mad_u64_u32 v[2:3], null, s8, v2, v[4:5]
	v_mad_u64_u32 v[3:4], null, s8, v17, v[4:5]
	v_mul_lo_u32 v4, s8, v16
	v_mul_lo_u32 v13, s8, v14
	;; [unrolled: 1-line block ×4, first 2 shown]
	s_ashr_i32 s11, s10, 31
	s_and_b32 s36, s3, s4
	s_and_b32 s37, s3, s5
	;; [unrolled: 1-line block ×4, first 2 shown]
	s_lshl_b64 s[2:3], s[10:11], 2
	s_and_b32 s4, s1, s4
	s_and_b32 s5, s1, s5
	s_and_b32 s6, s1, s6
	s_and_b32 s1, s1, s7
	s_add_u32 s2, s22, s2
	s_addc_u32 s3, s23, s3
	s_branch .LBB11_13
.LBB11_12:                              ;   in Loop: Header=BB11_13 Depth=1
	s_or_b32 exec_lo, exec_lo, s7
	s_add_i32 s10, s10, 1
	v_add_nc_u32_e32 v9, s25, v9
	v_add_nc_u32_e32 v10, s25, v10
	;; [unrolled: 1-line block ×4, first 2 shown]
	s_add_i32 s26, s26, s25
	v_add_nc_u32_e32 v4, s8, v4
	v_add_nc_u32_e32 v13, s8, v13
	;; [unrolled: 1-line block ×4, first 2 shown]
	s_add_u32 s2, s2, 4
	s_addc_u32 s3, s3, 0
	s_cmp_ge_i32 s10, s24
	s_cbranch_scc1 .LBB11_45
.LBB11_13:                              ; =>This Inner Loop Header: Depth=1
	s_load_dword s0, s[2:3], 0x0
	s_waitcnt lgkmcnt(0)
	s_sub_i32 s0, s0, s21
	s_mul_i32 s7, s0, s8
	s_add_i32 s7, s7, s9
	v_add_nc_u32_e32 v16, s7, v5
	s_and_saveexec_b32 s11, s27
	s_cbranch_execz .LBB11_15
; %bb.14:                               ;   in Loop: Header=BB11_13 Depth=1
	v_add_nc_u32_e32 v17, v5, v12
	v_add_nc_u32_e32 v18, s26, v3
	v_cndmask_b32_e32 v17, v18, v17, vcc_lo
	v_ashrrev_i32_e32 v18, 31, v17
	v_lshlrev_b64 v[17:18], 2, v[17:18]
	v_add_co_u32 v17, s0, s14, v17
	v_add_co_ci_u32_e64 v18, null, s15, v18, s0
	global_load_dword v21, v[17:18], off
	v_add_nc_u32_e32 v17, v5, v15
	v_ashrrev_i32_e32 v18, 31, v17
	v_lshlrev_b64 v[17:18], 2, v[17:18]
	v_add_co_u32 v19, s0, s16, v17
	v_add_co_ci_u32_e64 v20, null, s17, v18, s0
	v_add_co_u32 v17, s0, s12, v17
	v_add_co_ci_u32_e64 v18, null, s13, v18, s0
	global_store_dword v[19:20], v16, off
	s_waitcnt vmcnt(0)
	global_store_dword v[17:18], v21, off
.LBB11_15:                              ;   in Loop: Header=BB11_13 Depth=1
	s_or_b32 exec_lo, exec_lo, s11
	v_add_nc_u32_e32 v17, s7, v6
	v_add_nc_u32_e32 v22, s26, v2
	s_and_saveexec_b32 s11, s28
	s_cbranch_execz .LBB11_17
; %bb.16:                               ;   in Loop: Header=BB11_13 Depth=1
	v_add3_u32 v18, v5, v12, 32
	v_cndmask_b32_e32 v18, v22, v18, vcc_lo
	v_ashrrev_i32_e32 v19, 31, v18
	v_lshlrev_b64 v[18:19], 2, v[18:19]
	v_add_co_u32 v18, s0, s14, v18
	v_add_co_ci_u32_e64 v19, null, s15, v19, s0
	global_load_dword v23, v[18:19], off
	v_add3_u32 v18, v5, v15, 32
	v_ashrrev_i32_e32 v19, 31, v18
	v_lshlrev_b64 v[18:19], 2, v[18:19]
	v_add_co_u32 v20, s0, s16, v18
	v_add_co_ci_u32_e64 v21, null, s17, v19, s0
	v_add_co_u32 v18, s0, s12, v18
	v_add_co_ci_u32_e64 v19, null, s13, v19, s0
	global_store_dword v[20:21], v17, off
	s_waitcnt vmcnt(0)
	global_store_dword v[18:19], v23, off
.LBB11_17:                              ;   in Loop: Header=BB11_13 Depth=1
	s_or_b32 exec_lo, exec_lo, s11
	v_add_nc_u32_e32 v18, s7, v7
	v_add_nc_u32_e32 v21, s26, v1
	s_and_saveexec_b32 s11, s29
	s_cbranch_execz .LBB11_19
; %bb.18:                               ;   in Loop: Header=BB11_13 Depth=1
	v_add3_u32 v19, v5, v12, 64
	v_cndmask_b32_e32 v19, v21, v19, vcc_lo
	v_ashrrev_i32_e32 v20, 31, v19
	v_lshlrev_b64 v[19:20], 2, v[19:20]
	v_add_co_u32 v19, s0, s14, v19
	v_add_co_ci_u32_e64 v20, null, s15, v20, s0
	global_load_dword v25, v[19:20], off
	v_add3_u32 v19, v5, v15, 64
	v_ashrrev_i32_e32 v20, 31, v19
	v_lshlrev_b64 v[19:20], 2, v[19:20]
	v_add_co_u32 v23, s0, s16, v19
	v_add_co_ci_u32_e64 v24, null, s17, v20, s0
	v_add_co_u32 v19, s0, s12, v19
	v_add_co_ci_u32_e64 v20, null, s13, v20, s0
	global_store_dword v[23:24], v18, off
	s_waitcnt vmcnt(0)
	global_store_dword v[19:20], v25, off
.LBB11_19:                              ;   in Loop: Header=BB11_13 Depth=1
	s_or_b32 exec_lo, exec_lo, s11
	v_add_nc_u32_e32 v19, s7, v8
	v_add_nc_u32_e32 v20, s26, v0
	s_and_saveexec_b32 s7, s30
	s_cbranch_execnz .LBB11_32
; %bb.20:                               ;   in Loop: Header=BB11_13 Depth=1
	s_or_b32 exec_lo, exec_lo, s7
	v_add_nc_u32_e32 v23, v5, v9
	s_and_saveexec_b32 s7, s31
	s_cbranch_execnz .LBB11_33
.LBB11_21:                              ;   in Loop: Header=BB11_13 Depth=1
	s_or_b32 exec_lo, exec_lo, s7
	s_and_saveexec_b32 s7, s33
	s_cbranch_execnz .LBB11_34
.LBB11_22:                              ;   in Loop: Header=BB11_13 Depth=1
	s_or_b32 exec_lo, exec_lo, s7
	s_and_saveexec_b32 s7, s34
	s_cbranch_execnz .LBB11_35
.LBB11_23:                              ;   in Loop: Header=BB11_13 Depth=1
	s_or_b32 exec_lo, exec_lo, s7
	s_and_saveexec_b32 s7, s35
	s_cbranch_execnz .LBB11_36
.LBB11_24:                              ;   in Loop: Header=BB11_13 Depth=1
	s_or_b32 exec_lo, exec_lo, s7
	v_add_nc_u32_e32 v22, v5, v10
	s_and_saveexec_b32 s7, s36
	s_cbranch_execnz .LBB11_37
.LBB11_25:                              ;   in Loop: Header=BB11_13 Depth=1
	s_or_b32 exec_lo, exec_lo, s7
	s_and_saveexec_b32 s7, s37
	s_cbranch_execnz .LBB11_38
.LBB11_26:                              ;   in Loop: Header=BB11_13 Depth=1
	s_or_b32 exec_lo, exec_lo, s7
	s_and_saveexec_b32 s7, s38
	s_cbranch_execnz .LBB11_39
.LBB11_27:                              ;   in Loop: Header=BB11_13 Depth=1
	s_or_b32 exec_lo, exec_lo, s7
	s_and_saveexec_b32 s7, s39
	s_cbranch_execnz .LBB11_40
.LBB11_28:                              ;   in Loop: Header=BB11_13 Depth=1
	s_or_b32 exec_lo, exec_lo, s7
	v_add_nc_u32_e32 v21, v5, v11
	s_and_saveexec_b32 s7, s4
	s_cbranch_execnz .LBB11_41
.LBB11_29:                              ;   in Loop: Header=BB11_13 Depth=1
	s_or_b32 exec_lo, exec_lo, s7
	s_and_saveexec_b32 s7, s5
	s_cbranch_execnz .LBB11_42
.LBB11_30:                              ;   in Loop: Header=BB11_13 Depth=1
	s_or_b32 exec_lo, exec_lo, s7
	s_and_saveexec_b32 s7, s6
	s_cbranch_execnz .LBB11_43
.LBB11_31:                              ;   in Loop: Header=BB11_13 Depth=1
	s_or_b32 exec_lo, exec_lo, s7
	s_and_saveexec_b32 s7, s1
	s_cbranch_execz .LBB11_12
	s_branch .LBB11_44
.LBB11_32:                              ;   in Loop: Header=BB11_13 Depth=1
	v_add3_u32 v23, v5, v12, 0x60
	v_cndmask_b32_e32 v23, v20, v23, vcc_lo
	v_ashrrev_i32_e32 v24, 31, v23
	v_lshlrev_b64 v[23:24], 2, v[23:24]
	v_add_co_u32 v23, s0, s14, v23
	v_add_co_ci_u32_e64 v24, null, s15, v24, s0
	global_load_dword v27, v[23:24], off
	v_add3_u32 v23, v5, v15, 0x60
	v_ashrrev_i32_e32 v24, 31, v23
	v_lshlrev_b64 v[23:24], 2, v[23:24]
	v_add_co_u32 v25, s0, s16, v23
	v_add_co_ci_u32_e64 v26, null, s17, v24, s0
	v_add_co_u32 v23, s0, s12, v23
	v_add_co_ci_u32_e64 v24, null, s13, v24, s0
	global_store_dword v[25:26], v19, off
	s_waitcnt vmcnt(0)
	global_store_dword v[23:24], v27, off
	s_or_b32 exec_lo, exec_lo, s7
	v_add_nc_u32_e32 v23, v5, v9
	s_and_saveexec_b32 s7, s31
	s_cbranch_execz .LBB11_21
.LBB11_33:                              ;   in Loop: Header=BB11_13 Depth=1
	v_add3_u32 v24, v3, s26, 32
	v_cndmask_b32_e32 v24, v24, v23, vcc_lo
	v_ashrrev_i32_e32 v25, 31, v24
	v_lshlrev_b64 v[24:25], 2, v[24:25]
	v_add_co_u32 v24, s0, s14, v24
	v_add_co_ci_u32_e64 v25, null, s15, v25, s0
	global_load_dword v28, v[24:25], off
	v_add_nc_u32_e32 v24, v5, v4
	v_ashrrev_i32_e32 v25, 31, v24
	v_lshlrev_b64 v[24:25], 2, v[24:25]
	v_add_co_u32 v26, s0, s16, v24
	v_add_co_ci_u32_e64 v27, null, s17, v25, s0
	v_add_co_u32 v24, s0, s12, v24
	v_add_co_ci_u32_e64 v25, null, s13, v25, s0
	global_store_dword v[26:27], v16, off
	s_waitcnt vmcnt(0)
	global_store_dword v[24:25], v28, off
	s_or_b32 exec_lo, exec_lo, s7
	s_and_saveexec_b32 s7, s33
	s_cbranch_execz .LBB11_22
.LBB11_34:                              ;   in Loop: Header=BB11_13 Depth=1
	v_cndmask_b32_e32 v22, v22, v23, vcc_lo
	v_add_nc_u32_e32 v22, 32, v22
	v_ashrrev_i32_e32 v23, 31, v22
	v_lshlrev_b64 v[22:23], 2, v[22:23]
	v_add_co_u32 v22, s0, s14, v22
	v_add_co_ci_u32_e64 v23, null, s15, v23, s0
	global_load_dword v26, v[22:23], off
	v_add3_u32 v22, v5, v4, 32
	v_ashrrev_i32_e32 v23, 31, v22
	v_lshlrev_b64 v[22:23], 2, v[22:23]
	v_add_co_u32 v24, s0, s16, v22
	v_add_co_ci_u32_e64 v25, null, s17, v23, s0
	v_add_co_u32 v22, s0, s12, v22
	v_add_co_ci_u32_e64 v23, null, s13, v23, s0
	global_store_dword v[24:25], v17, off
	s_waitcnt vmcnt(0)
	global_store_dword v[22:23], v26, off
	s_or_b32 exec_lo, exec_lo, s7
	s_and_saveexec_b32 s7, s34
	s_cbranch_execz .LBB11_23
.LBB11_35:                              ;   in Loop: Header=BB11_13 Depth=1
	v_add3_u32 v22, v5, v9, 64
	v_add3_u32 v23, v1, s26, 32
	v_cndmask_b32_e32 v22, v23, v22, vcc_lo
	v_ashrrev_i32_e32 v23, 31, v22
	v_lshlrev_b64 v[22:23], 2, v[22:23]
	v_add_co_u32 v22, s0, s14, v22
	v_add_co_ci_u32_e64 v23, null, s15, v23, s0
	global_load_dword v26, v[22:23], off
	v_add3_u32 v22, v5, v4, 64
	v_ashrrev_i32_e32 v23, 31, v22
	v_lshlrev_b64 v[22:23], 2, v[22:23]
	v_add_co_u32 v24, s0, s16, v22
	v_add_co_ci_u32_e64 v25, null, s17, v23, s0
	v_add_co_u32 v22, s0, s12, v22
	v_add_co_ci_u32_e64 v23, null, s13, v23, s0
	global_store_dword v[24:25], v18, off
	s_waitcnt vmcnt(0)
	global_store_dword v[22:23], v26, off
	s_or_b32 exec_lo, exec_lo, s7
	s_and_saveexec_b32 s7, s35
	s_cbranch_execz .LBB11_24
.LBB11_36:                              ;   in Loop: Header=BB11_13 Depth=1
	v_add3_u32 v22, v5, v9, 0x60
	v_add3_u32 v23, v0, s26, 32
	v_cndmask_b32_e32 v22, v23, v22, vcc_lo
	v_ashrrev_i32_e32 v23, 31, v22
	v_lshlrev_b64 v[22:23], 2, v[22:23]
	v_add_co_u32 v22, s0, s14, v22
	v_add_co_ci_u32_e64 v23, null, s15, v23, s0
	global_load_dword v26, v[22:23], off
	v_add3_u32 v22, v5, v4, 0x60
	v_ashrrev_i32_e32 v23, 31, v22
	v_lshlrev_b64 v[22:23], 2, v[22:23]
	v_add_co_u32 v24, s0, s16, v22
	v_add_co_ci_u32_e64 v25, null, s17, v23, s0
	v_add_co_u32 v22, s0, s12, v22
	v_add_co_ci_u32_e64 v23, null, s13, v23, s0
	global_store_dword v[24:25], v19, off
	s_waitcnt vmcnt(0)
	global_store_dword v[22:23], v26, off
	s_or_b32 exec_lo, exec_lo, s7
	v_add_nc_u32_e32 v22, v5, v10
	s_and_saveexec_b32 s7, s36
	s_cbranch_execz .LBB11_25
.LBB11_37:                              ;   in Loop: Header=BB11_13 Depth=1
	v_add3_u32 v23, v3, s26, 64
	v_cndmask_b32_e32 v23, v23, v22, vcc_lo
	v_ashrrev_i32_e32 v24, 31, v23
	v_lshlrev_b64 v[23:24], 2, v[23:24]
	v_add_co_u32 v23, s0, s14, v23
	v_add_co_ci_u32_e64 v24, null, s15, v24, s0
	global_load_dword v27, v[23:24], off
	v_add_nc_u32_e32 v23, v5, v13
	v_ashrrev_i32_e32 v24, 31, v23
	v_lshlrev_b64 v[23:24], 2, v[23:24]
	v_add_co_u32 v25, s0, s16, v23
	v_add_co_ci_u32_e64 v26, null, s17, v24, s0
	v_add_co_u32 v23, s0, s12, v23
	v_add_co_ci_u32_e64 v24, null, s13, v24, s0
	global_store_dword v[25:26], v16, off
	s_waitcnt vmcnt(0)
	global_store_dword v[23:24], v27, off
	s_or_b32 exec_lo, exec_lo, s7
	s_and_saveexec_b32 s7, s37
	s_cbranch_execz .LBB11_26
.LBB11_38:                              ;   in Loop: Header=BB11_13 Depth=1
	v_add3_u32 v23, v5, v10, 32
	v_add3_u32 v24, v2, s26, 64
	v_cndmask_b32_e32 v23, v24, v23, vcc_lo
	v_ashrrev_i32_e32 v24, 31, v23
	v_lshlrev_b64 v[23:24], 2, v[23:24]
	v_add_co_u32 v23, s0, s14, v23
	v_add_co_ci_u32_e64 v24, null, s15, v24, s0
	global_load_dword v27, v[23:24], off
	v_add3_u32 v23, v5, v13, 32
	v_ashrrev_i32_e32 v24, 31, v23
	v_lshlrev_b64 v[23:24], 2, v[23:24]
	v_add_co_u32 v25, s0, s16, v23
	v_add_co_ci_u32_e64 v26, null, s17, v24, s0
	v_add_co_u32 v23, s0, s12, v23
	v_add_co_ci_u32_e64 v24, null, s13, v24, s0
	global_store_dword v[25:26], v17, off
	s_waitcnt vmcnt(0)
	global_store_dword v[23:24], v27, off
	s_or_b32 exec_lo, exec_lo, s7
	s_and_saveexec_b32 s7, s38
	s_cbranch_execz .LBB11_27
.LBB11_39:                              ;   in Loop: Header=BB11_13 Depth=1
	v_cndmask_b32_e32 v21, v21, v22, vcc_lo
	v_add_nc_u32_e32 v21, 64, v21
	v_ashrrev_i32_e32 v22, 31, v21
	v_lshlrev_b64 v[21:22], 2, v[21:22]
	v_add_co_u32 v21, s0, s14, v21
	v_add_co_ci_u32_e64 v22, null, s15, v22, s0
	global_load_dword v25, v[21:22], off
	v_add3_u32 v21, v5, v13, 64
	v_ashrrev_i32_e32 v22, 31, v21
	v_lshlrev_b64 v[21:22], 2, v[21:22]
	v_add_co_u32 v23, s0, s16, v21
	v_add_co_ci_u32_e64 v24, null, s17, v22, s0
	v_add_co_u32 v21, s0, s12, v21
	v_add_co_ci_u32_e64 v22, null, s13, v22, s0
	global_store_dword v[23:24], v18, off
	s_waitcnt vmcnt(0)
	global_store_dword v[21:22], v25, off
	s_or_b32 exec_lo, exec_lo, s7
	s_and_saveexec_b32 s7, s39
	s_cbranch_execz .LBB11_28
.LBB11_40:                              ;   in Loop: Header=BB11_13 Depth=1
	v_add3_u32 v21, v5, v10, 0x60
	v_add3_u32 v22, v0, s26, 64
	v_cndmask_b32_e32 v21, v22, v21, vcc_lo
	v_ashrrev_i32_e32 v22, 31, v21
	v_lshlrev_b64 v[21:22], 2, v[21:22]
	v_add_co_u32 v21, s0, s14, v21
	v_add_co_ci_u32_e64 v22, null, s15, v22, s0
	global_load_dword v25, v[21:22], off
	v_add3_u32 v21, v5, v13, 0x60
	v_ashrrev_i32_e32 v22, 31, v21
	v_lshlrev_b64 v[21:22], 2, v[21:22]
	v_add_co_u32 v23, s0, s16, v21
	v_add_co_ci_u32_e64 v24, null, s17, v22, s0
	v_add_co_u32 v21, s0, s12, v21
	v_add_co_ci_u32_e64 v22, null, s13, v22, s0
	global_store_dword v[23:24], v19, off
	s_waitcnt vmcnt(0)
	global_store_dword v[21:22], v25, off
	s_or_b32 exec_lo, exec_lo, s7
	v_add_nc_u32_e32 v21, v5, v11
	s_and_saveexec_b32 s7, s4
	s_cbranch_execz .LBB11_29
.LBB11_41:                              ;   in Loop: Header=BB11_13 Depth=1
	v_add3_u32 v22, v3, s26, 0x60
	v_cndmask_b32_e32 v22, v22, v21, vcc_lo
	v_ashrrev_i32_e32 v23, 31, v22
	v_lshlrev_b64 v[22:23], 2, v[22:23]
	v_add_co_u32 v22, s0, s14, v22
	v_add_co_ci_u32_e64 v23, null, s15, v23, s0
	global_load_dword v26, v[22:23], off
	v_add_nc_u32_e32 v22, v5, v14
	v_ashrrev_i32_e32 v23, 31, v22
	v_lshlrev_b64 v[22:23], 2, v[22:23]
	v_add_co_u32 v24, s0, s16, v22
	v_add_co_ci_u32_e64 v25, null, s17, v23, s0
	v_add_co_u32 v22, s0, s12, v22
	v_add_co_ci_u32_e64 v23, null, s13, v23, s0
	global_store_dword v[24:25], v16, off
	s_waitcnt vmcnt(0)
	global_store_dword v[22:23], v26, off
	s_or_b32 exec_lo, exec_lo, s7
	s_and_saveexec_b32 s7, s5
	s_cbranch_execz .LBB11_30
.LBB11_42:                              ;   in Loop: Header=BB11_13 Depth=1
	v_add3_u32 v16, v5, v11, 32
	v_add3_u32 v22, v2, s26, 0x60
	v_cndmask_b32_e32 v22, v22, v16, vcc_lo
	v_ashrrev_i32_e32 v23, 31, v22
	v_lshlrev_b64 v[22:23], 2, v[22:23]
	v_add_co_u32 v22, s0, s14, v22
	v_add_co_ci_u32_e64 v23, null, s15, v23, s0
	global_load_dword v16, v[22:23], off
	v_add3_u32 v22, v5, v14, 32
	v_ashrrev_i32_e32 v23, 31, v22
	v_lshlrev_b64 v[22:23], 2, v[22:23]
	v_add_co_u32 v24, s0, s16, v22
	v_add_co_ci_u32_e64 v25, null, s17, v23, s0
	v_add_co_u32 v22, s0, s12, v22
	v_add_co_ci_u32_e64 v23, null, s13, v23, s0
	global_store_dword v[24:25], v17, off
	s_waitcnt vmcnt(0)
	global_store_dword v[22:23], v16, off
	s_or_b32 exec_lo, exec_lo, s7
	s_and_saveexec_b32 s7, s6
	s_cbranch_execz .LBB11_31
.LBB11_43:                              ;   in Loop: Header=BB11_13 Depth=1
	v_add3_u32 v16, v5, v11, 64
	v_add3_u32 v17, v1, s26, 0x60
	v_cndmask_b32_e32 v16, v17, v16, vcc_lo
	v_ashrrev_i32_e32 v17, 31, v16
	v_lshlrev_b64 v[16:17], 2, v[16:17]
	v_add_co_u32 v16, s0, s14, v16
	v_add_co_ci_u32_e64 v17, null, s15, v17, s0
	global_load_dword v24, v[16:17], off
	v_add3_u32 v16, v5, v14, 64
	v_ashrrev_i32_e32 v17, 31, v16
	v_lshlrev_b64 v[16:17], 2, v[16:17]
	v_add_co_u32 v22, s0, s16, v16
	v_add_co_ci_u32_e64 v23, null, s17, v17, s0
	v_add_co_u32 v16, s0, s12, v16
	v_add_co_ci_u32_e64 v17, null, s13, v17, s0
	global_store_dword v[22:23], v18, off
	s_waitcnt vmcnt(0)
	global_store_dword v[16:17], v24, off
	s_or_b32 exec_lo, exec_lo, s7
	s_and_saveexec_b32 s7, s1
	s_cbranch_execz .LBB11_12
.LBB11_44:                              ;   in Loop: Header=BB11_13 Depth=1
	v_cndmask_b32_e32 v16, v20, v21, vcc_lo
	v_add_nc_u32_e32 v16, 0x60, v16
	v_ashrrev_i32_e32 v17, 31, v16
	v_lshlrev_b64 v[16:17], 2, v[16:17]
	v_add_co_u32 v16, s0, s14, v16
	v_add_co_ci_u32_e64 v17, null, s15, v17, s0
	global_load_dword v18, v[16:17], off
	v_add3_u32 v16, v5, v14, 0x60
	v_ashrrev_i32_e32 v17, 31, v16
	v_lshlrev_b64 v[16:17], 2, v[16:17]
	v_add_co_u32 v20, s0, s16, v16
	v_add_co_ci_u32_e64 v21, null, s17, v17, s0
	v_add_co_u32 v16, s0, s12, v16
	v_add_co_ci_u32_e64 v17, null, s13, v17, s0
	global_store_dword v[20:21], v19, off
	s_waitcnt vmcnt(0)
	global_store_dword v[16:17], v18, off
	s_branch .LBB11_12
.LBB11_45:
	s_endpgm
	.section	.rodata,"a",@progbits
	.p2align	6, 0x0
	.amdhsa_kernel _ZN9rocsparseL35bsr2csr_block_per_row_33_256_kernelILj1024ELj128ELj32EiiiEEv20rocsparse_direction_T4_S2_21rocsparse_index_base_PKT2_PKT3_PKS2_S2_S3_PS4_PS7_PS2_
		.amdhsa_group_segment_fixed_size 0
		.amdhsa_private_segment_fixed_size 0
		.amdhsa_kernarg_size 72
		.amdhsa_user_sgpr_count 6
		.amdhsa_user_sgpr_private_segment_buffer 1
		.amdhsa_user_sgpr_dispatch_ptr 0
		.amdhsa_user_sgpr_queue_ptr 0
		.amdhsa_user_sgpr_kernarg_segment_ptr 1
		.amdhsa_user_sgpr_dispatch_id 0
		.amdhsa_user_sgpr_flat_scratch_init 0
		.amdhsa_user_sgpr_private_segment_size 0
		.amdhsa_wavefront_size32 1
		.amdhsa_uses_dynamic_stack 0
		.amdhsa_system_sgpr_private_segment_wavefront_offset 0
		.amdhsa_system_sgpr_workgroup_id_x 1
		.amdhsa_system_sgpr_workgroup_id_y 0
		.amdhsa_system_sgpr_workgroup_id_z 0
		.amdhsa_system_sgpr_workgroup_info 0
		.amdhsa_system_vgpr_workitem_id 0
		.amdhsa_next_free_vgpr 29
		.amdhsa_next_free_sgpr 40
		.amdhsa_reserve_vcc 1
		.amdhsa_reserve_flat_scratch 0
		.amdhsa_float_round_mode_32 0
		.amdhsa_float_round_mode_16_64 0
		.amdhsa_float_denorm_mode_32 3
		.amdhsa_float_denorm_mode_16_64 3
		.amdhsa_dx10_clamp 1
		.amdhsa_ieee_mode 1
		.amdhsa_fp16_overflow 0
		.amdhsa_workgroup_processor_mode 1
		.amdhsa_memory_ordered 1
		.amdhsa_forward_progress 1
		.amdhsa_shared_vgpr_count 0
		.amdhsa_exception_fp_ieee_invalid_op 0
		.amdhsa_exception_fp_denorm_src 0
		.amdhsa_exception_fp_ieee_div_zero 0
		.amdhsa_exception_fp_ieee_overflow 0
		.amdhsa_exception_fp_ieee_underflow 0
		.amdhsa_exception_fp_ieee_inexact 0
		.amdhsa_exception_int_div_zero 0
	.end_amdhsa_kernel
	.section	.text._ZN9rocsparseL35bsr2csr_block_per_row_33_256_kernelILj1024ELj128ELj32EiiiEEv20rocsparse_direction_T4_S2_21rocsparse_index_base_PKT2_PKT3_PKS2_S2_S3_PS4_PS7_PS2_,"axG",@progbits,_ZN9rocsparseL35bsr2csr_block_per_row_33_256_kernelILj1024ELj128ELj32EiiiEEv20rocsparse_direction_T4_S2_21rocsparse_index_base_PKT2_PKT3_PKS2_S2_S3_PS4_PS7_PS2_,comdat
.Lfunc_end11:
	.size	_ZN9rocsparseL35bsr2csr_block_per_row_33_256_kernelILj1024ELj128ELj32EiiiEEv20rocsparse_direction_T4_S2_21rocsparse_index_base_PKT2_PKT3_PKS2_S2_S3_PS4_PS7_PS2_, .Lfunc_end11-_ZN9rocsparseL35bsr2csr_block_per_row_33_256_kernelILj1024ELj128ELj32EiiiEEv20rocsparse_direction_T4_S2_21rocsparse_index_base_PKT2_PKT3_PKS2_S2_S3_PS4_PS7_PS2_
                                        ; -- End function
	.set _ZN9rocsparseL35bsr2csr_block_per_row_33_256_kernelILj1024ELj128ELj32EiiiEEv20rocsparse_direction_T4_S2_21rocsparse_index_base_PKT2_PKT3_PKS2_S2_S3_PS4_PS7_PS2_.num_vgpr, 29
	.set _ZN9rocsparseL35bsr2csr_block_per_row_33_256_kernelILj1024ELj128ELj32EiiiEEv20rocsparse_direction_T4_S2_21rocsparse_index_base_PKT2_PKT3_PKS2_S2_S3_PS4_PS7_PS2_.num_agpr, 0
	.set _ZN9rocsparseL35bsr2csr_block_per_row_33_256_kernelILj1024ELj128ELj32EiiiEEv20rocsparse_direction_T4_S2_21rocsparse_index_base_PKT2_PKT3_PKS2_S2_S3_PS4_PS7_PS2_.numbered_sgpr, 40
	.set _ZN9rocsparseL35bsr2csr_block_per_row_33_256_kernelILj1024ELj128ELj32EiiiEEv20rocsparse_direction_T4_S2_21rocsparse_index_base_PKT2_PKT3_PKS2_S2_S3_PS4_PS7_PS2_.num_named_barrier, 0
	.set _ZN9rocsparseL35bsr2csr_block_per_row_33_256_kernelILj1024ELj128ELj32EiiiEEv20rocsparse_direction_T4_S2_21rocsparse_index_base_PKT2_PKT3_PKS2_S2_S3_PS4_PS7_PS2_.private_seg_size, 0
	.set _ZN9rocsparseL35bsr2csr_block_per_row_33_256_kernelILj1024ELj128ELj32EiiiEEv20rocsparse_direction_T4_S2_21rocsparse_index_base_PKT2_PKT3_PKS2_S2_S3_PS4_PS7_PS2_.uses_vcc, 1
	.set _ZN9rocsparseL35bsr2csr_block_per_row_33_256_kernelILj1024ELj128ELj32EiiiEEv20rocsparse_direction_T4_S2_21rocsparse_index_base_PKT2_PKT3_PKS2_S2_S3_PS4_PS7_PS2_.uses_flat_scratch, 0
	.set _ZN9rocsparseL35bsr2csr_block_per_row_33_256_kernelILj1024ELj128ELj32EiiiEEv20rocsparse_direction_T4_S2_21rocsparse_index_base_PKT2_PKT3_PKS2_S2_S3_PS4_PS7_PS2_.has_dyn_sized_stack, 0
	.set _ZN9rocsparseL35bsr2csr_block_per_row_33_256_kernelILj1024ELj128ELj32EiiiEEv20rocsparse_direction_T4_S2_21rocsparse_index_base_PKT2_PKT3_PKS2_S2_S3_PS4_PS7_PS2_.has_recursion, 0
	.set _ZN9rocsparseL35bsr2csr_block_per_row_33_256_kernelILj1024ELj128ELj32EiiiEEv20rocsparse_direction_T4_S2_21rocsparse_index_base_PKT2_PKT3_PKS2_S2_S3_PS4_PS7_PS2_.has_indirect_call, 0
	.section	.AMDGPU.csdata,"",@progbits
; Kernel info:
; codeLenInByte = 3344
; TotalNumSgprs: 42
; NumVgprs: 29
; ScratchSize: 0
; MemoryBound: 0
; FloatMode: 240
; IeeeMode: 1
; LDSByteSize: 0 bytes/workgroup (compile time only)
; SGPRBlocks: 0
; VGPRBlocks: 3
; NumSGPRsForWavesPerEU: 42
; NumVGPRsForWavesPerEU: 29
; Occupancy: 16
; WaveLimiterHint : 1
; COMPUTE_PGM_RSRC2:SCRATCH_EN: 0
; COMPUTE_PGM_RSRC2:USER_SGPR: 6
; COMPUTE_PGM_RSRC2:TRAP_HANDLER: 0
; COMPUTE_PGM_RSRC2:TGID_X_EN: 1
; COMPUTE_PGM_RSRC2:TGID_Y_EN: 0
; COMPUTE_PGM_RSRC2:TGID_Z_EN: 0
; COMPUTE_PGM_RSRC2:TIDIG_COMP_CNT: 0
	.section	.text._ZN9rocsparseL35bsr2csr_block_per_row_33_256_kernelILj1024ELj256ELj32EiiiEEv20rocsparse_direction_T4_S2_21rocsparse_index_base_PKT2_PKT3_PKS2_S2_S3_PS4_PS7_PS2_,"axG",@progbits,_ZN9rocsparseL35bsr2csr_block_per_row_33_256_kernelILj1024ELj256ELj32EiiiEEv20rocsparse_direction_T4_S2_21rocsparse_index_base_PKT2_PKT3_PKS2_S2_S3_PS4_PS7_PS2_,comdat
	.globl	_ZN9rocsparseL35bsr2csr_block_per_row_33_256_kernelILj1024ELj256ELj32EiiiEEv20rocsparse_direction_T4_S2_21rocsparse_index_base_PKT2_PKT3_PKS2_S2_S3_PS4_PS7_PS2_ ; -- Begin function _ZN9rocsparseL35bsr2csr_block_per_row_33_256_kernelILj1024ELj256ELj32EiiiEEv20rocsparse_direction_T4_S2_21rocsparse_index_base_PKT2_PKT3_PKS2_S2_S3_PS4_PS7_PS2_
	.p2align	8
	.type	_ZN9rocsparseL35bsr2csr_block_per_row_33_256_kernelILj1024ELj256ELj32EiiiEEv20rocsparse_direction_T4_S2_21rocsparse_index_base_PKT2_PKT3_PKS2_S2_S3_PS4_PS7_PS2_,@function
_ZN9rocsparseL35bsr2csr_block_per_row_33_256_kernelILj1024ELj256ELj32EiiiEEv20rocsparse_direction_T4_S2_21rocsparse_index_base_PKT2_PKT3_PKS2_S2_S3_PS4_PS7_PS2_: ; @_ZN9rocsparseL35bsr2csr_block_per_row_33_256_kernelILj1024ELj256ELj32EiiiEEv20rocsparse_direction_T4_S2_21rocsparse_index_base_PKT2_PKT3_PKS2_S2_S3_PS4_PS7_PS2_
; %bb.0:
	s_load_dwordx2 s[0:1], s[4:5], 0x18
	s_ashr_i32 s7, s6, 31
	s_clause 0x1
	s_load_dwordx2 s[16:17], s[4:5], 0x28
	s_load_dwordx2 s[10:11], s[4:5], 0x38
	s_lshl_b64 s[2:3], s[6:7], 2
	v_or_b32_e32 v1, s6, v0
	s_waitcnt lgkmcnt(0)
	s_add_u32 s0, s0, s2
	s_addc_u32 s1, s1, s3
	s_load_dwordx2 s[26:27], s[0:1], 0x0
	s_mov_b32 s0, exec_lo
	v_cmpx_eq_u32_e32 0, v1
	s_cbranch_execz .LBB12_2
; %bb.1:
	v_mov_b32_e32 v1, 0
	v_mov_b32_e32 v2, s17
	global_store_dword v1, v2, s[10:11]
.LBB12_2:
	s_or_b32 exec_lo, exec_lo, s0
	s_load_dword s29, s[4:5], 0xc
	v_lshrrev_b32_e32 v13, 5, v0
	s_mul_i32 s14, s16, s6
	v_cmp_gt_i32_e64 s0, s16, v13
	s_waitcnt lgkmcnt(0)
	s_sub_i32 s18, s26, s29
	s_sub_i32 s33, s27, s29
	s_mul_i32 s28, s16, s18
	s_sub_i32 s19, s33, s18
	s_mul_i32 s1, s28, s16
	s_mul_i32 s13, s19, s16
	s_add_i32 s1, s1, s17
	s_add_i32 s12, s1, s13
	s_and_saveexec_b32 s1, s0
	s_cbranch_execz .LBB12_4
; %bb.3:
	v_add_nc_u32_e32 v1, s14, v13
	v_mad_u64_u32 v[3:4], null, v13, s13, s[12:13]
	v_ashrrev_i32_e32 v2, 31, v1
	v_lshlrev_b64 v[1:2], 2, v[1:2]
	v_add_co_u32 v1, vcc_lo, s10, v1
	v_add_co_ci_u32_e64 v2, null, s11, v2, vcc_lo
	global_store_dword v[1:2], v3, off offset:4
.LBB12_4:
	s_or_b32 exec_lo, exec_lo, s1
	v_or_b32_e32 v1, 32, v13
	v_cmp_gt_i32_e64 s1, s16, v1
	s_and_saveexec_b32 s2, s1
	s_cbranch_execz .LBB12_6
; %bb.5:
	s_ashr_i32 s3, s14, 31
	v_add_co_u32 v2, s6, v13, s14
	v_add_co_ci_u32_e64 v3, null, 0, s3, s6
	v_mad_u64_u32 v[4:5], null, v1, s13, s[12:13]
	v_lshlrev_b64 v[2:3], 2, v[2:3]
	v_add_co_u32 v1, vcc_lo, s10, v2
	v_add_co_ci_u32_e64 v2, null, s11, v3, vcc_lo
	global_store_dword v[1:2], v4, off offset:132
.LBB12_6:
	s_or_b32 exec_lo, exec_lo, s2
	v_or_b32_e32 v1, 64, v13
	v_cmp_gt_i32_e64 s3, s16, v1
	s_and_saveexec_b32 s2, s3
	s_cbranch_execz .LBB12_8
; %bb.7:
	s_ashr_i32 s6, s14, 31
	v_add_co_u32 v2, s7, v13, s14
	v_add_co_ci_u32_e64 v3, null, 0, s6, s7
	v_mad_u64_u32 v[4:5], null, v1, s13, s[12:13]
	v_lshlrev_b64 v[2:3], 2, v[2:3]
	v_add_co_u32 v1, vcc_lo, s10, v2
	v_add_co_ci_u32_e64 v2, null, s11, v3, vcc_lo
	global_store_dword v[1:2], v4, off offset:260
.LBB12_8:
	s_or_b32 exec_lo, exec_lo, s2
	v_or_b32_e32 v1, 0x60, v13
	v_cmp_gt_i32_e64 s6, s16, v1
	s_and_saveexec_b32 s2, s6
	s_cbranch_execz .LBB12_10
; %bb.9:
	s_ashr_i32 s7, s14, 31
	v_add_co_u32 v2, s8, v13, s14
	v_add_co_ci_u32_e64 v3, null, 0, s7, s8
	v_mad_u64_u32 v[4:5], null, v1, s13, s[12:13]
	v_lshlrev_b64 v[2:3], 2, v[2:3]
	v_add_co_u32 v1, vcc_lo, s10, v2
	v_add_co_ci_u32_e64 v2, null, s11, v3, vcc_lo
	global_store_dword v[1:2], v4, off offset:388
.LBB12_10:
	s_or_b32 exec_lo, exec_lo, s2
	v_or_b32_e32 v1, 0x80, v13
	v_cmp_gt_i32_e64 s7, s16, v1
	s_and_saveexec_b32 s2, s7
	s_cbranch_execz .LBB12_12
; %bb.11:
	s_ashr_i32 s8, s14, 31
	v_add_co_u32 v2, s9, v13, s14
	v_add_co_ci_u32_e64 v3, null, 0, s8, s9
	v_mad_u64_u32 v[4:5], null, v1, s13, s[12:13]
	v_lshlrev_b64 v[2:3], 2, v[2:3]
	v_add_co_u32 v1, vcc_lo, s10, v2
	v_add_co_ci_u32_e64 v2, null, s11, v3, vcc_lo
	global_store_dword v[1:2], v4, off offset:516
.LBB12_12:
	s_or_b32 exec_lo, exec_lo, s2
	v_or_b32_e32 v1, 0xa0, v13
	v_cmp_gt_i32_e64 s8, s16, v1
	s_and_saveexec_b32 s2, s8
	s_cbranch_execz .LBB12_14
; %bb.13:
	s_ashr_i32 s9, s14, 31
	v_add_co_u32 v2, s15, v13, s14
	v_add_co_ci_u32_e64 v3, null, 0, s9, s15
	v_mad_u64_u32 v[4:5], null, v1, s13, s[12:13]
	v_lshlrev_b64 v[2:3], 2, v[2:3]
	v_add_co_u32 v1, vcc_lo, s10, v2
	v_add_co_ci_u32_e64 v2, null, s11, v3, vcc_lo
	global_store_dword v[1:2], v4, off offset:644
.LBB12_14:
	s_or_b32 exec_lo, exec_lo, s2
	v_or_b32_e32 v1, 0xc0, v13
	v_cmp_gt_i32_e64 s9, s16, v1
	s_and_saveexec_b32 s2, s9
	s_cbranch_execz .LBB12_16
; %bb.15:
	s_ashr_i32 s15, s14, 31
	v_add_co_u32 v2, s20, v13, s14
	v_add_co_ci_u32_e64 v3, null, 0, s15, s20
	v_mad_u64_u32 v[4:5], null, v1, s13, s[12:13]
	v_lshlrev_b64 v[2:3], 2, v[2:3]
	v_add_co_u32 v1, vcc_lo, s10, v2
	v_add_co_ci_u32_e64 v2, null, s11, v3, vcc_lo
	global_store_dword v[1:2], v4, off offset:772
.LBB12_16:
	s_or_b32 exec_lo, exec_lo, s2
	v_or_b32_e32 v1, 0xe0, v13
	v_cmp_gt_i32_e64 s2, s16, v1
	s_and_saveexec_b32 s15, s2
	s_cbranch_execz .LBB12_18
; %bb.17:
	s_ashr_i32 s20, s14, 31
	v_add_co_u32 v2, s14, v13, s14
	v_add_co_ci_u32_e64 v3, null, 0, s20, s14
	v_mad_u64_u32 v[4:5], null, v1, s13, s[12:13]
	v_lshlrev_b64 v[2:3], 2, v[2:3]
	v_add_co_u32 v1, vcc_lo, s10, v2
	v_add_co_ci_u32_e64 v2, null, s11, v3, vcc_lo
	global_store_dword v[1:2], v4, off offset:900
.LBB12_18:
	s_or_b32 exec_lo, exec_lo, s15
	s_cmp_lt_i32 s26, s27
	s_cbranch_scc0 .LBB12_149
; %bb.19:
	v_and_b32_e32 v0, 31, v0
	v_add_nc_u32_e32 v17, s28, v13
	s_clause 0x3
	s_load_dwordx2 s[30:31], s[4:5], 0x20
	s_load_dwordx2 s[20:21], s[4:5], 0x30
	s_load_dword s11, s[4:5], 0x0
	s_load_dwordx2 s[22:23], s[4:5], 0x10
	v_mad_u64_u32 v[31:32], null, v13, s19, s[28:29]
	v_add_nc_u32_e32 v9, s28, v0
	v_mad_u64_u32 v[1:2], null, s16, v17, v[0:1]
	v_add_nc_u32_e32 v12, 32, v17
	v_or_b32_e32 v18, 32, v0
	v_mad_u64_u32 v[2:3], null, s16, v9, v[13:14]
	v_add_nc_u32_e32 v3, 0xe0, v9
	v_add_nc_u32_e32 v5, 0xc0, v9
	;; [unrolled: 1-line block ×5, first 2 shown]
	v_mad_u64_u32 v[3:4], null, s16, v3, v[13:14]
	v_add_nc_u32_e32 v10, 64, v9
	v_mad_u64_u32 v[4:5], null, s16, v5, v[13:14]
	v_mad_u64_u32 v[5:6], null, s16, v6, v[13:14]
	;; [unrolled: 1-line block ×4, first 2 shown]
	v_add_nc_u32_e32 v11, 32, v9
	v_mad_u64_u32 v[8:9], null, s16, v10, v[13:14]
	v_add_nc_u32_e32 v14, 64, v17
	v_or_b32_e32 v19, 64, v0
	v_or_b32_e32 v20, 0x60, v0
	v_or_b32_e32 v21, 0x80, v0
	v_or_b32_e32 v22, 0xa0, v0
	v_mad_u64_u32 v[9:10], null, s16, v11, v[13:14]
	v_mad_u64_u32 v[10:11], null, s16, v12, v[0:1]
	v_mad_u64_u32 v[11:12], null, s16, v14, v[0:1]
	v_add_nc_u32_e32 v12, 0x60, v17
	v_add_nc_u32_e32 v14, 0x80, v17
	v_or_b32_e32 v23, 0xc0, v0
	v_or_b32_e32 v24, 0xe0, v0
	v_mad_u64_u32 v[25:26], null, 0xe0, s27, v[31:32]
	v_mad_u64_u32 v[12:13], null, s16, v12, v[0:1]
	;; [unrolled: 1-line block ×3, first 2 shown]
	v_add_nc_u32_e32 v14, 0xa0, v17
	v_mad_u64_u32 v[26:27], null, 0xc0, s27, v[31:32]
	s_load_dwordx2 s[24:25], s[4:5], 0x40
	v_cmp_gt_i32_e64 s4, s16, v0
	v_cmp_gt_i32_e64 s5, s16, v18
	;; [unrolled: 1-line block ×3, first 2 shown]
	s_waitcnt lgkmcnt(0)
	s_cmp_eq_u32 s11, 0
	v_cmp_gt_i32_e64 s11, s16, v20
	v_cmp_gt_i32_e64 s12, s16, v21
	;; [unrolled: 1-line block ×5, first 2 shown]
	v_add_nc_u32_e32 v16, 0xc0, v17
	v_mad_u64_u32 v[14:15], null, s16, v14, v[0:1]
	s_cselect_b32 vcc_lo, -1, 0
	s_and_b32 s36, s0, s4
	s_and_b32 s37, s0, s5
	s_and_b32 s38, s0, s10
	s_and_b32 s39, s0, s11
	s_and_b32 s40, s0, s12
	s_and_b32 s41, s0, s13
	s_and_b32 s42, s0, s14
	s_and_b32 s43, s0, s15
	s_and_b32 s51, s3, s4
	s_and_b32 s52, s3, s5
	s_and_b32 s53, s3, s10
	s_and_b32 s54, s3, s11
	s_and_b32 s55, s3, s12
	s_and_b32 s56, s3, s13
	s_and_b32 s57, s3, s14
	s_and_b32 s58, s3, s15
	v_mad_u64_u32 v[15:16], null, s16, v16, v[0:1]
	s_mul_i32 s0, s26, 0xe0
	s_mul_i32 s3, s26, 0xc0
	v_add_nc_u32_e32 v16, 0xe0, v17
	v_subrev_nc_u32_e32 v25, s0, v25
	v_subrev_nc_u32_e32 v28, s3, v26
	v_mad_u64_u32 v[26:27], null, 0xa0, s27, v[31:32]
	v_mad_u64_u32 v[16:17], null, s16, v16, v[0:1]
	v_mul_lo_u32 v17, s16, v25
	v_mul_lo_u32 v25, s16, v28
	v_lshl_add_u32 v29, s27, 7, v31
	v_mad_u64_u32 v[27:28], null, 0x60, s27, v[31:32]
	s_lshl_b32 s3, s26, 7
	s_mul_i32 s0, s26, 0xa0
	v_subrev_nc_u32_e32 v28, s3, v29
	v_lshl_add_u32 v29, s27, 6, v31
	v_lshl_add_u32 v30, s27, 5, v31
	v_subrev_nc_u32_e32 v26, s0, v26
	s_mul_i32 s0, s26, 0x60
	s_lshl_b32 s3, s26, 5
	v_subrev_nc_u32_e32 v32, s0, v27
	s_lshl_b32 s0, s26, 6
	v_subrev_nc_u32_e32 v30, s3, v30
	v_subrev_nc_u32_e32 v29, s0, v29
	v_mul_lo_u32 v26, s16, v26
	v_mul_lo_u32 v27, s16, v28
	;; [unrolled: 1-line block ×6, first 2 shown]
	s_ashr_i32 s19, s18, 31
	v_cndmask_b32_e32 v32, v2, v1, vcc_lo
	s_lshl_b64 s[26:27], s[18:19], 2
	s_and_b32 s44, s1, s4
	s_and_b32 s45, s1, s5
	;; [unrolled: 1-line block ×48, first 2 shown]
	s_add_u32 s2, s30, s26
	s_mul_i32 s34, s16, s16
	s_mov_b32 s35, 0
	s_addc_u32 s3, s31, s27
	s_branch .LBB12_21
.LBB12_20:                              ;   in Loop: Header=BB12_21 Depth=1
	s_or_b32 exec_lo, exec_lo, s19
	s_add_i32 s18, s18, 1
	s_add_i32 s35, s35, s34
	v_add_nc_u32_e32 v17, s16, v17
	v_add_nc_u32_e32 v25, s16, v25
	;; [unrolled: 1-line block ×8, first 2 shown]
	s_add_u32 s2, s2, 4
	s_addc_u32 s3, s3, 0
	s_cmp_ge_i32 s18, s33
	s_cbranch_scc1 .LBB12_149
.LBB12_21:                              ; =>This Inner Loop Header: Depth=1
	s_load_dword s0, s[2:3], 0x0
	s_waitcnt lgkmcnt(0)
	s_sub_i32 s0, s0, s29
	s_mul_i32 s19, s0, s16
	s_add_i32 s19, s19, s17
	v_add_nc_u32_e32 v34, s19, v0
	s_and_saveexec_b32 s26, s36
	s_cbranch_execnz .LBB12_85
; %bb.22:                               ;   in Loop: Header=BB12_21 Depth=1
	s_or_b32 exec_lo, exec_lo, s26
	v_add_nc_u32_e32 v33, s19, v18
	s_and_saveexec_b32 s26, s37
	s_cbranch_execnz .LBB12_86
.LBB12_23:                              ;   in Loop: Header=BB12_21 Depth=1
	s_or_b32 exec_lo, exec_lo, s26
	v_add_nc_u32_e32 v35, s19, v19
	s_and_saveexec_b32 s26, s38
	s_cbranch_execnz .LBB12_87
.LBB12_24:                              ;   in Loop: Header=BB12_21 Depth=1
	s_or_b32 exec_lo, exec_lo, s26
	v_add_nc_u32_e32 v36, s19, v20
	s_and_saveexec_b32 s26, s39
	s_cbranch_execnz .LBB12_88
.LBB12_25:                              ;   in Loop: Header=BB12_21 Depth=1
	s_or_b32 exec_lo, exec_lo, s26
	v_add_nc_u32_e32 v37, s19, v21
	s_and_saveexec_b32 s26, s40
	s_cbranch_execnz .LBB12_89
.LBB12_26:                              ;   in Loop: Header=BB12_21 Depth=1
	s_or_b32 exec_lo, exec_lo, s26
	v_add_nc_u32_e32 v38, s19, v22
	s_and_saveexec_b32 s26, s41
	s_cbranch_execnz .LBB12_90
.LBB12_27:                              ;   in Loop: Header=BB12_21 Depth=1
	s_or_b32 exec_lo, exec_lo, s26
	v_add_nc_u32_e32 v39, s19, v23
	s_and_saveexec_b32 s26, s42
	s_cbranch_execnz .LBB12_91
.LBB12_28:                              ;   in Loop: Header=BB12_21 Depth=1
	s_or_b32 exec_lo, exec_lo, s26
	v_add_nc_u32_e32 v40, s19, v24
	s_and_saveexec_b32 s19, s43
	s_cbranch_execnz .LBB12_92
.LBB12_29:                              ;   in Loop: Header=BB12_21 Depth=1
	s_or_b32 exec_lo, exec_lo, s19
	s_and_saveexec_b32 s19, s44
	s_cbranch_execnz .LBB12_93
.LBB12_30:                              ;   in Loop: Header=BB12_21 Depth=1
	s_or_b32 exec_lo, exec_lo, s19
	s_and_saveexec_b32 s19, s45
	s_cbranch_execnz .LBB12_94
.LBB12_31:                              ;   in Loop: Header=BB12_21 Depth=1
	s_or_b32 exec_lo, exec_lo, s19
	s_and_saveexec_b32 s19, s46
	s_cbranch_execnz .LBB12_95
.LBB12_32:                              ;   in Loop: Header=BB12_21 Depth=1
	s_or_b32 exec_lo, exec_lo, s19
	s_and_saveexec_b32 s19, s47
	s_cbranch_execnz .LBB12_96
.LBB12_33:                              ;   in Loop: Header=BB12_21 Depth=1
	s_or_b32 exec_lo, exec_lo, s19
	s_and_saveexec_b32 s19, s48
	s_cbranch_execnz .LBB12_97
.LBB12_34:                              ;   in Loop: Header=BB12_21 Depth=1
	s_or_b32 exec_lo, exec_lo, s19
	s_and_saveexec_b32 s19, s49
	s_cbranch_execnz .LBB12_98
.LBB12_35:                              ;   in Loop: Header=BB12_21 Depth=1
	s_or_b32 exec_lo, exec_lo, s19
	s_and_saveexec_b32 s19, s50
	s_cbranch_execnz .LBB12_99
.LBB12_36:                              ;   in Loop: Header=BB12_21 Depth=1
	s_or_b32 exec_lo, exec_lo, s19
	s_and_saveexec_b32 s19, s1
	s_cbranch_execnz .LBB12_100
.LBB12_37:                              ;   in Loop: Header=BB12_21 Depth=1
	s_or_b32 exec_lo, exec_lo, s19
	s_and_saveexec_b32 s19, s51
	s_cbranch_execnz .LBB12_101
.LBB12_38:                              ;   in Loop: Header=BB12_21 Depth=1
	s_or_b32 exec_lo, exec_lo, s19
	s_and_saveexec_b32 s19, s52
	s_cbranch_execnz .LBB12_102
.LBB12_39:                              ;   in Loop: Header=BB12_21 Depth=1
	s_or_b32 exec_lo, exec_lo, s19
	s_and_saveexec_b32 s19, s53
	s_cbranch_execnz .LBB12_103
.LBB12_40:                              ;   in Loop: Header=BB12_21 Depth=1
	s_or_b32 exec_lo, exec_lo, s19
	s_and_saveexec_b32 s19, s54
	s_cbranch_execnz .LBB12_104
.LBB12_41:                              ;   in Loop: Header=BB12_21 Depth=1
	s_or_b32 exec_lo, exec_lo, s19
	s_and_saveexec_b32 s19, s55
	s_cbranch_execnz .LBB12_105
.LBB12_42:                              ;   in Loop: Header=BB12_21 Depth=1
	s_or_b32 exec_lo, exec_lo, s19
	s_and_saveexec_b32 s19, s56
	s_cbranch_execnz .LBB12_106
.LBB12_43:                              ;   in Loop: Header=BB12_21 Depth=1
	s_or_b32 exec_lo, exec_lo, s19
	s_and_saveexec_b32 s19, s57
	s_cbranch_execnz .LBB12_107
.LBB12_44:                              ;   in Loop: Header=BB12_21 Depth=1
	s_or_b32 exec_lo, exec_lo, s19
	s_and_saveexec_b32 s19, s58
	s_cbranch_execnz .LBB12_108
.LBB12_45:                              ;   in Loop: Header=BB12_21 Depth=1
	s_or_b32 exec_lo, exec_lo, s19
	s_and_saveexec_b32 s19, s59
	s_cbranch_execnz .LBB12_109
.LBB12_46:                              ;   in Loop: Header=BB12_21 Depth=1
	s_or_b32 exec_lo, exec_lo, s19
	s_and_saveexec_b32 s19, s60
	s_cbranch_execnz .LBB12_110
.LBB12_47:                              ;   in Loop: Header=BB12_21 Depth=1
	s_or_b32 exec_lo, exec_lo, s19
	s_and_saveexec_b32 s19, s61
	s_cbranch_execnz .LBB12_111
.LBB12_48:                              ;   in Loop: Header=BB12_21 Depth=1
	s_or_b32 exec_lo, exec_lo, s19
	s_and_saveexec_b32 s19, s62
	s_cbranch_execnz .LBB12_112
.LBB12_49:                              ;   in Loop: Header=BB12_21 Depth=1
	s_or_b32 exec_lo, exec_lo, s19
	s_and_saveexec_b32 s19, s63
	s_cbranch_execnz .LBB12_113
.LBB12_50:                              ;   in Loop: Header=BB12_21 Depth=1
	s_or_b32 exec_lo, exec_lo, s19
	s_and_saveexec_b32 s19, s64
	s_cbranch_execnz .LBB12_114
.LBB12_51:                              ;   in Loop: Header=BB12_21 Depth=1
	s_or_b32 exec_lo, exec_lo, s19
	s_and_saveexec_b32 s19, s65
	s_cbranch_execnz .LBB12_115
.LBB12_52:                              ;   in Loop: Header=BB12_21 Depth=1
	s_or_b32 exec_lo, exec_lo, s19
	s_and_saveexec_b32 s19, s6
	s_cbranch_execnz .LBB12_116
.LBB12_53:                              ;   in Loop: Header=BB12_21 Depth=1
	s_or_b32 exec_lo, exec_lo, s19
	s_and_saveexec_b32 s19, s66
	s_cbranch_execnz .LBB12_117
.LBB12_54:                              ;   in Loop: Header=BB12_21 Depth=1
	s_or_b32 exec_lo, exec_lo, s19
	s_and_saveexec_b32 s19, s67
	s_cbranch_execnz .LBB12_118
.LBB12_55:                              ;   in Loop: Header=BB12_21 Depth=1
	s_or_b32 exec_lo, exec_lo, s19
	s_and_saveexec_b32 s19, s68
	s_cbranch_execnz .LBB12_119
.LBB12_56:                              ;   in Loop: Header=BB12_21 Depth=1
	s_or_b32 exec_lo, exec_lo, s19
	s_and_saveexec_b32 s19, s69
	s_cbranch_execnz .LBB12_120
.LBB12_57:                              ;   in Loop: Header=BB12_21 Depth=1
	s_or_b32 exec_lo, exec_lo, s19
	s_and_saveexec_b32 s19, s70
	s_cbranch_execnz .LBB12_121
.LBB12_58:                              ;   in Loop: Header=BB12_21 Depth=1
	s_or_b32 exec_lo, exec_lo, s19
	s_and_saveexec_b32 s19, s71
	s_cbranch_execnz .LBB12_122
.LBB12_59:                              ;   in Loop: Header=BB12_21 Depth=1
	s_or_b32 exec_lo, exec_lo, s19
	s_and_saveexec_b32 s19, s72
	s_cbranch_execnz .LBB12_123
.LBB12_60:                              ;   in Loop: Header=BB12_21 Depth=1
	s_or_b32 exec_lo, exec_lo, s19
	s_and_saveexec_b32 s19, s7
	s_cbranch_execnz .LBB12_124
.LBB12_61:                              ;   in Loop: Header=BB12_21 Depth=1
	s_or_b32 exec_lo, exec_lo, s19
	s_and_saveexec_b32 s19, s73
	s_cbranch_execnz .LBB12_125
.LBB12_62:                              ;   in Loop: Header=BB12_21 Depth=1
	s_or_b32 exec_lo, exec_lo, s19
	s_and_saveexec_b32 s19, s74
	s_cbranch_execnz .LBB12_126
.LBB12_63:                              ;   in Loop: Header=BB12_21 Depth=1
	s_or_b32 exec_lo, exec_lo, s19
	s_and_saveexec_b32 s19, s75
	s_cbranch_execnz .LBB12_127
.LBB12_64:                              ;   in Loop: Header=BB12_21 Depth=1
	s_or_b32 exec_lo, exec_lo, s19
	s_and_saveexec_b32 s19, s76
	s_cbranch_execnz .LBB12_128
.LBB12_65:                              ;   in Loop: Header=BB12_21 Depth=1
	s_or_b32 exec_lo, exec_lo, s19
	s_and_saveexec_b32 s19, s77
	s_cbranch_execnz .LBB12_129
.LBB12_66:                              ;   in Loop: Header=BB12_21 Depth=1
	s_or_b32 exec_lo, exec_lo, s19
	s_and_saveexec_b32 s19, s78
	s_cbranch_execnz .LBB12_130
.LBB12_67:                              ;   in Loop: Header=BB12_21 Depth=1
	s_or_b32 exec_lo, exec_lo, s19
	s_and_saveexec_b32 s19, s79
	s_cbranch_execnz .LBB12_131
.LBB12_68:                              ;   in Loop: Header=BB12_21 Depth=1
	s_or_b32 exec_lo, exec_lo, s19
	s_and_saveexec_b32 s19, s8
	s_cbranch_execnz .LBB12_132
.LBB12_69:                              ;   in Loop: Header=BB12_21 Depth=1
	s_or_b32 exec_lo, exec_lo, s19
	s_and_saveexec_b32 s19, s80
	s_cbranch_execnz .LBB12_133
.LBB12_70:                              ;   in Loop: Header=BB12_21 Depth=1
	s_or_b32 exec_lo, exec_lo, s19
	s_and_saveexec_b32 s19, s81
	s_cbranch_execnz .LBB12_134
.LBB12_71:                              ;   in Loop: Header=BB12_21 Depth=1
	s_or_b32 exec_lo, exec_lo, s19
	s_and_saveexec_b32 s19, s82
	s_cbranch_execnz .LBB12_135
.LBB12_72:                              ;   in Loop: Header=BB12_21 Depth=1
	s_or_b32 exec_lo, exec_lo, s19
	s_and_saveexec_b32 s19, s83
	s_cbranch_execnz .LBB12_136
.LBB12_73:                              ;   in Loop: Header=BB12_21 Depth=1
	s_or_b32 exec_lo, exec_lo, s19
	s_and_saveexec_b32 s19, s84
	s_cbranch_execnz .LBB12_137
.LBB12_74:                              ;   in Loop: Header=BB12_21 Depth=1
	s_or_b32 exec_lo, exec_lo, s19
	s_and_saveexec_b32 s19, s85
	s_cbranch_execnz .LBB12_138
.LBB12_75:                              ;   in Loop: Header=BB12_21 Depth=1
	s_or_b32 exec_lo, exec_lo, s19
	s_and_saveexec_b32 s19, s86
	s_cbranch_execnz .LBB12_139
.LBB12_76:                              ;   in Loop: Header=BB12_21 Depth=1
	s_or_b32 exec_lo, exec_lo, s19
	s_and_saveexec_b32 s19, s9
	s_cbranch_execnz .LBB12_140
.LBB12_77:                              ;   in Loop: Header=BB12_21 Depth=1
	s_or_b32 exec_lo, exec_lo, s19
	s_and_saveexec_b32 s19, s4
	s_cbranch_execnz .LBB12_141
.LBB12_78:                              ;   in Loop: Header=BB12_21 Depth=1
	s_or_b32 exec_lo, exec_lo, s19
	s_and_saveexec_b32 s19, s5
	s_cbranch_execnz .LBB12_142
.LBB12_79:                              ;   in Loop: Header=BB12_21 Depth=1
	s_or_b32 exec_lo, exec_lo, s19
	s_and_saveexec_b32 s19, s10
	s_cbranch_execnz .LBB12_143
.LBB12_80:                              ;   in Loop: Header=BB12_21 Depth=1
	s_or_b32 exec_lo, exec_lo, s19
	s_and_saveexec_b32 s19, s11
	s_cbranch_execnz .LBB12_144
.LBB12_81:                              ;   in Loop: Header=BB12_21 Depth=1
	s_or_b32 exec_lo, exec_lo, s19
	s_and_saveexec_b32 s19, s12
	s_cbranch_execnz .LBB12_145
.LBB12_82:                              ;   in Loop: Header=BB12_21 Depth=1
	s_or_b32 exec_lo, exec_lo, s19
	s_and_saveexec_b32 s19, s13
	s_cbranch_execnz .LBB12_146
.LBB12_83:                              ;   in Loop: Header=BB12_21 Depth=1
	s_or_b32 exec_lo, exec_lo, s19
	s_and_saveexec_b32 s19, s14
	s_cbranch_execnz .LBB12_147
.LBB12_84:                              ;   in Loop: Header=BB12_21 Depth=1
	s_or_b32 exec_lo, exec_lo, s19
	s_and_saveexec_b32 s19, s15
	s_cbranch_execz .LBB12_20
	s_branch .LBB12_148
.LBB12_85:                              ;   in Loop: Header=BB12_21 Depth=1
	v_add_nc_u32_e32 v35, s35, v32
	v_ashrrev_i32_e32 v36, 31, v35
	v_lshlrev_b64 v[35:36], 2, v[35:36]
	v_add_co_u32 v35, s0, s22, v35
	v_add_co_ci_u32_e64 v36, null, s23, v36, s0
	global_load_dword v33, v[35:36], off
	v_add_nc_u32_e32 v35, v0, v31
	v_ashrrev_i32_e32 v36, 31, v35
	v_lshlrev_b64 v[35:36], 2, v[35:36]
	v_add_co_u32 v37, s0, s24, v35
	v_add_co_ci_u32_e64 v38, null, s25, v36, s0
	v_add_co_u32 v35, s0, s20, v35
	v_add_co_ci_u32_e64 v36, null, s21, v36, s0
	global_store_dword v[37:38], v34, off
	s_waitcnt vmcnt(0)
	global_store_dword v[35:36], v33, off
	s_or_b32 exec_lo, exec_lo, s26
	v_add_nc_u32_e32 v33, s19, v18
	s_and_saveexec_b32 s26, s37
	s_cbranch_execz .LBB12_23
.LBB12_86:                              ;   in Loop: Header=BB12_21 Depth=1
	v_add3_u32 v35, v1, s35, 32
	v_add_nc_u32_e32 v36, s35, v9
	v_cndmask_b32_e32 v35, v36, v35, vcc_lo
	v_ashrrev_i32_e32 v36, 31, v35
	v_lshlrev_b64 v[35:36], 2, v[35:36]
	v_add_co_u32 v35, s0, s22, v35
	v_add_co_ci_u32_e64 v36, null, s23, v36, s0
	global_load_dword v39, v[35:36], off
	v_add3_u32 v35, v0, v31, 32
	v_ashrrev_i32_e32 v36, 31, v35
	v_lshlrev_b64 v[35:36], 2, v[35:36]
	v_add_co_u32 v37, s0, s24, v35
	v_add_co_ci_u32_e64 v38, null, s25, v36, s0
	v_add_co_u32 v35, s0, s20, v35
	v_add_co_ci_u32_e64 v36, null, s21, v36, s0
	global_store_dword v[37:38], v33, off
	s_waitcnt vmcnt(0)
	global_store_dword v[35:36], v39, off
	s_or_b32 exec_lo, exec_lo, s26
	v_add_nc_u32_e32 v35, s19, v19
	s_and_saveexec_b32 s26, s38
	s_cbranch_execz .LBB12_24
.LBB12_87:                              ;   in Loop: Header=BB12_21 Depth=1
	v_add3_u32 v36, v1, s35, 64
	v_add_nc_u32_e32 v37, s35, v8
	v_cndmask_b32_e32 v36, v37, v36, vcc_lo
	v_ashrrev_i32_e32 v37, 31, v36
	v_lshlrev_b64 v[36:37], 2, v[36:37]
	v_add_co_u32 v36, s0, s22, v36
	v_add_co_ci_u32_e64 v37, null, s23, v37, s0
	global_load_dword v40, v[36:37], off
	v_add3_u32 v36, v0, v31, 64
	v_ashrrev_i32_e32 v37, 31, v36
	v_lshlrev_b64 v[36:37], 2, v[36:37]
	v_add_co_u32 v38, s0, s24, v36
	v_add_co_ci_u32_e64 v39, null, s25, v37, s0
	v_add_co_u32 v36, s0, s20, v36
	v_add_co_ci_u32_e64 v37, null, s21, v37, s0
	global_store_dword v[38:39], v35, off
	s_waitcnt vmcnt(0)
	global_store_dword v[36:37], v40, off
	s_or_b32 exec_lo, exec_lo, s26
	v_add_nc_u32_e32 v36, s19, v20
	s_and_saveexec_b32 s26, s39
	s_cbranch_execz .LBB12_25
.LBB12_88:                              ;   in Loop: Header=BB12_21 Depth=1
	v_add3_u32 v37, v1, s35, 0x60
	v_add_nc_u32_e32 v38, s35, v7
	v_cndmask_b32_e32 v37, v38, v37, vcc_lo
	v_ashrrev_i32_e32 v38, 31, v37
	v_lshlrev_b64 v[37:38], 2, v[37:38]
	v_add_co_u32 v37, s0, s22, v37
	v_add_co_ci_u32_e64 v38, null, s23, v38, s0
	global_load_dword v41, v[37:38], off
	v_add3_u32 v37, v0, v31, 0x60
	v_ashrrev_i32_e32 v38, 31, v37
	v_lshlrev_b64 v[37:38], 2, v[37:38]
	v_add_co_u32 v39, s0, s24, v37
	v_add_co_ci_u32_e64 v40, null, s25, v38, s0
	v_add_co_u32 v37, s0, s20, v37
	v_add_co_ci_u32_e64 v38, null, s21, v38, s0
	global_store_dword v[39:40], v36, off
	s_waitcnt vmcnt(0)
	global_store_dword v[37:38], v41, off
	s_or_b32 exec_lo, exec_lo, s26
	v_add_nc_u32_e32 v37, s19, v21
	s_and_saveexec_b32 s26, s40
	s_cbranch_execz .LBB12_26
.LBB12_89:                              ;   in Loop: Header=BB12_21 Depth=1
	v_add3_u32 v38, v1, s35, 0x80
	v_add_nc_u32_e32 v39, s35, v6
	v_cndmask_b32_e32 v38, v39, v38, vcc_lo
	v_ashrrev_i32_e32 v39, 31, v38
	v_lshlrev_b64 v[38:39], 2, v[38:39]
	v_add_co_u32 v38, s0, s22, v38
	v_add_co_ci_u32_e64 v39, null, s23, v39, s0
	global_load_dword v42, v[38:39], off
	v_add3_u32 v38, v0, v31, 0x80
	v_ashrrev_i32_e32 v39, 31, v38
	v_lshlrev_b64 v[38:39], 2, v[38:39]
	v_add_co_u32 v40, s0, s24, v38
	v_add_co_ci_u32_e64 v41, null, s25, v39, s0
	v_add_co_u32 v38, s0, s20, v38
	v_add_co_ci_u32_e64 v39, null, s21, v39, s0
	global_store_dword v[40:41], v37, off
	s_waitcnt vmcnt(0)
	global_store_dword v[38:39], v42, off
	s_or_b32 exec_lo, exec_lo, s26
	v_add_nc_u32_e32 v38, s19, v22
	s_and_saveexec_b32 s26, s41
	s_cbranch_execz .LBB12_27
.LBB12_90:                              ;   in Loop: Header=BB12_21 Depth=1
	v_add3_u32 v39, v1, s35, 0xa0
	v_add_nc_u32_e32 v40, s35, v5
	v_cndmask_b32_e32 v39, v40, v39, vcc_lo
	v_ashrrev_i32_e32 v40, 31, v39
	v_lshlrev_b64 v[39:40], 2, v[39:40]
	v_add_co_u32 v39, s0, s22, v39
	v_add_co_ci_u32_e64 v40, null, s23, v40, s0
	global_load_dword v43, v[39:40], off
	v_add3_u32 v39, v0, v31, 0xa0
	v_ashrrev_i32_e32 v40, 31, v39
	v_lshlrev_b64 v[39:40], 2, v[39:40]
	v_add_co_u32 v41, s0, s24, v39
	v_add_co_ci_u32_e64 v42, null, s25, v40, s0
	v_add_co_u32 v39, s0, s20, v39
	v_add_co_ci_u32_e64 v40, null, s21, v40, s0
	global_store_dword v[41:42], v38, off
	s_waitcnt vmcnt(0)
	global_store_dword v[39:40], v43, off
	s_or_b32 exec_lo, exec_lo, s26
	v_add_nc_u32_e32 v39, s19, v23
	s_and_saveexec_b32 s26, s42
	s_cbranch_execz .LBB12_28
.LBB12_91:                              ;   in Loop: Header=BB12_21 Depth=1
	v_add3_u32 v40, v1, s35, 0xc0
	v_add_nc_u32_e32 v41, s35, v4
	v_cndmask_b32_e32 v40, v41, v40, vcc_lo
	v_ashrrev_i32_e32 v41, 31, v40
	v_lshlrev_b64 v[40:41], 2, v[40:41]
	v_add_co_u32 v40, s0, s22, v40
	v_add_co_ci_u32_e64 v41, null, s23, v41, s0
	global_load_dword v44, v[40:41], off
	v_add3_u32 v40, v0, v31, 0xc0
	v_ashrrev_i32_e32 v41, 31, v40
	v_lshlrev_b64 v[40:41], 2, v[40:41]
	v_add_co_u32 v42, s0, s24, v40
	v_add_co_ci_u32_e64 v43, null, s25, v41, s0
	v_add_co_u32 v40, s0, s20, v40
	v_add_co_ci_u32_e64 v41, null, s21, v41, s0
	global_store_dword v[42:43], v39, off
	s_waitcnt vmcnt(0)
	global_store_dword v[40:41], v44, off
	s_or_b32 exec_lo, exec_lo, s26
	v_add_nc_u32_e32 v40, s19, v24
	s_and_saveexec_b32 s19, s43
	s_cbranch_execz .LBB12_29
.LBB12_92:                              ;   in Loop: Header=BB12_21 Depth=1
	v_add3_u32 v41, v1, s35, 0xe0
	v_add_nc_u32_e32 v42, s35, v3
	v_cndmask_b32_e32 v41, v42, v41, vcc_lo
	v_ashrrev_i32_e32 v42, 31, v41
	v_lshlrev_b64 v[41:42], 2, v[41:42]
	v_add_co_u32 v41, s0, s22, v41
	v_add_co_ci_u32_e64 v42, null, s23, v42, s0
	global_load_dword v45, v[41:42], off
	v_add3_u32 v41, v0, v31, 0xe0
	v_ashrrev_i32_e32 v42, 31, v41
	v_lshlrev_b64 v[41:42], 2, v[41:42]
	v_add_co_u32 v43, s0, s24, v41
	v_add_co_ci_u32_e64 v44, null, s25, v42, s0
	v_add_co_u32 v41, s0, s20, v41
	v_add_co_ci_u32_e64 v42, null, s21, v42, s0
	global_store_dword v[43:44], v40, off
	s_waitcnt vmcnt(0)
	global_store_dword v[41:42], v45, off
	s_or_b32 exec_lo, exec_lo, s19
	s_and_saveexec_b32 s19, s44
	s_cbranch_execz .LBB12_30
.LBB12_93:                              ;   in Loop: Header=BB12_21 Depth=1
	v_add_nc_u32_e32 v41, s35, v10
	v_add3_u32 v42, v2, s35, 32
	v_cndmask_b32_e32 v41, v42, v41, vcc_lo
	v_ashrrev_i32_e32 v42, 31, v41
	v_lshlrev_b64 v[41:42], 2, v[41:42]
	v_add_co_u32 v41, s0, s22, v41
	v_add_co_ci_u32_e64 v42, null, s23, v42, s0
	global_load_dword v45, v[41:42], off
	v_add_nc_u32_e32 v41, v0, v30
	v_ashrrev_i32_e32 v42, 31, v41
	v_lshlrev_b64 v[41:42], 2, v[41:42]
	v_add_co_u32 v43, s0, s24, v41
	v_add_co_ci_u32_e64 v44, null, s25, v42, s0
	v_add_co_u32 v41, s0, s20, v41
	v_add_co_ci_u32_e64 v42, null, s21, v42, s0
	global_store_dword v[43:44], v34, off
	s_waitcnt vmcnt(0)
	global_store_dword v[41:42], v45, off
	s_or_b32 exec_lo, exec_lo, s19
	s_and_saveexec_b32 s19, s45
	s_cbranch_execz .LBB12_31
.LBB12_94:                              ;   in Loop: Header=BB12_21 Depth=1
	v_cndmask_b32_e32 v41, v9, v10, vcc_lo
	v_add3_u32 v41, v41, s35, 32
	v_ashrrev_i32_e32 v42, 31, v41
	v_lshlrev_b64 v[41:42], 2, v[41:42]
	v_add_co_u32 v41, s0, s22, v41
	v_add_co_ci_u32_e64 v42, null, s23, v42, s0
	global_load_dword v45, v[41:42], off
	v_add3_u32 v41, v0, v30, 32
	v_ashrrev_i32_e32 v42, 31, v41
	v_lshlrev_b64 v[41:42], 2, v[41:42]
	v_add_co_u32 v43, s0, s24, v41
	v_add_co_ci_u32_e64 v44, null, s25, v42, s0
	v_add_co_u32 v41, s0, s20, v41
	v_add_co_ci_u32_e64 v42, null, s21, v42, s0
	global_store_dword v[43:44], v33, off
	s_waitcnt vmcnt(0)
	global_store_dword v[41:42], v45, off
	s_or_b32 exec_lo, exec_lo, s19
	s_and_saveexec_b32 s19, s46
	s_cbranch_execz .LBB12_32
.LBB12_95:                              ;   in Loop: Header=BB12_21 Depth=1
	v_add3_u32 v41, v10, s35, 64
	v_add3_u32 v42, v8, s35, 32
	v_cndmask_b32_e32 v41, v42, v41, vcc_lo
	v_ashrrev_i32_e32 v42, 31, v41
	v_lshlrev_b64 v[41:42], 2, v[41:42]
	v_add_co_u32 v41, s0, s22, v41
	v_add_co_ci_u32_e64 v42, null, s23, v42, s0
	global_load_dword v45, v[41:42], off
	v_add3_u32 v41, v0, v30, 64
	v_ashrrev_i32_e32 v42, 31, v41
	v_lshlrev_b64 v[41:42], 2, v[41:42]
	v_add_co_u32 v43, s0, s24, v41
	v_add_co_ci_u32_e64 v44, null, s25, v42, s0
	v_add_co_u32 v41, s0, s20, v41
	v_add_co_ci_u32_e64 v42, null, s21, v42, s0
	global_store_dword v[43:44], v35, off
	s_waitcnt vmcnt(0)
	global_store_dword v[41:42], v45, off
	s_or_b32 exec_lo, exec_lo, s19
	s_and_saveexec_b32 s19, s47
	s_cbranch_execz .LBB12_33
.LBB12_96:                              ;   in Loop: Header=BB12_21 Depth=1
	v_add3_u32 v41, v10, s35, 0x60
	v_add3_u32 v42, v7, s35, 32
	v_cndmask_b32_e32 v41, v42, v41, vcc_lo
	v_ashrrev_i32_e32 v42, 31, v41
	v_lshlrev_b64 v[41:42], 2, v[41:42]
	v_add_co_u32 v41, s0, s22, v41
	v_add_co_ci_u32_e64 v42, null, s23, v42, s0
	global_load_dword v45, v[41:42], off
	v_add3_u32 v41, v0, v30, 0x60
	v_ashrrev_i32_e32 v42, 31, v41
	v_lshlrev_b64 v[41:42], 2, v[41:42]
	v_add_co_u32 v43, s0, s24, v41
	v_add_co_ci_u32_e64 v44, null, s25, v42, s0
	v_add_co_u32 v41, s0, s20, v41
	v_add_co_ci_u32_e64 v42, null, s21, v42, s0
	global_store_dword v[43:44], v36, off
	s_waitcnt vmcnt(0)
	global_store_dword v[41:42], v45, off
	s_or_b32 exec_lo, exec_lo, s19
	s_and_saveexec_b32 s19, s48
	s_cbranch_execz .LBB12_34
.LBB12_97:                              ;   in Loop: Header=BB12_21 Depth=1
	v_add3_u32 v41, v10, s35, 0x80
	v_add3_u32 v42, v6, s35, 32
	v_cndmask_b32_e32 v41, v42, v41, vcc_lo
	v_ashrrev_i32_e32 v42, 31, v41
	v_lshlrev_b64 v[41:42], 2, v[41:42]
	v_add_co_u32 v41, s0, s22, v41
	v_add_co_ci_u32_e64 v42, null, s23, v42, s0
	global_load_dword v45, v[41:42], off
	v_add3_u32 v41, v0, v30, 0x80
	v_ashrrev_i32_e32 v42, 31, v41
	v_lshlrev_b64 v[41:42], 2, v[41:42]
	v_add_co_u32 v43, s0, s24, v41
	v_add_co_ci_u32_e64 v44, null, s25, v42, s0
	v_add_co_u32 v41, s0, s20, v41
	v_add_co_ci_u32_e64 v42, null, s21, v42, s0
	global_store_dword v[43:44], v37, off
	s_waitcnt vmcnt(0)
	global_store_dword v[41:42], v45, off
	s_or_b32 exec_lo, exec_lo, s19
	s_and_saveexec_b32 s19, s49
	s_cbranch_execz .LBB12_35
.LBB12_98:                              ;   in Loop: Header=BB12_21 Depth=1
	v_add3_u32 v41, v10, s35, 0xa0
	v_add3_u32 v42, v5, s35, 32
	v_cndmask_b32_e32 v41, v42, v41, vcc_lo
	v_ashrrev_i32_e32 v42, 31, v41
	v_lshlrev_b64 v[41:42], 2, v[41:42]
	v_add_co_u32 v41, s0, s22, v41
	v_add_co_ci_u32_e64 v42, null, s23, v42, s0
	global_load_dword v45, v[41:42], off
	v_add3_u32 v41, v0, v30, 0xa0
	v_ashrrev_i32_e32 v42, 31, v41
	v_lshlrev_b64 v[41:42], 2, v[41:42]
	v_add_co_u32 v43, s0, s24, v41
	v_add_co_ci_u32_e64 v44, null, s25, v42, s0
	v_add_co_u32 v41, s0, s20, v41
	v_add_co_ci_u32_e64 v42, null, s21, v42, s0
	global_store_dword v[43:44], v38, off
	s_waitcnt vmcnt(0)
	global_store_dword v[41:42], v45, off
	s_or_b32 exec_lo, exec_lo, s19
	s_and_saveexec_b32 s19, s50
	s_cbranch_execz .LBB12_36
.LBB12_99:                              ;   in Loop: Header=BB12_21 Depth=1
	v_add3_u32 v41, v10, s35, 0xc0
	v_add3_u32 v42, v4, s35, 32
	v_cndmask_b32_e32 v41, v42, v41, vcc_lo
	v_ashrrev_i32_e32 v42, 31, v41
	v_lshlrev_b64 v[41:42], 2, v[41:42]
	v_add_co_u32 v41, s0, s22, v41
	v_add_co_ci_u32_e64 v42, null, s23, v42, s0
	global_load_dword v45, v[41:42], off
	v_add3_u32 v41, v0, v30, 0xc0
	v_ashrrev_i32_e32 v42, 31, v41
	v_lshlrev_b64 v[41:42], 2, v[41:42]
	v_add_co_u32 v43, s0, s24, v41
	v_add_co_ci_u32_e64 v44, null, s25, v42, s0
	v_add_co_u32 v41, s0, s20, v41
	v_add_co_ci_u32_e64 v42, null, s21, v42, s0
	global_store_dword v[43:44], v39, off
	s_waitcnt vmcnt(0)
	global_store_dword v[41:42], v45, off
	s_or_b32 exec_lo, exec_lo, s19
	s_and_saveexec_b32 s19, s1
	s_cbranch_execz .LBB12_37
.LBB12_100:                             ;   in Loop: Header=BB12_21 Depth=1
	v_add3_u32 v41, v10, s35, 0xe0
	v_add3_u32 v42, v3, s35, 32
	v_cndmask_b32_e32 v41, v42, v41, vcc_lo
	v_ashrrev_i32_e32 v42, 31, v41
	v_lshlrev_b64 v[41:42], 2, v[41:42]
	v_add_co_u32 v41, s0, s22, v41
	v_add_co_ci_u32_e64 v42, null, s23, v42, s0
	global_load_dword v45, v[41:42], off
	v_add3_u32 v41, v0, v30, 0xe0
	v_ashrrev_i32_e32 v42, 31, v41
	v_lshlrev_b64 v[41:42], 2, v[41:42]
	v_add_co_u32 v43, s0, s24, v41
	v_add_co_ci_u32_e64 v44, null, s25, v42, s0
	v_add_co_u32 v41, s0, s20, v41
	v_add_co_ci_u32_e64 v42, null, s21, v42, s0
	global_store_dword v[43:44], v40, off
	s_waitcnt vmcnt(0)
	global_store_dword v[41:42], v45, off
	s_or_b32 exec_lo, exec_lo, s19
	s_and_saveexec_b32 s19, s51
	s_cbranch_execz .LBB12_38
.LBB12_101:                             ;   in Loop: Header=BB12_21 Depth=1
	v_add_nc_u32_e32 v41, s35, v11
	v_add3_u32 v42, v2, s35, 64
	v_cndmask_b32_e32 v41, v42, v41, vcc_lo
	v_ashrrev_i32_e32 v42, 31, v41
	v_lshlrev_b64 v[41:42], 2, v[41:42]
	v_add_co_u32 v41, s0, s22, v41
	v_add_co_ci_u32_e64 v42, null, s23, v42, s0
	global_load_dword v45, v[41:42], off
	v_add_nc_u32_e32 v41, v0, v29
	v_ashrrev_i32_e32 v42, 31, v41
	v_lshlrev_b64 v[41:42], 2, v[41:42]
	v_add_co_u32 v43, s0, s24, v41
	v_add_co_ci_u32_e64 v44, null, s25, v42, s0
	v_add_co_u32 v41, s0, s20, v41
	v_add_co_ci_u32_e64 v42, null, s21, v42, s0
	global_store_dword v[43:44], v34, off
	s_waitcnt vmcnt(0)
	global_store_dword v[41:42], v45, off
	s_or_b32 exec_lo, exec_lo, s19
	s_and_saveexec_b32 s19, s52
	s_cbranch_execz .LBB12_39
.LBB12_102:                             ;   in Loop: Header=BB12_21 Depth=1
	v_add3_u32 v41, v11, s35, 32
	v_add3_u32 v42, v9, s35, 64
	v_cndmask_b32_e32 v41, v42, v41, vcc_lo
	v_ashrrev_i32_e32 v42, 31, v41
	v_lshlrev_b64 v[41:42], 2, v[41:42]
	v_add_co_u32 v41, s0, s22, v41
	v_add_co_ci_u32_e64 v42, null, s23, v42, s0
	global_load_dword v45, v[41:42], off
	v_add3_u32 v41, v0, v29, 32
	v_ashrrev_i32_e32 v42, 31, v41
	v_lshlrev_b64 v[41:42], 2, v[41:42]
	v_add_co_u32 v43, s0, s24, v41
	v_add_co_ci_u32_e64 v44, null, s25, v42, s0
	v_add_co_u32 v41, s0, s20, v41
	v_add_co_ci_u32_e64 v42, null, s21, v42, s0
	global_store_dword v[43:44], v33, off
	s_waitcnt vmcnt(0)
	global_store_dword v[41:42], v45, off
	s_or_b32 exec_lo, exec_lo, s19
	s_and_saveexec_b32 s19, s53
	s_cbranch_execz .LBB12_40
.LBB12_103:                             ;   in Loop: Header=BB12_21 Depth=1
	v_cndmask_b32_e32 v41, v8, v11, vcc_lo
	v_add3_u32 v41, v41, s35, 64
	v_ashrrev_i32_e32 v42, 31, v41
	v_lshlrev_b64 v[41:42], 2, v[41:42]
	v_add_co_u32 v41, s0, s22, v41
	v_add_co_ci_u32_e64 v42, null, s23, v42, s0
	global_load_dword v45, v[41:42], off
	v_add3_u32 v41, v0, v29, 64
	v_ashrrev_i32_e32 v42, 31, v41
	v_lshlrev_b64 v[41:42], 2, v[41:42]
	v_add_co_u32 v43, s0, s24, v41
	v_add_co_ci_u32_e64 v44, null, s25, v42, s0
	v_add_co_u32 v41, s0, s20, v41
	v_add_co_ci_u32_e64 v42, null, s21, v42, s0
	global_store_dword v[43:44], v35, off
	s_waitcnt vmcnt(0)
	global_store_dword v[41:42], v45, off
	s_or_b32 exec_lo, exec_lo, s19
	s_and_saveexec_b32 s19, s54
	s_cbranch_execz .LBB12_41
.LBB12_104:                             ;   in Loop: Header=BB12_21 Depth=1
	v_add3_u32 v41, v11, s35, 0x60
	v_add3_u32 v42, v7, s35, 64
	v_cndmask_b32_e32 v41, v42, v41, vcc_lo
	v_ashrrev_i32_e32 v42, 31, v41
	v_lshlrev_b64 v[41:42], 2, v[41:42]
	v_add_co_u32 v41, s0, s22, v41
	v_add_co_ci_u32_e64 v42, null, s23, v42, s0
	global_load_dword v45, v[41:42], off
	v_add3_u32 v41, v0, v29, 0x60
	v_ashrrev_i32_e32 v42, 31, v41
	v_lshlrev_b64 v[41:42], 2, v[41:42]
	v_add_co_u32 v43, s0, s24, v41
	v_add_co_ci_u32_e64 v44, null, s25, v42, s0
	v_add_co_u32 v41, s0, s20, v41
	v_add_co_ci_u32_e64 v42, null, s21, v42, s0
	global_store_dword v[43:44], v36, off
	s_waitcnt vmcnt(0)
	global_store_dword v[41:42], v45, off
	s_or_b32 exec_lo, exec_lo, s19
	s_and_saveexec_b32 s19, s55
	s_cbranch_execz .LBB12_42
.LBB12_105:                             ;   in Loop: Header=BB12_21 Depth=1
	v_add3_u32 v41, v11, s35, 0x80
	v_add3_u32 v42, v6, s35, 64
	v_cndmask_b32_e32 v41, v42, v41, vcc_lo
	v_ashrrev_i32_e32 v42, 31, v41
	v_lshlrev_b64 v[41:42], 2, v[41:42]
	v_add_co_u32 v41, s0, s22, v41
	v_add_co_ci_u32_e64 v42, null, s23, v42, s0
	global_load_dword v45, v[41:42], off
	v_add3_u32 v41, v0, v29, 0x80
	v_ashrrev_i32_e32 v42, 31, v41
	v_lshlrev_b64 v[41:42], 2, v[41:42]
	v_add_co_u32 v43, s0, s24, v41
	v_add_co_ci_u32_e64 v44, null, s25, v42, s0
	v_add_co_u32 v41, s0, s20, v41
	v_add_co_ci_u32_e64 v42, null, s21, v42, s0
	global_store_dword v[43:44], v37, off
	s_waitcnt vmcnt(0)
	global_store_dword v[41:42], v45, off
	s_or_b32 exec_lo, exec_lo, s19
	s_and_saveexec_b32 s19, s56
	s_cbranch_execz .LBB12_43
.LBB12_106:                             ;   in Loop: Header=BB12_21 Depth=1
	v_add3_u32 v41, v11, s35, 0xa0
	v_add3_u32 v42, v5, s35, 64
	v_cndmask_b32_e32 v41, v42, v41, vcc_lo
	v_ashrrev_i32_e32 v42, 31, v41
	v_lshlrev_b64 v[41:42], 2, v[41:42]
	v_add_co_u32 v41, s0, s22, v41
	v_add_co_ci_u32_e64 v42, null, s23, v42, s0
	global_load_dword v45, v[41:42], off
	v_add3_u32 v41, v0, v29, 0xa0
	v_ashrrev_i32_e32 v42, 31, v41
	v_lshlrev_b64 v[41:42], 2, v[41:42]
	v_add_co_u32 v43, s0, s24, v41
	v_add_co_ci_u32_e64 v44, null, s25, v42, s0
	v_add_co_u32 v41, s0, s20, v41
	v_add_co_ci_u32_e64 v42, null, s21, v42, s0
	global_store_dword v[43:44], v38, off
	s_waitcnt vmcnt(0)
	global_store_dword v[41:42], v45, off
	s_or_b32 exec_lo, exec_lo, s19
	s_and_saveexec_b32 s19, s57
	s_cbranch_execz .LBB12_44
.LBB12_107:                             ;   in Loop: Header=BB12_21 Depth=1
	v_add3_u32 v41, v11, s35, 0xc0
	v_add3_u32 v42, v4, s35, 64
	v_cndmask_b32_e32 v41, v42, v41, vcc_lo
	v_ashrrev_i32_e32 v42, 31, v41
	v_lshlrev_b64 v[41:42], 2, v[41:42]
	v_add_co_u32 v41, s0, s22, v41
	v_add_co_ci_u32_e64 v42, null, s23, v42, s0
	global_load_dword v45, v[41:42], off
	v_add3_u32 v41, v0, v29, 0xc0
	v_ashrrev_i32_e32 v42, 31, v41
	v_lshlrev_b64 v[41:42], 2, v[41:42]
	v_add_co_u32 v43, s0, s24, v41
	v_add_co_ci_u32_e64 v44, null, s25, v42, s0
	v_add_co_u32 v41, s0, s20, v41
	v_add_co_ci_u32_e64 v42, null, s21, v42, s0
	global_store_dword v[43:44], v39, off
	s_waitcnt vmcnt(0)
	global_store_dword v[41:42], v45, off
	s_or_b32 exec_lo, exec_lo, s19
	s_and_saveexec_b32 s19, s58
	s_cbranch_execz .LBB12_45
.LBB12_108:                             ;   in Loop: Header=BB12_21 Depth=1
	v_add3_u32 v41, v11, s35, 0xe0
	v_add3_u32 v42, v3, s35, 64
	v_cndmask_b32_e32 v41, v42, v41, vcc_lo
	v_ashrrev_i32_e32 v42, 31, v41
	v_lshlrev_b64 v[41:42], 2, v[41:42]
	v_add_co_u32 v41, s0, s22, v41
	v_add_co_ci_u32_e64 v42, null, s23, v42, s0
	global_load_dword v45, v[41:42], off
	v_add3_u32 v41, v0, v29, 0xe0
	v_ashrrev_i32_e32 v42, 31, v41
	v_lshlrev_b64 v[41:42], 2, v[41:42]
	v_add_co_u32 v43, s0, s24, v41
	v_add_co_ci_u32_e64 v44, null, s25, v42, s0
	v_add_co_u32 v41, s0, s20, v41
	v_add_co_ci_u32_e64 v42, null, s21, v42, s0
	global_store_dword v[43:44], v40, off
	s_waitcnt vmcnt(0)
	global_store_dword v[41:42], v45, off
	s_or_b32 exec_lo, exec_lo, s19
	s_and_saveexec_b32 s19, s59
	s_cbranch_execz .LBB12_46
.LBB12_109:                             ;   in Loop: Header=BB12_21 Depth=1
	v_add_nc_u32_e32 v41, s35, v12
	v_add3_u32 v42, v2, s35, 0x60
	v_cndmask_b32_e32 v41, v42, v41, vcc_lo
	v_ashrrev_i32_e32 v42, 31, v41
	v_lshlrev_b64 v[41:42], 2, v[41:42]
	v_add_co_u32 v41, s0, s22, v41
	v_add_co_ci_u32_e64 v42, null, s23, v42, s0
	global_load_dword v45, v[41:42], off
	v_add_nc_u32_e32 v41, v0, v28
	v_ashrrev_i32_e32 v42, 31, v41
	v_lshlrev_b64 v[41:42], 2, v[41:42]
	v_add_co_u32 v43, s0, s24, v41
	v_add_co_ci_u32_e64 v44, null, s25, v42, s0
	v_add_co_u32 v41, s0, s20, v41
	v_add_co_ci_u32_e64 v42, null, s21, v42, s0
	global_store_dword v[43:44], v34, off
	s_waitcnt vmcnt(0)
	global_store_dword v[41:42], v45, off
	s_or_b32 exec_lo, exec_lo, s19
	s_and_saveexec_b32 s19, s60
	s_cbranch_execz .LBB12_47
.LBB12_110:                             ;   in Loop: Header=BB12_21 Depth=1
	v_add3_u32 v41, v12, s35, 32
	v_add3_u32 v42, v9, s35, 0x60
	v_cndmask_b32_e32 v41, v42, v41, vcc_lo
	v_ashrrev_i32_e32 v42, 31, v41
	v_lshlrev_b64 v[41:42], 2, v[41:42]
	v_add_co_u32 v41, s0, s22, v41
	v_add_co_ci_u32_e64 v42, null, s23, v42, s0
	global_load_dword v45, v[41:42], off
	v_add3_u32 v41, v0, v28, 32
	v_ashrrev_i32_e32 v42, 31, v41
	v_lshlrev_b64 v[41:42], 2, v[41:42]
	v_add_co_u32 v43, s0, s24, v41
	v_add_co_ci_u32_e64 v44, null, s25, v42, s0
	v_add_co_u32 v41, s0, s20, v41
	v_add_co_ci_u32_e64 v42, null, s21, v42, s0
	global_store_dword v[43:44], v33, off
	s_waitcnt vmcnt(0)
	global_store_dword v[41:42], v45, off
	s_or_b32 exec_lo, exec_lo, s19
	s_and_saveexec_b32 s19, s61
	s_cbranch_execz .LBB12_48
.LBB12_111:                             ;   in Loop: Header=BB12_21 Depth=1
	v_add3_u32 v41, v12, s35, 64
	v_add3_u32 v42, v8, s35, 0x60
	v_cndmask_b32_e32 v41, v42, v41, vcc_lo
	v_ashrrev_i32_e32 v42, 31, v41
	v_lshlrev_b64 v[41:42], 2, v[41:42]
	v_add_co_u32 v41, s0, s22, v41
	v_add_co_ci_u32_e64 v42, null, s23, v42, s0
	global_load_dword v45, v[41:42], off
	v_add3_u32 v41, v0, v28, 64
	v_ashrrev_i32_e32 v42, 31, v41
	v_lshlrev_b64 v[41:42], 2, v[41:42]
	v_add_co_u32 v43, s0, s24, v41
	v_add_co_ci_u32_e64 v44, null, s25, v42, s0
	v_add_co_u32 v41, s0, s20, v41
	v_add_co_ci_u32_e64 v42, null, s21, v42, s0
	global_store_dword v[43:44], v35, off
	s_waitcnt vmcnt(0)
	global_store_dword v[41:42], v45, off
	s_or_b32 exec_lo, exec_lo, s19
	s_and_saveexec_b32 s19, s62
	s_cbranch_execz .LBB12_49
.LBB12_112:                             ;   in Loop: Header=BB12_21 Depth=1
	v_cndmask_b32_e32 v41, v7, v12, vcc_lo
	v_add3_u32 v41, v41, s35, 0x60
	v_ashrrev_i32_e32 v42, 31, v41
	v_lshlrev_b64 v[41:42], 2, v[41:42]
	v_add_co_u32 v41, s0, s22, v41
	v_add_co_ci_u32_e64 v42, null, s23, v42, s0
	global_load_dword v45, v[41:42], off
	v_add3_u32 v41, v0, v28, 0x60
	v_ashrrev_i32_e32 v42, 31, v41
	v_lshlrev_b64 v[41:42], 2, v[41:42]
	v_add_co_u32 v43, s0, s24, v41
	v_add_co_ci_u32_e64 v44, null, s25, v42, s0
	v_add_co_u32 v41, s0, s20, v41
	v_add_co_ci_u32_e64 v42, null, s21, v42, s0
	global_store_dword v[43:44], v36, off
	s_waitcnt vmcnt(0)
	global_store_dword v[41:42], v45, off
	s_or_b32 exec_lo, exec_lo, s19
	s_and_saveexec_b32 s19, s63
	s_cbranch_execz .LBB12_50
.LBB12_113:                             ;   in Loop: Header=BB12_21 Depth=1
	v_add3_u32 v41, v12, s35, 0x80
	v_add3_u32 v42, v6, s35, 0x60
	v_cndmask_b32_e32 v41, v42, v41, vcc_lo
	v_ashrrev_i32_e32 v42, 31, v41
	v_lshlrev_b64 v[41:42], 2, v[41:42]
	v_add_co_u32 v41, s0, s22, v41
	v_add_co_ci_u32_e64 v42, null, s23, v42, s0
	global_load_dword v45, v[41:42], off
	v_add3_u32 v41, v0, v28, 0x80
	v_ashrrev_i32_e32 v42, 31, v41
	v_lshlrev_b64 v[41:42], 2, v[41:42]
	v_add_co_u32 v43, s0, s24, v41
	v_add_co_ci_u32_e64 v44, null, s25, v42, s0
	v_add_co_u32 v41, s0, s20, v41
	v_add_co_ci_u32_e64 v42, null, s21, v42, s0
	global_store_dword v[43:44], v37, off
	s_waitcnt vmcnt(0)
	global_store_dword v[41:42], v45, off
	s_or_b32 exec_lo, exec_lo, s19
	s_and_saveexec_b32 s19, s64
	s_cbranch_execz .LBB12_51
.LBB12_114:                             ;   in Loop: Header=BB12_21 Depth=1
	v_add3_u32 v41, v12, s35, 0xa0
	v_add3_u32 v42, v5, s35, 0x60
	v_cndmask_b32_e32 v41, v42, v41, vcc_lo
	v_ashrrev_i32_e32 v42, 31, v41
	v_lshlrev_b64 v[41:42], 2, v[41:42]
	v_add_co_u32 v41, s0, s22, v41
	v_add_co_ci_u32_e64 v42, null, s23, v42, s0
	global_load_dword v45, v[41:42], off
	v_add3_u32 v41, v0, v28, 0xa0
	v_ashrrev_i32_e32 v42, 31, v41
	v_lshlrev_b64 v[41:42], 2, v[41:42]
	v_add_co_u32 v43, s0, s24, v41
	v_add_co_ci_u32_e64 v44, null, s25, v42, s0
	v_add_co_u32 v41, s0, s20, v41
	v_add_co_ci_u32_e64 v42, null, s21, v42, s0
	global_store_dword v[43:44], v38, off
	s_waitcnt vmcnt(0)
	global_store_dword v[41:42], v45, off
	s_or_b32 exec_lo, exec_lo, s19
	s_and_saveexec_b32 s19, s65
	s_cbranch_execz .LBB12_52
.LBB12_115:                             ;   in Loop: Header=BB12_21 Depth=1
	v_add3_u32 v41, v12, s35, 0xc0
	v_add3_u32 v42, v4, s35, 0x60
	v_cndmask_b32_e32 v41, v42, v41, vcc_lo
	v_ashrrev_i32_e32 v42, 31, v41
	v_lshlrev_b64 v[41:42], 2, v[41:42]
	v_add_co_u32 v41, s0, s22, v41
	v_add_co_ci_u32_e64 v42, null, s23, v42, s0
	global_load_dword v45, v[41:42], off
	v_add3_u32 v41, v0, v28, 0xc0
	v_ashrrev_i32_e32 v42, 31, v41
	v_lshlrev_b64 v[41:42], 2, v[41:42]
	v_add_co_u32 v43, s0, s24, v41
	v_add_co_ci_u32_e64 v44, null, s25, v42, s0
	v_add_co_u32 v41, s0, s20, v41
	v_add_co_ci_u32_e64 v42, null, s21, v42, s0
	global_store_dword v[43:44], v39, off
	s_waitcnt vmcnt(0)
	global_store_dword v[41:42], v45, off
	s_or_b32 exec_lo, exec_lo, s19
	s_and_saveexec_b32 s19, s6
	s_cbranch_execz .LBB12_53
.LBB12_116:                             ;   in Loop: Header=BB12_21 Depth=1
	v_add3_u32 v41, v12, s35, 0xe0
	v_add3_u32 v42, v3, s35, 0x60
	v_cndmask_b32_e32 v41, v42, v41, vcc_lo
	v_ashrrev_i32_e32 v42, 31, v41
	v_lshlrev_b64 v[41:42], 2, v[41:42]
	v_add_co_u32 v41, s0, s22, v41
	v_add_co_ci_u32_e64 v42, null, s23, v42, s0
	global_load_dword v45, v[41:42], off
	v_add3_u32 v41, v0, v28, 0xe0
	v_ashrrev_i32_e32 v42, 31, v41
	v_lshlrev_b64 v[41:42], 2, v[41:42]
	v_add_co_u32 v43, s0, s24, v41
	v_add_co_ci_u32_e64 v44, null, s25, v42, s0
	v_add_co_u32 v41, s0, s20, v41
	v_add_co_ci_u32_e64 v42, null, s21, v42, s0
	global_store_dword v[43:44], v40, off
	s_waitcnt vmcnt(0)
	global_store_dword v[41:42], v45, off
	s_or_b32 exec_lo, exec_lo, s19
	s_and_saveexec_b32 s19, s66
	s_cbranch_execz .LBB12_54
.LBB12_117:                             ;   in Loop: Header=BB12_21 Depth=1
	v_add_nc_u32_e32 v41, s35, v13
	v_add3_u32 v42, v2, s35, 0x80
	v_cndmask_b32_e32 v41, v42, v41, vcc_lo
	v_ashrrev_i32_e32 v42, 31, v41
	v_lshlrev_b64 v[41:42], 2, v[41:42]
	v_add_co_u32 v41, s0, s22, v41
	v_add_co_ci_u32_e64 v42, null, s23, v42, s0
	global_load_dword v45, v[41:42], off
	v_add_nc_u32_e32 v41, v0, v27
	v_ashrrev_i32_e32 v42, 31, v41
	v_lshlrev_b64 v[41:42], 2, v[41:42]
	v_add_co_u32 v43, s0, s24, v41
	v_add_co_ci_u32_e64 v44, null, s25, v42, s0
	v_add_co_u32 v41, s0, s20, v41
	v_add_co_ci_u32_e64 v42, null, s21, v42, s0
	global_store_dword v[43:44], v34, off
	s_waitcnt vmcnt(0)
	global_store_dword v[41:42], v45, off
	s_or_b32 exec_lo, exec_lo, s19
	s_and_saveexec_b32 s19, s67
	s_cbranch_execz .LBB12_55
.LBB12_118:                             ;   in Loop: Header=BB12_21 Depth=1
	v_add3_u32 v41, v13, s35, 32
	v_add3_u32 v42, v9, s35, 0x80
	v_cndmask_b32_e32 v41, v42, v41, vcc_lo
	v_ashrrev_i32_e32 v42, 31, v41
	v_lshlrev_b64 v[41:42], 2, v[41:42]
	v_add_co_u32 v41, s0, s22, v41
	v_add_co_ci_u32_e64 v42, null, s23, v42, s0
	global_load_dword v45, v[41:42], off
	v_add3_u32 v41, v0, v27, 32
	v_ashrrev_i32_e32 v42, 31, v41
	v_lshlrev_b64 v[41:42], 2, v[41:42]
	v_add_co_u32 v43, s0, s24, v41
	v_add_co_ci_u32_e64 v44, null, s25, v42, s0
	v_add_co_u32 v41, s0, s20, v41
	v_add_co_ci_u32_e64 v42, null, s21, v42, s0
	global_store_dword v[43:44], v33, off
	s_waitcnt vmcnt(0)
	global_store_dword v[41:42], v45, off
	s_or_b32 exec_lo, exec_lo, s19
	s_and_saveexec_b32 s19, s68
	s_cbranch_execz .LBB12_56
.LBB12_119:                             ;   in Loop: Header=BB12_21 Depth=1
	v_add3_u32 v41, v13, s35, 64
	v_add3_u32 v42, v8, s35, 0x80
	v_cndmask_b32_e32 v41, v42, v41, vcc_lo
	v_ashrrev_i32_e32 v42, 31, v41
	v_lshlrev_b64 v[41:42], 2, v[41:42]
	v_add_co_u32 v41, s0, s22, v41
	v_add_co_ci_u32_e64 v42, null, s23, v42, s0
	global_load_dword v45, v[41:42], off
	v_add3_u32 v41, v0, v27, 64
	v_ashrrev_i32_e32 v42, 31, v41
	v_lshlrev_b64 v[41:42], 2, v[41:42]
	v_add_co_u32 v43, s0, s24, v41
	v_add_co_ci_u32_e64 v44, null, s25, v42, s0
	v_add_co_u32 v41, s0, s20, v41
	v_add_co_ci_u32_e64 v42, null, s21, v42, s0
	global_store_dword v[43:44], v35, off
	s_waitcnt vmcnt(0)
	global_store_dword v[41:42], v45, off
	s_or_b32 exec_lo, exec_lo, s19
	s_and_saveexec_b32 s19, s69
	s_cbranch_execz .LBB12_57
.LBB12_120:                             ;   in Loop: Header=BB12_21 Depth=1
	v_add3_u32 v41, v13, s35, 0x60
	v_add3_u32 v42, v7, s35, 0x80
	v_cndmask_b32_e32 v41, v42, v41, vcc_lo
	v_ashrrev_i32_e32 v42, 31, v41
	v_lshlrev_b64 v[41:42], 2, v[41:42]
	v_add_co_u32 v41, s0, s22, v41
	v_add_co_ci_u32_e64 v42, null, s23, v42, s0
	global_load_dword v45, v[41:42], off
	v_add3_u32 v41, v0, v27, 0x60
	v_ashrrev_i32_e32 v42, 31, v41
	v_lshlrev_b64 v[41:42], 2, v[41:42]
	v_add_co_u32 v43, s0, s24, v41
	v_add_co_ci_u32_e64 v44, null, s25, v42, s0
	v_add_co_u32 v41, s0, s20, v41
	v_add_co_ci_u32_e64 v42, null, s21, v42, s0
	global_store_dword v[43:44], v36, off
	s_waitcnt vmcnt(0)
	global_store_dword v[41:42], v45, off
	s_or_b32 exec_lo, exec_lo, s19
	s_and_saveexec_b32 s19, s70
	s_cbranch_execz .LBB12_58
.LBB12_121:                             ;   in Loop: Header=BB12_21 Depth=1
	v_cndmask_b32_e32 v41, v6, v13, vcc_lo
	v_add3_u32 v41, v41, s35, 0x80
	v_ashrrev_i32_e32 v42, 31, v41
	v_lshlrev_b64 v[41:42], 2, v[41:42]
	v_add_co_u32 v41, s0, s22, v41
	v_add_co_ci_u32_e64 v42, null, s23, v42, s0
	global_load_dword v45, v[41:42], off
	v_add3_u32 v41, v0, v27, 0x80
	v_ashrrev_i32_e32 v42, 31, v41
	v_lshlrev_b64 v[41:42], 2, v[41:42]
	v_add_co_u32 v43, s0, s24, v41
	v_add_co_ci_u32_e64 v44, null, s25, v42, s0
	v_add_co_u32 v41, s0, s20, v41
	v_add_co_ci_u32_e64 v42, null, s21, v42, s0
	global_store_dword v[43:44], v37, off
	s_waitcnt vmcnt(0)
	global_store_dword v[41:42], v45, off
	s_or_b32 exec_lo, exec_lo, s19
	s_and_saveexec_b32 s19, s71
	s_cbranch_execz .LBB12_59
.LBB12_122:                             ;   in Loop: Header=BB12_21 Depth=1
	v_add3_u32 v41, v13, s35, 0xa0
	v_add3_u32 v42, v5, s35, 0x80
	v_cndmask_b32_e32 v41, v42, v41, vcc_lo
	v_ashrrev_i32_e32 v42, 31, v41
	v_lshlrev_b64 v[41:42], 2, v[41:42]
	v_add_co_u32 v41, s0, s22, v41
	v_add_co_ci_u32_e64 v42, null, s23, v42, s0
	global_load_dword v45, v[41:42], off
	v_add3_u32 v41, v0, v27, 0xa0
	v_ashrrev_i32_e32 v42, 31, v41
	v_lshlrev_b64 v[41:42], 2, v[41:42]
	v_add_co_u32 v43, s0, s24, v41
	v_add_co_ci_u32_e64 v44, null, s25, v42, s0
	v_add_co_u32 v41, s0, s20, v41
	v_add_co_ci_u32_e64 v42, null, s21, v42, s0
	global_store_dword v[43:44], v38, off
	s_waitcnt vmcnt(0)
	global_store_dword v[41:42], v45, off
	s_or_b32 exec_lo, exec_lo, s19
	s_and_saveexec_b32 s19, s72
	s_cbranch_execz .LBB12_60
.LBB12_123:                             ;   in Loop: Header=BB12_21 Depth=1
	v_add3_u32 v41, v13, s35, 0xc0
	v_add3_u32 v42, v4, s35, 0x80
	v_cndmask_b32_e32 v41, v42, v41, vcc_lo
	v_ashrrev_i32_e32 v42, 31, v41
	v_lshlrev_b64 v[41:42], 2, v[41:42]
	v_add_co_u32 v41, s0, s22, v41
	v_add_co_ci_u32_e64 v42, null, s23, v42, s0
	global_load_dword v45, v[41:42], off
	v_add3_u32 v41, v0, v27, 0xc0
	v_ashrrev_i32_e32 v42, 31, v41
	v_lshlrev_b64 v[41:42], 2, v[41:42]
	v_add_co_u32 v43, s0, s24, v41
	v_add_co_ci_u32_e64 v44, null, s25, v42, s0
	v_add_co_u32 v41, s0, s20, v41
	v_add_co_ci_u32_e64 v42, null, s21, v42, s0
	global_store_dword v[43:44], v39, off
	s_waitcnt vmcnt(0)
	global_store_dword v[41:42], v45, off
	s_or_b32 exec_lo, exec_lo, s19
	s_and_saveexec_b32 s19, s7
	s_cbranch_execz .LBB12_61
.LBB12_124:                             ;   in Loop: Header=BB12_21 Depth=1
	v_add3_u32 v41, v13, s35, 0xe0
	v_add3_u32 v42, v3, s35, 0x80
	v_cndmask_b32_e32 v41, v42, v41, vcc_lo
	v_ashrrev_i32_e32 v42, 31, v41
	v_lshlrev_b64 v[41:42], 2, v[41:42]
	v_add_co_u32 v41, s0, s22, v41
	v_add_co_ci_u32_e64 v42, null, s23, v42, s0
	global_load_dword v45, v[41:42], off
	v_add3_u32 v41, v0, v27, 0xe0
	v_ashrrev_i32_e32 v42, 31, v41
	v_lshlrev_b64 v[41:42], 2, v[41:42]
	v_add_co_u32 v43, s0, s24, v41
	v_add_co_ci_u32_e64 v44, null, s25, v42, s0
	v_add_co_u32 v41, s0, s20, v41
	v_add_co_ci_u32_e64 v42, null, s21, v42, s0
	global_store_dword v[43:44], v40, off
	s_waitcnt vmcnt(0)
	global_store_dword v[41:42], v45, off
	s_or_b32 exec_lo, exec_lo, s19
	s_and_saveexec_b32 s19, s73
	s_cbranch_execz .LBB12_62
.LBB12_125:                             ;   in Loop: Header=BB12_21 Depth=1
	v_add_nc_u32_e32 v41, s35, v14
	v_add3_u32 v42, v2, s35, 0xa0
	v_cndmask_b32_e32 v41, v42, v41, vcc_lo
	v_ashrrev_i32_e32 v42, 31, v41
	v_lshlrev_b64 v[41:42], 2, v[41:42]
	v_add_co_u32 v41, s0, s22, v41
	v_add_co_ci_u32_e64 v42, null, s23, v42, s0
	global_load_dword v45, v[41:42], off
	v_add_nc_u32_e32 v41, v0, v26
	v_ashrrev_i32_e32 v42, 31, v41
	v_lshlrev_b64 v[41:42], 2, v[41:42]
	v_add_co_u32 v43, s0, s24, v41
	v_add_co_ci_u32_e64 v44, null, s25, v42, s0
	v_add_co_u32 v41, s0, s20, v41
	v_add_co_ci_u32_e64 v42, null, s21, v42, s0
	global_store_dword v[43:44], v34, off
	s_waitcnt vmcnt(0)
	global_store_dword v[41:42], v45, off
	s_or_b32 exec_lo, exec_lo, s19
	s_and_saveexec_b32 s19, s74
	s_cbranch_execz .LBB12_63
.LBB12_126:                             ;   in Loop: Header=BB12_21 Depth=1
	v_add3_u32 v41, v14, s35, 32
	v_add3_u32 v42, v9, s35, 0xa0
	v_cndmask_b32_e32 v41, v42, v41, vcc_lo
	v_ashrrev_i32_e32 v42, 31, v41
	v_lshlrev_b64 v[41:42], 2, v[41:42]
	v_add_co_u32 v41, s0, s22, v41
	v_add_co_ci_u32_e64 v42, null, s23, v42, s0
	global_load_dword v45, v[41:42], off
	v_add3_u32 v41, v0, v26, 32
	v_ashrrev_i32_e32 v42, 31, v41
	v_lshlrev_b64 v[41:42], 2, v[41:42]
	v_add_co_u32 v43, s0, s24, v41
	v_add_co_ci_u32_e64 v44, null, s25, v42, s0
	v_add_co_u32 v41, s0, s20, v41
	v_add_co_ci_u32_e64 v42, null, s21, v42, s0
	global_store_dword v[43:44], v33, off
	s_waitcnt vmcnt(0)
	global_store_dword v[41:42], v45, off
	s_or_b32 exec_lo, exec_lo, s19
	s_and_saveexec_b32 s19, s75
	s_cbranch_execz .LBB12_64
.LBB12_127:                             ;   in Loop: Header=BB12_21 Depth=1
	v_add3_u32 v41, v14, s35, 64
	v_add3_u32 v42, v8, s35, 0xa0
	v_cndmask_b32_e32 v41, v42, v41, vcc_lo
	v_ashrrev_i32_e32 v42, 31, v41
	v_lshlrev_b64 v[41:42], 2, v[41:42]
	v_add_co_u32 v41, s0, s22, v41
	v_add_co_ci_u32_e64 v42, null, s23, v42, s0
	global_load_dword v45, v[41:42], off
	v_add3_u32 v41, v0, v26, 64
	v_ashrrev_i32_e32 v42, 31, v41
	v_lshlrev_b64 v[41:42], 2, v[41:42]
	v_add_co_u32 v43, s0, s24, v41
	v_add_co_ci_u32_e64 v44, null, s25, v42, s0
	v_add_co_u32 v41, s0, s20, v41
	v_add_co_ci_u32_e64 v42, null, s21, v42, s0
	global_store_dword v[43:44], v35, off
	s_waitcnt vmcnt(0)
	global_store_dword v[41:42], v45, off
	s_or_b32 exec_lo, exec_lo, s19
	s_and_saveexec_b32 s19, s76
	s_cbranch_execz .LBB12_65
.LBB12_128:                             ;   in Loop: Header=BB12_21 Depth=1
	v_add3_u32 v41, v14, s35, 0x60
	v_add3_u32 v42, v7, s35, 0xa0
	v_cndmask_b32_e32 v41, v42, v41, vcc_lo
	v_ashrrev_i32_e32 v42, 31, v41
	v_lshlrev_b64 v[41:42], 2, v[41:42]
	v_add_co_u32 v41, s0, s22, v41
	v_add_co_ci_u32_e64 v42, null, s23, v42, s0
	global_load_dword v45, v[41:42], off
	v_add3_u32 v41, v0, v26, 0x60
	v_ashrrev_i32_e32 v42, 31, v41
	v_lshlrev_b64 v[41:42], 2, v[41:42]
	v_add_co_u32 v43, s0, s24, v41
	v_add_co_ci_u32_e64 v44, null, s25, v42, s0
	v_add_co_u32 v41, s0, s20, v41
	v_add_co_ci_u32_e64 v42, null, s21, v42, s0
	global_store_dword v[43:44], v36, off
	s_waitcnt vmcnt(0)
	global_store_dword v[41:42], v45, off
	s_or_b32 exec_lo, exec_lo, s19
	s_and_saveexec_b32 s19, s77
	s_cbranch_execz .LBB12_66
.LBB12_129:                             ;   in Loop: Header=BB12_21 Depth=1
	v_add3_u32 v41, v14, s35, 0x80
	v_add3_u32 v42, v6, s35, 0xa0
	v_cndmask_b32_e32 v41, v42, v41, vcc_lo
	v_ashrrev_i32_e32 v42, 31, v41
	v_lshlrev_b64 v[41:42], 2, v[41:42]
	v_add_co_u32 v41, s0, s22, v41
	v_add_co_ci_u32_e64 v42, null, s23, v42, s0
	global_load_dword v45, v[41:42], off
	v_add3_u32 v41, v0, v26, 0x80
	v_ashrrev_i32_e32 v42, 31, v41
	v_lshlrev_b64 v[41:42], 2, v[41:42]
	v_add_co_u32 v43, s0, s24, v41
	v_add_co_ci_u32_e64 v44, null, s25, v42, s0
	v_add_co_u32 v41, s0, s20, v41
	v_add_co_ci_u32_e64 v42, null, s21, v42, s0
	global_store_dword v[43:44], v37, off
	s_waitcnt vmcnt(0)
	global_store_dword v[41:42], v45, off
	s_or_b32 exec_lo, exec_lo, s19
	s_and_saveexec_b32 s19, s78
	s_cbranch_execz .LBB12_67
.LBB12_130:                             ;   in Loop: Header=BB12_21 Depth=1
	v_cndmask_b32_e32 v41, v5, v14, vcc_lo
	v_add3_u32 v41, v41, s35, 0xa0
	v_ashrrev_i32_e32 v42, 31, v41
	v_lshlrev_b64 v[41:42], 2, v[41:42]
	v_add_co_u32 v41, s0, s22, v41
	v_add_co_ci_u32_e64 v42, null, s23, v42, s0
	global_load_dword v45, v[41:42], off
	v_add3_u32 v41, v0, v26, 0xa0
	v_ashrrev_i32_e32 v42, 31, v41
	v_lshlrev_b64 v[41:42], 2, v[41:42]
	v_add_co_u32 v43, s0, s24, v41
	v_add_co_ci_u32_e64 v44, null, s25, v42, s0
	v_add_co_u32 v41, s0, s20, v41
	v_add_co_ci_u32_e64 v42, null, s21, v42, s0
	global_store_dword v[43:44], v38, off
	s_waitcnt vmcnt(0)
	global_store_dword v[41:42], v45, off
	s_or_b32 exec_lo, exec_lo, s19
	s_and_saveexec_b32 s19, s79
	s_cbranch_execz .LBB12_68
.LBB12_131:                             ;   in Loop: Header=BB12_21 Depth=1
	v_add3_u32 v41, v14, s35, 0xc0
	v_add3_u32 v42, v4, s35, 0xa0
	v_cndmask_b32_e32 v41, v42, v41, vcc_lo
	v_ashrrev_i32_e32 v42, 31, v41
	v_lshlrev_b64 v[41:42], 2, v[41:42]
	v_add_co_u32 v41, s0, s22, v41
	v_add_co_ci_u32_e64 v42, null, s23, v42, s0
	global_load_dword v45, v[41:42], off
	v_add3_u32 v41, v0, v26, 0xc0
	v_ashrrev_i32_e32 v42, 31, v41
	v_lshlrev_b64 v[41:42], 2, v[41:42]
	v_add_co_u32 v43, s0, s24, v41
	v_add_co_ci_u32_e64 v44, null, s25, v42, s0
	v_add_co_u32 v41, s0, s20, v41
	v_add_co_ci_u32_e64 v42, null, s21, v42, s0
	global_store_dword v[43:44], v39, off
	s_waitcnt vmcnt(0)
	global_store_dword v[41:42], v45, off
	s_or_b32 exec_lo, exec_lo, s19
	s_and_saveexec_b32 s19, s8
	s_cbranch_execz .LBB12_69
.LBB12_132:                             ;   in Loop: Header=BB12_21 Depth=1
	v_add3_u32 v41, v14, s35, 0xe0
	v_add3_u32 v42, v3, s35, 0xa0
	v_cndmask_b32_e32 v41, v42, v41, vcc_lo
	v_ashrrev_i32_e32 v42, 31, v41
	v_lshlrev_b64 v[41:42], 2, v[41:42]
	v_add_co_u32 v41, s0, s22, v41
	v_add_co_ci_u32_e64 v42, null, s23, v42, s0
	global_load_dword v45, v[41:42], off
	v_add3_u32 v41, v0, v26, 0xe0
	v_ashrrev_i32_e32 v42, 31, v41
	v_lshlrev_b64 v[41:42], 2, v[41:42]
	v_add_co_u32 v43, s0, s24, v41
	v_add_co_ci_u32_e64 v44, null, s25, v42, s0
	v_add_co_u32 v41, s0, s20, v41
	v_add_co_ci_u32_e64 v42, null, s21, v42, s0
	global_store_dword v[43:44], v40, off
	s_waitcnt vmcnt(0)
	global_store_dword v[41:42], v45, off
	s_or_b32 exec_lo, exec_lo, s19
	s_and_saveexec_b32 s19, s80
	s_cbranch_execz .LBB12_70
.LBB12_133:                             ;   in Loop: Header=BB12_21 Depth=1
	v_add_nc_u32_e32 v41, s35, v15
	v_add3_u32 v42, v2, s35, 0xc0
	v_cndmask_b32_e32 v41, v42, v41, vcc_lo
	v_ashrrev_i32_e32 v42, 31, v41
	v_lshlrev_b64 v[41:42], 2, v[41:42]
	v_add_co_u32 v41, s0, s22, v41
	v_add_co_ci_u32_e64 v42, null, s23, v42, s0
	global_load_dword v45, v[41:42], off
	v_add_nc_u32_e32 v41, v0, v25
	v_ashrrev_i32_e32 v42, 31, v41
	v_lshlrev_b64 v[41:42], 2, v[41:42]
	v_add_co_u32 v43, s0, s24, v41
	v_add_co_ci_u32_e64 v44, null, s25, v42, s0
	v_add_co_u32 v41, s0, s20, v41
	v_add_co_ci_u32_e64 v42, null, s21, v42, s0
	global_store_dword v[43:44], v34, off
	s_waitcnt vmcnt(0)
	global_store_dword v[41:42], v45, off
	s_or_b32 exec_lo, exec_lo, s19
	s_and_saveexec_b32 s19, s81
	s_cbranch_execz .LBB12_71
.LBB12_134:                             ;   in Loop: Header=BB12_21 Depth=1
	v_add3_u32 v41, v15, s35, 32
	v_add3_u32 v42, v9, s35, 0xc0
	v_cndmask_b32_e32 v41, v42, v41, vcc_lo
	v_ashrrev_i32_e32 v42, 31, v41
	v_lshlrev_b64 v[41:42], 2, v[41:42]
	v_add_co_u32 v41, s0, s22, v41
	v_add_co_ci_u32_e64 v42, null, s23, v42, s0
	global_load_dword v45, v[41:42], off
	v_add3_u32 v41, v0, v25, 32
	v_ashrrev_i32_e32 v42, 31, v41
	v_lshlrev_b64 v[41:42], 2, v[41:42]
	v_add_co_u32 v43, s0, s24, v41
	v_add_co_ci_u32_e64 v44, null, s25, v42, s0
	v_add_co_u32 v41, s0, s20, v41
	v_add_co_ci_u32_e64 v42, null, s21, v42, s0
	global_store_dword v[43:44], v33, off
	s_waitcnt vmcnt(0)
	global_store_dword v[41:42], v45, off
	s_or_b32 exec_lo, exec_lo, s19
	s_and_saveexec_b32 s19, s82
	s_cbranch_execz .LBB12_72
.LBB12_135:                             ;   in Loop: Header=BB12_21 Depth=1
	v_add3_u32 v41, v15, s35, 64
	v_add3_u32 v42, v8, s35, 0xc0
	v_cndmask_b32_e32 v41, v42, v41, vcc_lo
	v_ashrrev_i32_e32 v42, 31, v41
	v_lshlrev_b64 v[41:42], 2, v[41:42]
	v_add_co_u32 v41, s0, s22, v41
	v_add_co_ci_u32_e64 v42, null, s23, v42, s0
	global_load_dword v45, v[41:42], off
	v_add3_u32 v41, v0, v25, 64
	v_ashrrev_i32_e32 v42, 31, v41
	v_lshlrev_b64 v[41:42], 2, v[41:42]
	v_add_co_u32 v43, s0, s24, v41
	v_add_co_ci_u32_e64 v44, null, s25, v42, s0
	v_add_co_u32 v41, s0, s20, v41
	v_add_co_ci_u32_e64 v42, null, s21, v42, s0
	global_store_dword v[43:44], v35, off
	s_waitcnt vmcnt(0)
	global_store_dword v[41:42], v45, off
	s_or_b32 exec_lo, exec_lo, s19
	s_and_saveexec_b32 s19, s83
	s_cbranch_execz .LBB12_73
.LBB12_136:                             ;   in Loop: Header=BB12_21 Depth=1
	v_add3_u32 v41, v15, s35, 0x60
	v_add3_u32 v42, v7, s35, 0xc0
	v_cndmask_b32_e32 v41, v42, v41, vcc_lo
	v_ashrrev_i32_e32 v42, 31, v41
	v_lshlrev_b64 v[41:42], 2, v[41:42]
	v_add_co_u32 v41, s0, s22, v41
	v_add_co_ci_u32_e64 v42, null, s23, v42, s0
	global_load_dword v45, v[41:42], off
	v_add3_u32 v41, v0, v25, 0x60
	v_ashrrev_i32_e32 v42, 31, v41
	v_lshlrev_b64 v[41:42], 2, v[41:42]
	v_add_co_u32 v43, s0, s24, v41
	v_add_co_ci_u32_e64 v44, null, s25, v42, s0
	v_add_co_u32 v41, s0, s20, v41
	v_add_co_ci_u32_e64 v42, null, s21, v42, s0
	global_store_dword v[43:44], v36, off
	s_waitcnt vmcnt(0)
	global_store_dword v[41:42], v45, off
	s_or_b32 exec_lo, exec_lo, s19
	s_and_saveexec_b32 s19, s84
	s_cbranch_execz .LBB12_74
.LBB12_137:                             ;   in Loop: Header=BB12_21 Depth=1
	v_add3_u32 v41, v15, s35, 0x80
	v_add3_u32 v42, v6, s35, 0xc0
	v_cndmask_b32_e32 v41, v42, v41, vcc_lo
	v_ashrrev_i32_e32 v42, 31, v41
	v_lshlrev_b64 v[41:42], 2, v[41:42]
	v_add_co_u32 v41, s0, s22, v41
	v_add_co_ci_u32_e64 v42, null, s23, v42, s0
	global_load_dword v45, v[41:42], off
	v_add3_u32 v41, v0, v25, 0x80
	v_ashrrev_i32_e32 v42, 31, v41
	v_lshlrev_b64 v[41:42], 2, v[41:42]
	v_add_co_u32 v43, s0, s24, v41
	v_add_co_ci_u32_e64 v44, null, s25, v42, s0
	v_add_co_u32 v41, s0, s20, v41
	v_add_co_ci_u32_e64 v42, null, s21, v42, s0
	global_store_dword v[43:44], v37, off
	s_waitcnt vmcnt(0)
	global_store_dword v[41:42], v45, off
	s_or_b32 exec_lo, exec_lo, s19
	s_and_saveexec_b32 s19, s85
	s_cbranch_execz .LBB12_75
.LBB12_138:                             ;   in Loop: Header=BB12_21 Depth=1
	v_add3_u32 v41, v15, s35, 0xa0
	v_add3_u32 v42, v5, s35, 0xc0
	v_cndmask_b32_e32 v41, v42, v41, vcc_lo
	v_ashrrev_i32_e32 v42, 31, v41
	v_lshlrev_b64 v[41:42], 2, v[41:42]
	v_add_co_u32 v41, s0, s22, v41
	v_add_co_ci_u32_e64 v42, null, s23, v42, s0
	global_load_dword v45, v[41:42], off
	v_add3_u32 v41, v0, v25, 0xa0
	v_ashrrev_i32_e32 v42, 31, v41
	v_lshlrev_b64 v[41:42], 2, v[41:42]
	v_add_co_u32 v43, s0, s24, v41
	v_add_co_ci_u32_e64 v44, null, s25, v42, s0
	v_add_co_u32 v41, s0, s20, v41
	v_add_co_ci_u32_e64 v42, null, s21, v42, s0
	global_store_dword v[43:44], v38, off
	s_waitcnt vmcnt(0)
	global_store_dword v[41:42], v45, off
	s_or_b32 exec_lo, exec_lo, s19
	s_and_saveexec_b32 s19, s86
	s_cbranch_execz .LBB12_76
.LBB12_139:                             ;   in Loop: Header=BB12_21 Depth=1
	v_cndmask_b32_e32 v41, v4, v15, vcc_lo
	v_add3_u32 v41, v41, s35, 0xc0
	v_ashrrev_i32_e32 v42, 31, v41
	v_lshlrev_b64 v[41:42], 2, v[41:42]
	v_add_co_u32 v41, s0, s22, v41
	v_add_co_ci_u32_e64 v42, null, s23, v42, s0
	global_load_dword v45, v[41:42], off
	v_add3_u32 v41, v0, v25, 0xc0
	v_ashrrev_i32_e32 v42, 31, v41
	v_lshlrev_b64 v[41:42], 2, v[41:42]
	v_add_co_u32 v43, s0, s24, v41
	v_add_co_ci_u32_e64 v44, null, s25, v42, s0
	v_add_co_u32 v41, s0, s20, v41
	v_add_co_ci_u32_e64 v42, null, s21, v42, s0
	global_store_dword v[43:44], v39, off
	s_waitcnt vmcnt(0)
	global_store_dword v[41:42], v45, off
	s_or_b32 exec_lo, exec_lo, s19
	s_and_saveexec_b32 s19, s9
	s_cbranch_execz .LBB12_77
.LBB12_140:                             ;   in Loop: Header=BB12_21 Depth=1
	v_add3_u32 v41, v15, s35, 0xe0
	v_add3_u32 v42, v3, s35, 0xc0
	v_cndmask_b32_e32 v41, v42, v41, vcc_lo
	v_ashrrev_i32_e32 v42, 31, v41
	v_lshlrev_b64 v[41:42], 2, v[41:42]
	v_add_co_u32 v41, s0, s22, v41
	v_add_co_ci_u32_e64 v42, null, s23, v42, s0
	global_load_dword v45, v[41:42], off
	v_add3_u32 v41, v0, v25, 0xe0
	v_ashrrev_i32_e32 v42, 31, v41
	v_lshlrev_b64 v[41:42], 2, v[41:42]
	v_add_co_u32 v43, s0, s24, v41
	v_add_co_ci_u32_e64 v44, null, s25, v42, s0
	v_add_co_u32 v41, s0, s20, v41
	v_add_co_ci_u32_e64 v42, null, s21, v42, s0
	global_store_dword v[43:44], v40, off
	s_waitcnt vmcnt(0)
	global_store_dword v[41:42], v45, off
	s_or_b32 exec_lo, exec_lo, s19
	s_and_saveexec_b32 s19, s4
	s_cbranch_execz .LBB12_78
.LBB12_141:                             ;   in Loop: Header=BB12_21 Depth=1
	v_add_nc_u32_e32 v41, s35, v16
	v_add3_u32 v42, v2, s35, 0xe0
	v_cndmask_b32_e32 v41, v42, v41, vcc_lo
	v_ashrrev_i32_e32 v42, 31, v41
	v_lshlrev_b64 v[41:42], 2, v[41:42]
	v_add_co_u32 v41, s0, s22, v41
	v_add_co_ci_u32_e64 v42, null, s23, v42, s0
	global_load_dword v45, v[41:42], off
	v_add_nc_u32_e32 v41, v0, v17
	v_ashrrev_i32_e32 v42, 31, v41
	v_lshlrev_b64 v[41:42], 2, v[41:42]
	v_add_co_u32 v43, s0, s24, v41
	v_add_co_ci_u32_e64 v44, null, s25, v42, s0
	v_add_co_u32 v41, s0, s20, v41
	v_add_co_ci_u32_e64 v42, null, s21, v42, s0
	global_store_dword v[43:44], v34, off
	s_waitcnt vmcnt(0)
	global_store_dword v[41:42], v45, off
	s_or_b32 exec_lo, exec_lo, s19
	s_and_saveexec_b32 s19, s5
	s_cbranch_execz .LBB12_79
.LBB12_142:                             ;   in Loop: Header=BB12_21 Depth=1
	v_add3_u32 v34, v16, s35, 32
	v_add3_u32 v41, v9, s35, 0xe0
	v_cndmask_b32_e32 v41, v41, v34, vcc_lo
	v_ashrrev_i32_e32 v42, 31, v41
	v_lshlrev_b64 v[41:42], 2, v[41:42]
	v_add_co_u32 v41, s0, s22, v41
	v_add_co_ci_u32_e64 v42, null, s23, v42, s0
	global_load_dword v34, v[41:42], off
	v_add3_u32 v41, v0, v17, 32
	v_ashrrev_i32_e32 v42, 31, v41
	v_lshlrev_b64 v[41:42], 2, v[41:42]
	v_add_co_u32 v43, s0, s24, v41
	v_add_co_ci_u32_e64 v44, null, s25, v42, s0
	v_add_co_u32 v41, s0, s20, v41
	v_add_co_ci_u32_e64 v42, null, s21, v42, s0
	global_store_dword v[43:44], v33, off
	s_waitcnt vmcnt(0)
	global_store_dword v[41:42], v34, off
	s_or_b32 exec_lo, exec_lo, s19
	s_and_saveexec_b32 s19, s10
	s_cbranch_execz .LBB12_80
.LBB12_143:                             ;   in Loop: Header=BB12_21 Depth=1
	v_add3_u32 v33, v16, s35, 64
	v_add3_u32 v34, v8, s35, 0xe0
	v_cndmask_b32_e32 v33, v34, v33, vcc_lo
	v_ashrrev_i32_e32 v34, 31, v33
	v_lshlrev_b64 v[33:34], 2, v[33:34]
	v_add_co_u32 v33, s0, s22, v33
	v_add_co_ci_u32_e64 v34, null, s23, v34, s0
	global_load_dword v43, v[33:34], off
	v_add3_u32 v33, v0, v17, 64
	v_ashrrev_i32_e32 v34, 31, v33
	v_lshlrev_b64 v[33:34], 2, v[33:34]
	v_add_co_u32 v41, s0, s24, v33
	v_add_co_ci_u32_e64 v42, null, s25, v34, s0
	v_add_co_u32 v33, s0, s20, v33
	v_add_co_ci_u32_e64 v34, null, s21, v34, s0
	global_store_dword v[41:42], v35, off
	s_waitcnt vmcnt(0)
	global_store_dword v[33:34], v43, off
	s_or_b32 exec_lo, exec_lo, s19
	s_and_saveexec_b32 s19, s11
	s_cbranch_execz .LBB12_81
.LBB12_144:                             ;   in Loop: Header=BB12_21 Depth=1
	v_add3_u32 v33, v16, s35, 0x60
	v_add3_u32 v34, v7, s35, 0xe0
	v_cndmask_b32_e32 v33, v34, v33, vcc_lo
	v_ashrrev_i32_e32 v34, 31, v33
	v_lshlrev_b64 v[33:34], 2, v[33:34]
	v_add_co_u32 v33, s0, s22, v33
	v_add_co_ci_u32_e64 v34, null, s23, v34, s0
	global_load_dword v35, v[33:34], off
	v_add3_u32 v33, v0, v17, 0x60
	v_ashrrev_i32_e32 v34, 31, v33
	v_lshlrev_b64 v[33:34], 2, v[33:34]
	v_add_co_u32 v41, s0, s24, v33
	v_add_co_ci_u32_e64 v42, null, s25, v34, s0
	v_add_co_u32 v33, s0, s20, v33
	v_add_co_ci_u32_e64 v34, null, s21, v34, s0
	global_store_dword v[41:42], v36, off
	s_waitcnt vmcnt(0)
	global_store_dword v[33:34], v35, off
	s_or_b32 exec_lo, exec_lo, s19
	s_and_saveexec_b32 s19, s12
	s_cbranch_execz .LBB12_82
.LBB12_145:                             ;   in Loop: Header=BB12_21 Depth=1
	v_add3_u32 v33, v16, s35, 0x80
	v_add3_u32 v34, v6, s35, 0xe0
	v_cndmask_b32_e32 v33, v34, v33, vcc_lo
	v_ashrrev_i32_e32 v34, 31, v33
	v_lshlrev_b64 v[33:34], 2, v[33:34]
	v_add_co_u32 v33, s0, s22, v33
	v_add_co_ci_u32_e64 v34, null, s23, v34, s0
	global_load_dword v41, v[33:34], off
	v_add3_u32 v33, v0, v17, 0x80
	v_ashrrev_i32_e32 v34, 31, v33
	v_lshlrev_b64 v[33:34], 2, v[33:34]
	v_add_co_u32 v35, s0, s24, v33
	v_add_co_ci_u32_e64 v36, null, s25, v34, s0
	v_add_co_u32 v33, s0, s20, v33
	v_add_co_ci_u32_e64 v34, null, s21, v34, s0
	global_store_dword v[35:36], v37, off
	s_waitcnt vmcnt(0)
	global_store_dword v[33:34], v41, off
	s_or_b32 exec_lo, exec_lo, s19
	s_and_saveexec_b32 s19, s13
	s_cbranch_execz .LBB12_83
.LBB12_146:                             ;   in Loop: Header=BB12_21 Depth=1
	v_add3_u32 v33, v16, s35, 0xa0
	v_add3_u32 v34, v5, s35, 0xe0
	v_cndmask_b32_e32 v33, v34, v33, vcc_lo
	v_ashrrev_i32_e32 v34, 31, v33
	v_lshlrev_b64 v[33:34], 2, v[33:34]
	v_add_co_u32 v33, s0, s22, v33
	v_add_co_ci_u32_e64 v34, null, s23, v34, s0
	global_load_dword v37, v[33:34], off
	v_add3_u32 v33, v0, v17, 0xa0
	v_ashrrev_i32_e32 v34, 31, v33
	v_lshlrev_b64 v[33:34], 2, v[33:34]
	v_add_co_u32 v35, s0, s24, v33
	v_add_co_ci_u32_e64 v36, null, s25, v34, s0
	v_add_co_u32 v33, s0, s20, v33
	v_add_co_ci_u32_e64 v34, null, s21, v34, s0
	global_store_dword v[35:36], v38, off
	s_waitcnt vmcnt(0)
	global_store_dword v[33:34], v37, off
	s_or_b32 exec_lo, exec_lo, s19
	s_and_saveexec_b32 s19, s14
	s_cbranch_execz .LBB12_84
.LBB12_147:                             ;   in Loop: Header=BB12_21 Depth=1
	v_add3_u32 v33, v16, s35, 0xc0
	v_add3_u32 v34, v4, s35, 0xe0
	v_cndmask_b32_e32 v33, v34, v33, vcc_lo
	v_ashrrev_i32_e32 v34, 31, v33
	v_lshlrev_b64 v[33:34], 2, v[33:34]
	v_add_co_u32 v33, s0, s22, v33
	v_add_co_ci_u32_e64 v34, null, s23, v34, s0
	global_load_dword v37, v[33:34], off
	v_add3_u32 v33, v0, v17, 0xc0
	v_ashrrev_i32_e32 v34, 31, v33
	v_lshlrev_b64 v[33:34], 2, v[33:34]
	v_add_co_u32 v35, s0, s24, v33
	v_add_co_ci_u32_e64 v36, null, s25, v34, s0
	v_add_co_u32 v33, s0, s20, v33
	v_add_co_ci_u32_e64 v34, null, s21, v34, s0
	global_store_dword v[35:36], v39, off
	s_waitcnt vmcnt(0)
	global_store_dword v[33:34], v37, off
	s_or_b32 exec_lo, exec_lo, s19
	s_and_saveexec_b32 s19, s15
	s_cbranch_execz .LBB12_20
.LBB12_148:                             ;   in Loop: Header=BB12_21 Depth=1
	v_cndmask_b32_e32 v33, v3, v16, vcc_lo
	v_add3_u32 v33, v33, s35, 0xe0
	v_ashrrev_i32_e32 v34, 31, v33
	v_lshlrev_b64 v[33:34], 2, v[33:34]
	v_add_co_u32 v33, s0, s22, v33
	v_add_co_ci_u32_e64 v34, null, s23, v34, s0
	global_load_dword v37, v[33:34], off
	v_add3_u32 v33, v0, v17, 0xe0
	v_ashrrev_i32_e32 v34, 31, v33
	v_lshlrev_b64 v[33:34], 2, v[33:34]
	v_add_co_u32 v35, s0, s24, v33
	v_add_co_ci_u32_e64 v36, null, s25, v34, s0
	v_add_co_u32 v33, s0, s20, v33
	v_add_co_ci_u32_e64 v34, null, s21, v34, s0
	global_store_dword v[35:36], v40, off
	s_waitcnt vmcnt(0)
	global_store_dword v[33:34], v37, off
	s_branch .LBB12_20
.LBB12_149:
	s_endpgm
	.section	.rodata,"a",@progbits
	.p2align	6, 0x0
	.amdhsa_kernel _ZN9rocsparseL35bsr2csr_block_per_row_33_256_kernelILj1024ELj256ELj32EiiiEEv20rocsparse_direction_T4_S2_21rocsparse_index_base_PKT2_PKT3_PKS2_S2_S3_PS4_PS7_PS2_
		.amdhsa_group_segment_fixed_size 0
		.amdhsa_private_segment_fixed_size 0
		.amdhsa_kernarg_size 72
		.amdhsa_user_sgpr_count 6
		.amdhsa_user_sgpr_private_segment_buffer 1
		.amdhsa_user_sgpr_dispatch_ptr 0
		.amdhsa_user_sgpr_queue_ptr 0
		.amdhsa_user_sgpr_kernarg_segment_ptr 1
		.amdhsa_user_sgpr_dispatch_id 0
		.amdhsa_user_sgpr_flat_scratch_init 0
		.amdhsa_user_sgpr_private_segment_size 0
		.amdhsa_wavefront_size32 1
		.amdhsa_uses_dynamic_stack 0
		.amdhsa_system_sgpr_private_segment_wavefront_offset 0
		.amdhsa_system_sgpr_workgroup_id_x 1
		.amdhsa_system_sgpr_workgroup_id_y 0
		.amdhsa_system_sgpr_workgroup_id_z 0
		.amdhsa_system_sgpr_workgroup_info 0
		.amdhsa_system_vgpr_workitem_id 0
		.amdhsa_next_free_vgpr 46
		.amdhsa_next_free_sgpr 87
		.amdhsa_reserve_vcc 1
		.amdhsa_reserve_flat_scratch 0
		.amdhsa_float_round_mode_32 0
		.amdhsa_float_round_mode_16_64 0
		.amdhsa_float_denorm_mode_32 3
		.amdhsa_float_denorm_mode_16_64 3
		.amdhsa_dx10_clamp 1
		.amdhsa_ieee_mode 1
		.amdhsa_fp16_overflow 0
		.amdhsa_workgroup_processor_mode 1
		.amdhsa_memory_ordered 1
		.amdhsa_forward_progress 1
		.amdhsa_shared_vgpr_count 0
		.amdhsa_exception_fp_ieee_invalid_op 0
		.amdhsa_exception_fp_denorm_src 0
		.amdhsa_exception_fp_ieee_div_zero 0
		.amdhsa_exception_fp_ieee_overflow 0
		.amdhsa_exception_fp_ieee_underflow 0
		.amdhsa_exception_fp_ieee_inexact 0
		.amdhsa_exception_int_div_zero 0
	.end_amdhsa_kernel
	.section	.text._ZN9rocsparseL35bsr2csr_block_per_row_33_256_kernelILj1024ELj256ELj32EiiiEEv20rocsparse_direction_T4_S2_21rocsparse_index_base_PKT2_PKT3_PKS2_S2_S3_PS4_PS7_PS2_,"axG",@progbits,_ZN9rocsparseL35bsr2csr_block_per_row_33_256_kernelILj1024ELj256ELj32EiiiEEv20rocsparse_direction_T4_S2_21rocsparse_index_base_PKT2_PKT3_PKS2_S2_S3_PS4_PS7_PS2_,comdat
.Lfunc_end12:
	.size	_ZN9rocsparseL35bsr2csr_block_per_row_33_256_kernelILj1024ELj256ELj32EiiiEEv20rocsparse_direction_T4_S2_21rocsparse_index_base_PKT2_PKT3_PKS2_S2_S3_PS4_PS7_PS2_, .Lfunc_end12-_ZN9rocsparseL35bsr2csr_block_per_row_33_256_kernelILj1024ELj256ELj32EiiiEEv20rocsparse_direction_T4_S2_21rocsparse_index_base_PKT2_PKT3_PKS2_S2_S3_PS4_PS7_PS2_
                                        ; -- End function
	.set _ZN9rocsparseL35bsr2csr_block_per_row_33_256_kernelILj1024ELj256ELj32EiiiEEv20rocsparse_direction_T4_S2_21rocsparse_index_base_PKT2_PKT3_PKS2_S2_S3_PS4_PS7_PS2_.num_vgpr, 46
	.set _ZN9rocsparseL35bsr2csr_block_per_row_33_256_kernelILj1024ELj256ELj32EiiiEEv20rocsparse_direction_T4_S2_21rocsparse_index_base_PKT2_PKT3_PKS2_S2_S3_PS4_PS7_PS2_.num_agpr, 0
	.set _ZN9rocsparseL35bsr2csr_block_per_row_33_256_kernelILj1024ELj256ELj32EiiiEEv20rocsparse_direction_T4_S2_21rocsparse_index_base_PKT2_PKT3_PKS2_S2_S3_PS4_PS7_PS2_.numbered_sgpr, 87
	.set _ZN9rocsparseL35bsr2csr_block_per_row_33_256_kernelILj1024ELj256ELj32EiiiEEv20rocsparse_direction_T4_S2_21rocsparse_index_base_PKT2_PKT3_PKS2_S2_S3_PS4_PS7_PS2_.num_named_barrier, 0
	.set _ZN9rocsparseL35bsr2csr_block_per_row_33_256_kernelILj1024ELj256ELj32EiiiEEv20rocsparse_direction_T4_S2_21rocsparse_index_base_PKT2_PKT3_PKS2_S2_S3_PS4_PS7_PS2_.private_seg_size, 0
	.set _ZN9rocsparseL35bsr2csr_block_per_row_33_256_kernelILj1024ELj256ELj32EiiiEEv20rocsparse_direction_T4_S2_21rocsparse_index_base_PKT2_PKT3_PKS2_S2_S3_PS4_PS7_PS2_.uses_vcc, 1
	.set _ZN9rocsparseL35bsr2csr_block_per_row_33_256_kernelILj1024ELj256ELj32EiiiEEv20rocsparse_direction_T4_S2_21rocsparse_index_base_PKT2_PKT3_PKS2_S2_S3_PS4_PS7_PS2_.uses_flat_scratch, 0
	.set _ZN9rocsparseL35bsr2csr_block_per_row_33_256_kernelILj1024ELj256ELj32EiiiEEv20rocsparse_direction_T4_S2_21rocsparse_index_base_PKT2_PKT3_PKS2_S2_S3_PS4_PS7_PS2_.has_dyn_sized_stack, 0
	.set _ZN9rocsparseL35bsr2csr_block_per_row_33_256_kernelILj1024ELj256ELj32EiiiEEv20rocsparse_direction_T4_S2_21rocsparse_index_base_PKT2_PKT3_PKS2_S2_S3_PS4_PS7_PS2_.has_recursion, 0
	.set _ZN9rocsparseL35bsr2csr_block_per_row_33_256_kernelILj1024ELj256ELj32EiiiEEv20rocsparse_direction_T4_S2_21rocsparse_index_base_PKT2_PKT3_PKS2_S2_S3_PS4_PS7_PS2_.has_indirect_call, 0
	.section	.AMDGPU.csdata,"",@progbits
; Kernel info:
; codeLenInByte = 11904
; TotalNumSgprs: 89
; NumVgprs: 46
; ScratchSize: 0
; MemoryBound: 0
; FloatMode: 240
; IeeeMode: 1
; LDSByteSize: 0 bytes/workgroup (compile time only)
; SGPRBlocks: 0
; VGPRBlocks: 5
; NumSGPRsForWavesPerEU: 89
; NumVGPRsForWavesPerEU: 46
; Occupancy: 16
; WaveLimiterHint : 1
; COMPUTE_PGM_RSRC2:SCRATCH_EN: 0
; COMPUTE_PGM_RSRC2:USER_SGPR: 6
; COMPUTE_PGM_RSRC2:TRAP_HANDLER: 0
; COMPUTE_PGM_RSRC2:TGID_X_EN: 1
; COMPUTE_PGM_RSRC2:TGID_Y_EN: 0
; COMPUTE_PGM_RSRC2:TGID_Z_EN: 0
; COMPUTE_PGM_RSRC2:TIDIG_COMP_CNT: 0
	.section	.text._ZN9rocsparseL35bsr2csr_block_dim_equals_one_kernelILj1024EiliEEvT2_S1_21rocsparse_index_base_PKT0_PKT1_PKS1_S2_PS3_PS6_PS1_,"axG",@progbits,_ZN9rocsparseL35bsr2csr_block_dim_equals_one_kernelILj1024EiliEEvT2_S1_21rocsparse_index_base_PKT0_PKT1_PKS1_S2_PS3_PS6_PS1_,comdat
	.globl	_ZN9rocsparseL35bsr2csr_block_dim_equals_one_kernelILj1024EiliEEvT2_S1_21rocsparse_index_base_PKT0_PKT1_PKS1_S2_PS3_PS6_PS1_ ; -- Begin function _ZN9rocsparseL35bsr2csr_block_dim_equals_one_kernelILj1024EiliEEvT2_S1_21rocsparse_index_base_PKT0_PKT1_PKS1_S2_PS3_PS6_PS1_
	.p2align	8
	.type	_ZN9rocsparseL35bsr2csr_block_dim_equals_one_kernelILj1024EiliEEvT2_S1_21rocsparse_index_base_PKT0_PKT1_PKS1_S2_PS3_PS6_PS1_,@function
_ZN9rocsparseL35bsr2csr_block_dim_equals_one_kernelILj1024EiliEEvT2_S1_21rocsparse_index_base_PKT0_PKT1_PKS1_S2_PS3_PS6_PS1_: ; @_ZN9rocsparseL35bsr2csr_block_dim_equals_one_kernelILj1024EiliEEvT2_S1_21rocsparse_index_base_PKT0_PKT1_PKS1_S2_PS3_PS6_PS1_
; %bb.0:
	s_clause 0x1
	s_load_dword s12, s[4:5], 0x0
	s_load_dwordx2 s[0:1], s[4:5], 0x18
	s_lshl_b32 s18, s6, 10
	s_mov_b32 s2, exec_lo
	v_or_b32_e32 v1, s18, v0
	v_ashrrev_i32_e32 v2, 31, v1
	s_waitcnt lgkmcnt(0)
	v_cmpx_le_i32_e64 s12, v1
	s_xor_b32 s2, exec_lo, s2
	s_or_saveexec_b32 s13, s2
	s_clause 0x5
	s_load_dwordx2 s[2:3], s[4:5], 0x40
	s_load_dwordx2 s[6:7], s[4:5], 0x30
	;; [unrolled: 1-line block ×4, first 2 shown]
	s_load_dword s19, s[4:5], 0x28
	s_load_dword s20, s[4:5], 0x8
	s_xor_b32 exec_lo, exec_lo, s13
	s_cbranch_execz .LBB13_6
; %bb.1:
	s_load_dwordx2 s[14:15], s[4:5], 0x38
	s_mov_b32 s21, exec_lo
                                        ; implicit-def: $sgpr16_sgpr17
	v_cmpx_ne_u32_e32 0, v1
	s_xor_b32 s21, exec_lo, s21
	s_cbranch_execz .LBB13_3
; %bb.2:
	s_waitcnt lgkmcnt(0)
	s_sub_u32 s16, s19, s20
	s_subb_u32 s17, 0, 0
.LBB13_3:
	s_or_saveexec_b32 s21, s21
	v_mov_b32_e32 v3, s16
	v_mov_b32_e32 v4, s17
	s_xor_b32 exec_lo, exec_lo, s21
	s_cbranch_execz .LBB13_5
; %bb.4:
	s_load_dwordx2 s[16:17], s[0:1], 0x0
	s_waitcnt lgkmcnt(0)
	s_sub_u32 s22, s19, s20
	s_subb_u32 s23, 0, 0
	v_mov_b32_e32 v3, s22
	v_mov_b32_e32 v7, 0
	v_mov_b32_e32 v4, s23
	s_add_u32 s16, s22, s16
	s_addc_u32 s17, s23, s17
	v_mov_b32_e32 v5, s16
	v_mov_b32_e32 v6, s17
	global_store_dwordx2 v7, v[5:6], s[14:15]
.LBB13_5:
	s_or_b32 exec_lo, exec_lo, s21
	v_lshlrev_b64 v[5:6], 3, v[1:2]
	v_add_co_u32 v7, vcc_lo, s0, v5
	v_add_co_ci_u32_e64 v8, null, s1, v6, vcc_lo
	global_load_dwordx2 v[7:8], v[7:8], off offset:8
	s_waitcnt vmcnt(0)
	v_add_co_u32 v3, vcc_lo, v3, v7
	v_add_co_ci_u32_e64 v4, null, v4, v8, vcc_lo
	s_waitcnt lgkmcnt(0)
	v_add_co_u32 v5, vcc_lo, s14, v5
	v_add_co_ci_u32_e64 v6, null, s15, v6, vcc_lo
	global_store_dwordx2 v[5:6], v[3:4], off offset:8
.LBB13_6:
	s_or_b32 exec_lo, exec_lo, s13
	s_ashr_i32 s13, s12, 31
	s_lshl_b64 s[12:13], s[12:13], 3
	s_add_u32 s12, s0, s12
	s_addc_u32 s13, s1, s13
	s_clause 0x1
	s_load_dwordx2 s[12:13], s[12:13], 0x0
	s_load_dwordx2 s[0:1], s[0:1], 0x0
	s_waitcnt lgkmcnt(0)
	s_sub_u32 s12, s12, s0
	s_subb_u32 s13, s13, s1
	s_mov_b32 s0, exec_lo
	v_cmpx_gt_i64_e64 s[12:13], v[1:2]
	s_cbranch_execz .LBB13_9
; %bb.7:
	s_load_dword s0, s[4:5], 0x48
	s_sub_i32 s4, s19, s20
	s_mov_b32 s5, 0
	s_waitcnt lgkmcnt(0)
	s_lshl_b32 s1, s0, 10
	v_add3_u32 v3, s1, s18, v0
	s_inst_prefetch 0x1
	.p2align	6
.LBB13_8:                               ; =>This Inner Loop Header: Depth=1
	v_lshlrev_b64 v[5:6], 2, v[1:2]
	v_ashrrev_i32_e32 v4, 31, v3
	v_add_co_u32 v0, vcc_lo, s10, v5
	v_add_co_ci_u32_e64 v1, null, s11, v6, vcc_lo
	v_add_co_u32 v7, vcc_lo, s8, v5
	v_add_co_ci_u32_e64 v8, null, s9, v6, vcc_lo
	global_load_dword v0, v[0:1], off
	global_load_dword v9, v[7:8], off
	v_add_co_u32 v7, s0, s2, v5
	v_mov_b32_e32 v1, v3
	v_cmp_le_i64_e32 vcc_lo, s[12:13], v[3:4]
	v_mov_b32_e32 v2, v4
	v_add_co_ci_u32_e64 v8, null, s3, v6, s0
	v_add_co_u32 v4, s0, s6, v5
	v_add_co_ci_u32_e64 v5, null, s7, v6, s0
	v_add_nc_u32_e32 v3, s1, v3
	s_or_b32 s5, vcc_lo, s5
	s_waitcnt vmcnt(1)
	v_add_nc_u32_e32 v0, s4, v0
	s_waitcnt vmcnt(0)
	global_store_dword v[4:5], v9, off
	global_store_dword v[7:8], v0, off
	s_andn2_b32 exec_lo, exec_lo, s5
	s_cbranch_execnz .LBB13_8
.LBB13_9:
	s_inst_prefetch 0x2
	s_endpgm
	.section	.rodata,"a",@progbits
	.p2align	6, 0x0
	.amdhsa_kernel _ZN9rocsparseL35bsr2csr_block_dim_equals_one_kernelILj1024EiliEEvT2_S1_21rocsparse_index_base_PKT0_PKT1_PKS1_S2_PS3_PS6_PS1_
		.amdhsa_group_segment_fixed_size 0
		.amdhsa_private_segment_fixed_size 0
		.amdhsa_kernarg_size 328
		.amdhsa_user_sgpr_count 6
		.amdhsa_user_sgpr_private_segment_buffer 1
		.amdhsa_user_sgpr_dispatch_ptr 0
		.amdhsa_user_sgpr_queue_ptr 0
		.amdhsa_user_sgpr_kernarg_segment_ptr 1
		.amdhsa_user_sgpr_dispatch_id 0
		.amdhsa_user_sgpr_flat_scratch_init 0
		.amdhsa_user_sgpr_private_segment_size 0
		.amdhsa_wavefront_size32 1
		.amdhsa_uses_dynamic_stack 0
		.amdhsa_system_sgpr_private_segment_wavefront_offset 0
		.amdhsa_system_sgpr_workgroup_id_x 1
		.amdhsa_system_sgpr_workgroup_id_y 0
		.amdhsa_system_sgpr_workgroup_id_z 0
		.amdhsa_system_sgpr_workgroup_info 0
		.amdhsa_system_vgpr_workitem_id 0
		.amdhsa_next_free_vgpr 10
		.amdhsa_next_free_sgpr 24
		.amdhsa_reserve_vcc 1
		.amdhsa_reserve_flat_scratch 0
		.amdhsa_float_round_mode_32 0
		.amdhsa_float_round_mode_16_64 0
		.amdhsa_float_denorm_mode_32 3
		.amdhsa_float_denorm_mode_16_64 3
		.amdhsa_dx10_clamp 1
		.amdhsa_ieee_mode 1
		.amdhsa_fp16_overflow 0
		.amdhsa_workgroup_processor_mode 1
		.amdhsa_memory_ordered 1
		.amdhsa_forward_progress 1
		.amdhsa_shared_vgpr_count 0
		.amdhsa_exception_fp_ieee_invalid_op 0
		.amdhsa_exception_fp_denorm_src 0
		.amdhsa_exception_fp_ieee_div_zero 0
		.amdhsa_exception_fp_ieee_overflow 0
		.amdhsa_exception_fp_ieee_underflow 0
		.amdhsa_exception_fp_ieee_inexact 0
		.amdhsa_exception_int_div_zero 0
	.end_amdhsa_kernel
	.section	.text._ZN9rocsparseL35bsr2csr_block_dim_equals_one_kernelILj1024EiliEEvT2_S1_21rocsparse_index_base_PKT0_PKT1_PKS1_S2_PS3_PS6_PS1_,"axG",@progbits,_ZN9rocsparseL35bsr2csr_block_dim_equals_one_kernelILj1024EiliEEvT2_S1_21rocsparse_index_base_PKT0_PKT1_PKS1_S2_PS3_PS6_PS1_,comdat
.Lfunc_end13:
	.size	_ZN9rocsparseL35bsr2csr_block_dim_equals_one_kernelILj1024EiliEEvT2_S1_21rocsparse_index_base_PKT0_PKT1_PKS1_S2_PS3_PS6_PS1_, .Lfunc_end13-_ZN9rocsparseL35bsr2csr_block_dim_equals_one_kernelILj1024EiliEEvT2_S1_21rocsparse_index_base_PKT0_PKT1_PKS1_S2_PS3_PS6_PS1_
                                        ; -- End function
	.set _ZN9rocsparseL35bsr2csr_block_dim_equals_one_kernelILj1024EiliEEvT2_S1_21rocsparse_index_base_PKT0_PKT1_PKS1_S2_PS3_PS6_PS1_.num_vgpr, 10
	.set _ZN9rocsparseL35bsr2csr_block_dim_equals_one_kernelILj1024EiliEEvT2_S1_21rocsparse_index_base_PKT0_PKT1_PKS1_S2_PS3_PS6_PS1_.num_agpr, 0
	.set _ZN9rocsparseL35bsr2csr_block_dim_equals_one_kernelILj1024EiliEEvT2_S1_21rocsparse_index_base_PKT0_PKT1_PKS1_S2_PS3_PS6_PS1_.numbered_sgpr, 24
	.set _ZN9rocsparseL35bsr2csr_block_dim_equals_one_kernelILj1024EiliEEvT2_S1_21rocsparse_index_base_PKT0_PKT1_PKS1_S2_PS3_PS6_PS1_.num_named_barrier, 0
	.set _ZN9rocsparseL35bsr2csr_block_dim_equals_one_kernelILj1024EiliEEvT2_S1_21rocsparse_index_base_PKT0_PKT1_PKS1_S2_PS3_PS6_PS1_.private_seg_size, 0
	.set _ZN9rocsparseL35bsr2csr_block_dim_equals_one_kernelILj1024EiliEEvT2_S1_21rocsparse_index_base_PKT0_PKT1_PKS1_S2_PS3_PS6_PS1_.uses_vcc, 1
	.set _ZN9rocsparseL35bsr2csr_block_dim_equals_one_kernelILj1024EiliEEvT2_S1_21rocsparse_index_base_PKT0_PKT1_PKS1_S2_PS3_PS6_PS1_.uses_flat_scratch, 0
	.set _ZN9rocsparseL35bsr2csr_block_dim_equals_one_kernelILj1024EiliEEvT2_S1_21rocsparse_index_base_PKT0_PKT1_PKS1_S2_PS3_PS6_PS1_.has_dyn_sized_stack, 0
	.set _ZN9rocsparseL35bsr2csr_block_dim_equals_one_kernelILj1024EiliEEvT2_S1_21rocsparse_index_base_PKT0_PKT1_PKS1_S2_PS3_PS6_PS1_.has_recursion, 0
	.set _ZN9rocsparseL35bsr2csr_block_dim_equals_one_kernelILj1024EiliEEvT2_S1_21rocsparse_index_base_PKT0_PKT1_PKS1_S2_PS3_PS6_PS1_.has_indirect_call, 0
	.section	.AMDGPU.csdata,"",@progbits
; Kernel info:
; codeLenInByte = 604
; TotalNumSgprs: 26
; NumVgprs: 10
; ScratchSize: 0
; MemoryBound: 0
; FloatMode: 240
; IeeeMode: 1
; LDSByteSize: 0 bytes/workgroup (compile time only)
; SGPRBlocks: 0
; VGPRBlocks: 1
; NumSGPRsForWavesPerEU: 26
; NumVGPRsForWavesPerEU: 10
; Occupancy: 16
; WaveLimiterHint : 0
; COMPUTE_PGM_RSRC2:SCRATCH_EN: 0
; COMPUTE_PGM_RSRC2:USER_SGPR: 6
; COMPUTE_PGM_RSRC2:TRAP_HANDLER: 0
; COMPUTE_PGM_RSRC2:TGID_X_EN: 1
; COMPUTE_PGM_RSRC2:TGID_Y_EN: 0
; COMPUTE_PGM_RSRC2:TGID_Z_EN: 0
; COMPUTE_PGM_RSRC2:TIDIG_COMP_CNT: 0
	.section	.text._ZN9rocsparseL32bsr2csr_block_per_row_2_7_kernelILj256ELj2EiliEEv20rocsparse_direction_T3_S2_21rocsparse_index_base_PKT1_PKT2_PKS2_S2_S3_PS4_PS7_PS2_,"axG",@progbits,_ZN9rocsparseL32bsr2csr_block_per_row_2_7_kernelILj256ELj2EiliEEv20rocsparse_direction_T3_S2_21rocsparse_index_base_PKT1_PKT2_PKS2_S2_S3_PS4_PS7_PS2_,comdat
	.globl	_ZN9rocsparseL32bsr2csr_block_per_row_2_7_kernelILj256ELj2EiliEEv20rocsparse_direction_T3_S2_21rocsparse_index_base_PKT1_PKT2_PKS2_S2_S3_PS4_PS7_PS2_ ; -- Begin function _ZN9rocsparseL32bsr2csr_block_per_row_2_7_kernelILj256ELj2EiliEEv20rocsparse_direction_T3_S2_21rocsparse_index_base_PKT1_PKT2_PKS2_S2_S3_PS4_PS7_PS2_
	.p2align	8
	.type	_ZN9rocsparseL32bsr2csr_block_per_row_2_7_kernelILj256ELj2EiliEEv20rocsparse_direction_T3_S2_21rocsparse_index_base_PKT1_PKT2_PKS2_S2_S3_PS4_PS7_PS2_,@function
_ZN9rocsparseL32bsr2csr_block_per_row_2_7_kernelILj256ELj2EiliEEv20rocsparse_direction_T3_S2_21rocsparse_index_base_PKT1_PKT2_PKS2_S2_S3_PS4_PS7_PS2_: ; @_ZN9rocsparseL32bsr2csr_block_per_row_2_7_kernelILj256ELj2EiliEEv20rocsparse_direction_T3_S2_21rocsparse_index_base_PKT1_PKT2_PKS2_S2_S3_PS4_PS7_PS2_
; %bb.0:
	s_load_dwordx2 s[0:1], s[4:5], 0x18
	s_ashr_i32 s7, s6, 31
	s_clause 0x1
	s_load_dword s8, s[4:5], 0x2c
	s_load_dwordx2 s[12:13], s[4:5], 0x38
	s_lshl_b64 s[2:3], s[6:7], 3
	v_or_b32_e32 v1, s6, v0
	s_mov_b32 s11, 0
	s_mov_b32 s7, exec_lo
	s_waitcnt lgkmcnt(0)
	s_add_u32 s0, s0, s2
	s_addc_u32 s1, s1, s3
	s_load_dwordx4 s[0:3], s[0:1], 0x0
	v_cmpx_eq_u32_e32 0, v1
	s_cbranch_execz .LBB14_2
; %bb.1:
	s_mov_b32 s9, s11
	v_mov_b32_e32 v1, s8
	v_mov_b32_e32 v3, 0
	;; [unrolled: 1-line block ×3, first 2 shown]
	global_store_dwordx2 v3, v[1:2], s[12:13]
.LBB14_2:
	s_or_b32 exec_lo, exec_lo, s7
	s_load_dword s10, s[4:5], 0xc
	v_and_b32_e32 v8, 1, v0
	v_mov_b32_e32 v4, 0
	v_lshrrev_b32_e32 v2, 1, v0
	v_lshl_or_b32 v1, s6, 1, v8
	v_add_nc_u32_e32 v3, 1, v1
	v_lshlrev_b64 v[0:1], 3, v[3:4]
	s_waitcnt lgkmcnt(0)
	s_sub_u32 s6, s0, s10
	s_subb_u32 s7, s1, 0
	s_sub_u32 s2, s2, s10
	s_subb_u32 s3, s3, 0
	s_lshl_b64 s[14:15], s[6:7], 2
	s_sub_u32 s16, s2, s6
	s_subb_u32 s17, s3, s7
	v_add_co_u32 v5, vcc_lo, s12, v0
	v_add_co_ci_u32_e64 v6, null, s13, v1, vcc_lo
	s_lshl_b64 s[12:13], s[16:17], 1
	s_lshr_b64 s[16:17], s[16:17], 31
	v_mul_lo_u32 v3, s12, v8
	v_add_co_u32 v0, s6, s6, v2
	v_mul_lo_u32 v4, s16, v8
	v_add_co_ci_u32_e64 v1, null, s7, 0, s6
	s_add_u32 s6, s12, s8
	s_addc_u32 s7, s13, 0
	s_add_u32 s6, s6, s14
	s_addc_u32 s7, s7, s15
	v_add_co_u32 v9, vcc_lo, s6, v3
	v_add_co_ci_u32_e64 v10, null, s7, v4, vcc_lo
	s_mov_b32 s6, exec_lo
	global_store_dwordx2 v[5:6], v[9:10], off
	v_cmpx_gt_i64_e64 s[2:3], v[0:1]
	s_cbranch_execz .LBB14_5
; %bb.3:
	s_clause 0x2
	s_load_dwordx2 s[6:7], s[4:5], 0x20
	s_load_dwordx2 s[12:13], s[4:5], 0x30
	s_load_dword s9, s[4:5], 0x0
	v_lshlrev_b32_e32 v2, 1, v2
	s_clause 0x1
	s_load_dwordx2 s[14:15], s[4:5], 0x10
	s_load_dwordx2 s[4:5], s[4:5], 0x40
	v_lshlrev_b64 v[6:7], 4, v[0:1]
	v_lshlrev_b32_e32 v9, 2, v8
	v_lshlrev_b32_e32 v8, 3, v8
	s_waitcnt lgkmcnt(0)
	s_cmp_eq_u32 s9, 0
	s_cselect_b32 vcc_lo, -1, 0
	s_lshl_b64 s[0:1], s[0:1], 2
	v_add_co_u32 v3, s0, v3, s0
	v_add_co_ci_u32_e64 v4, null, s1, v4, s0
	v_add_co_u32 v2, s0, v3, v2
	v_add_co_ci_u32_e64 v3, null, 0, v4, s0
	s_lshl_b64 s[0:1], s[10:11], 2
	v_lshlrev_b64 v[4:5], 2, v[0:1]
	v_sub_co_u32 v2, s0, v2, s0
	v_subrev_co_ci_u32_e64 v3, null, s1, v3, s0
	v_lshlrev_b64 v[10:11], 2, v[2:3]
	v_add_co_u32 v2, s0, s6, v4
	v_add_co_ci_u32_e64 v3, null, s7, v5, s0
	v_add_co_u32 v12, s0, v10, 4
	v_add_co_ci_u32_e64 v13, null, 0, v11, s0
	;; [unrolled: 2-line block ×5, first 2 shown]
	s_mov_b32 s4, 0
.LBB14_4:                               ; =>This Inner Loop Header: Depth=1
	v_add_co_u32 v12, s0, v10, v8
	v_add_co_ci_u32_e64 v13, null, 0, v11, s0
	v_add_co_u32 v14, s0, v10, v9
	global_load_dword v16, v[2:3], off
	v_add_co_ci_u32_e64 v15, null, 0, v11, s0
	v_add_co_u32 v17, s0, v12, 4
	v_add_co_ci_u32_e64 v18, null, 0, v13, s0
	v_add_co_u32 v19, s0, v14, 8
	v_add_co_ci_u32_e64 v20, null, 0, v15, s0
	v_cndmask_b32_e32 v13, v15, v13, vcc_lo
	v_cndmask_b32_e32 v12, v14, v12, vcc_lo
	;; [unrolled: 1-line block ×4, first 2 shown]
	global_load_dword v12, v[12:13], off
	global_load_dword v13, v[14:15], off
	v_add_co_u32 v0, s0, 0x80, v0
	v_add_co_ci_u32_e64 v1, null, 0, v1, s0
	v_add_co_u32 v2, s0, 0x200, v2
	v_add_co_ci_u32_e64 v3, null, 0, v3, s0
	v_add_co_u32 v10, s0, 0x800, v10
	v_add_co_ci_u32_e64 v11, null, 0, v11, s0
	v_cmp_le_i64_e64 s0, s[2:3], v[0:1]
	s_or_b32 s4, s0, s4
	s_waitcnt vmcnt(2)
	v_subrev_nc_u32_e32 v14, s10, v16
	v_lshl_add_u32 v14, v14, 1, s8
	v_add_nc_u32_e32 v15, 1, v14
	global_store_dwordx2 v[6:7], v[14:15], off offset:-4
	s_waitcnt vmcnt(0)
	global_store_dwordx2 v[4:5], v[12:13], off offset:-4
	v_add_co_u32 v4, s1, 0x400, v4
	v_add_co_ci_u32_e64 v5, null, 0, v5, s1
	v_add_co_u32 v6, s1, 0x400, v6
	v_add_co_ci_u32_e64 v7, null, 0, v7, s1
	s_andn2_b32 exec_lo, exec_lo, s4
	s_cbranch_execnz .LBB14_4
.LBB14_5:
	s_endpgm
	.section	.rodata,"a",@progbits
	.p2align	6, 0x0
	.amdhsa_kernel _ZN9rocsparseL32bsr2csr_block_per_row_2_7_kernelILj256ELj2EiliEEv20rocsparse_direction_T3_S2_21rocsparse_index_base_PKT1_PKT2_PKS2_S2_S3_PS4_PS7_PS2_
		.amdhsa_group_segment_fixed_size 0
		.amdhsa_private_segment_fixed_size 0
		.amdhsa_kernarg_size 72
		.amdhsa_user_sgpr_count 6
		.amdhsa_user_sgpr_private_segment_buffer 1
		.amdhsa_user_sgpr_dispatch_ptr 0
		.amdhsa_user_sgpr_queue_ptr 0
		.amdhsa_user_sgpr_kernarg_segment_ptr 1
		.amdhsa_user_sgpr_dispatch_id 0
		.amdhsa_user_sgpr_flat_scratch_init 0
		.amdhsa_user_sgpr_private_segment_size 0
		.amdhsa_wavefront_size32 1
		.amdhsa_uses_dynamic_stack 0
		.amdhsa_system_sgpr_private_segment_wavefront_offset 0
		.amdhsa_system_sgpr_workgroup_id_x 1
		.amdhsa_system_sgpr_workgroup_id_y 0
		.amdhsa_system_sgpr_workgroup_id_z 0
		.amdhsa_system_sgpr_workgroup_info 0
		.amdhsa_system_vgpr_workitem_id 0
		.amdhsa_next_free_vgpr 21
		.amdhsa_next_free_sgpr 18
		.amdhsa_reserve_vcc 1
		.amdhsa_reserve_flat_scratch 0
		.amdhsa_float_round_mode_32 0
		.amdhsa_float_round_mode_16_64 0
		.amdhsa_float_denorm_mode_32 3
		.amdhsa_float_denorm_mode_16_64 3
		.amdhsa_dx10_clamp 1
		.amdhsa_ieee_mode 1
		.amdhsa_fp16_overflow 0
		.amdhsa_workgroup_processor_mode 1
		.amdhsa_memory_ordered 1
		.amdhsa_forward_progress 1
		.amdhsa_shared_vgpr_count 0
		.amdhsa_exception_fp_ieee_invalid_op 0
		.amdhsa_exception_fp_denorm_src 0
		.amdhsa_exception_fp_ieee_div_zero 0
		.amdhsa_exception_fp_ieee_overflow 0
		.amdhsa_exception_fp_ieee_underflow 0
		.amdhsa_exception_fp_ieee_inexact 0
		.amdhsa_exception_int_div_zero 0
	.end_amdhsa_kernel
	.section	.text._ZN9rocsparseL32bsr2csr_block_per_row_2_7_kernelILj256ELj2EiliEEv20rocsparse_direction_T3_S2_21rocsparse_index_base_PKT1_PKT2_PKS2_S2_S3_PS4_PS7_PS2_,"axG",@progbits,_ZN9rocsparseL32bsr2csr_block_per_row_2_7_kernelILj256ELj2EiliEEv20rocsparse_direction_T3_S2_21rocsparse_index_base_PKT1_PKT2_PKS2_S2_S3_PS4_PS7_PS2_,comdat
.Lfunc_end14:
	.size	_ZN9rocsparseL32bsr2csr_block_per_row_2_7_kernelILj256ELj2EiliEEv20rocsparse_direction_T3_S2_21rocsparse_index_base_PKT1_PKT2_PKS2_S2_S3_PS4_PS7_PS2_, .Lfunc_end14-_ZN9rocsparseL32bsr2csr_block_per_row_2_7_kernelILj256ELj2EiliEEv20rocsparse_direction_T3_S2_21rocsparse_index_base_PKT1_PKT2_PKS2_S2_S3_PS4_PS7_PS2_
                                        ; -- End function
	.set _ZN9rocsparseL32bsr2csr_block_per_row_2_7_kernelILj256ELj2EiliEEv20rocsparse_direction_T3_S2_21rocsparse_index_base_PKT1_PKT2_PKS2_S2_S3_PS4_PS7_PS2_.num_vgpr, 21
	.set _ZN9rocsparseL32bsr2csr_block_per_row_2_7_kernelILj256ELj2EiliEEv20rocsparse_direction_T3_S2_21rocsparse_index_base_PKT1_PKT2_PKS2_S2_S3_PS4_PS7_PS2_.num_agpr, 0
	.set _ZN9rocsparseL32bsr2csr_block_per_row_2_7_kernelILj256ELj2EiliEEv20rocsparse_direction_T3_S2_21rocsparse_index_base_PKT1_PKT2_PKS2_S2_S3_PS4_PS7_PS2_.numbered_sgpr, 18
	.set _ZN9rocsparseL32bsr2csr_block_per_row_2_7_kernelILj256ELj2EiliEEv20rocsparse_direction_T3_S2_21rocsparse_index_base_PKT1_PKT2_PKS2_S2_S3_PS4_PS7_PS2_.num_named_barrier, 0
	.set _ZN9rocsparseL32bsr2csr_block_per_row_2_7_kernelILj256ELj2EiliEEv20rocsparse_direction_T3_S2_21rocsparse_index_base_PKT1_PKT2_PKS2_S2_S3_PS4_PS7_PS2_.private_seg_size, 0
	.set _ZN9rocsparseL32bsr2csr_block_per_row_2_7_kernelILj256ELj2EiliEEv20rocsparse_direction_T3_S2_21rocsparse_index_base_PKT1_PKT2_PKS2_S2_S3_PS4_PS7_PS2_.uses_vcc, 1
	.set _ZN9rocsparseL32bsr2csr_block_per_row_2_7_kernelILj256ELj2EiliEEv20rocsparse_direction_T3_S2_21rocsparse_index_base_PKT1_PKT2_PKS2_S2_S3_PS4_PS7_PS2_.uses_flat_scratch, 0
	.set _ZN9rocsparseL32bsr2csr_block_per_row_2_7_kernelILj256ELj2EiliEEv20rocsparse_direction_T3_S2_21rocsparse_index_base_PKT1_PKT2_PKS2_S2_S3_PS4_PS7_PS2_.has_dyn_sized_stack, 0
	.set _ZN9rocsparseL32bsr2csr_block_per_row_2_7_kernelILj256ELj2EiliEEv20rocsparse_direction_T3_S2_21rocsparse_index_base_PKT1_PKT2_PKS2_S2_S3_PS4_PS7_PS2_.has_recursion, 0
	.set _ZN9rocsparseL32bsr2csr_block_per_row_2_7_kernelILj256ELj2EiliEEv20rocsparse_direction_T3_S2_21rocsparse_index_base_PKT1_PKT2_PKS2_S2_S3_PS4_PS7_PS2_.has_indirect_call, 0
	.section	.AMDGPU.csdata,"",@progbits
; Kernel info:
; codeLenInByte = 792
; TotalNumSgprs: 20
; NumVgprs: 21
; ScratchSize: 0
; MemoryBound: 0
; FloatMode: 240
; IeeeMode: 1
; LDSByteSize: 0 bytes/workgroup (compile time only)
; SGPRBlocks: 0
; VGPRBlocks: 2
; NumSGPRsForWavesPerEU: 20
; NumVGPRsForWavesPerEU: 21
; Occupancy: 16
; WaveLimiterHint : 0
; COMPUTE_PGM_RSRC2:SCRATCH_EN: 0
; COMPUTE_PGM_RSRC2:USER_SGPR: 6
; COMPUTE_PGM_RSRC2:TRAP_HANDLER: 0
; COMPUTE_PGM_RSRC2:TGID_X_EN: 1
; COMPUTE_PGM_RSRC2:TGID_Y_EN: 0
; COMPUTE_PGM_RSRC2:TGID_Z_EN: 0
; COMPUTE_PGM_RSRC2:TIDIG_COMP_CNT: 0
	.section	.text._ZN9rocsparseL32bsr2csr_block_per_row_2_7_kernelILj256ELj3EiliEEv20rocsparse_direction_T3_S2_21rocsparse_index_base_PKT1_PKT2_PKS2_S2_S3_PS4_PS7_PS2_,"axG",@progbits,_ZN9rocsparseL32bsr2csr_block_per_row_2_7_kernelILj256ELj3EiliEEv20rocsparse_direction_T3_S2_21rocsparse_index_base_PKT1_PKT2_PKS2_S2_S3_PS4_PS7_PS2_,comdat
	.globl	_ZN9rocsparseL32bsr2csr_block_per_row_2_7_kernelILj256ELj3EiliEEv20rocsparse_direction_T3_S2_21rocsparse_index_base_PKT1_PKT2_PKS2_S2_S3_PS4_PS7_PS2_ ; -- Begin function _ZN9rocsparseL32bsr2csr_block_per_row_2_7_kernelILj256ELj3EiliEEv20rocsparse_direction_T3_S2_21rocsparse_index_base_PKT1_PKT2_PKS2_S2_S3_PS4_PS7_PS2_
	.p2align	8
	.type	_ZN9rocsparseL32bsr2csr_block_per_row_2_7_kernelILj256ELj3EiliEEv20rocsparse_direction_T3_S2_21rocsparse_index_base_PKT1_PKT2_PKS2_S2_S3_PS4_PS7_PS2_,@function
_ZN9rocsparseL32bsr2csr_block_per_row_2_7_kernelILj256ELj3EiliEEv20rocsparse_direction_T3_S2_21rocsparse_index_base_PKT1_PKT2_PKS2_S2_S3_PS4_PS7_PS2_: ; @_ZN9rocsparseL32bsr2csr_block_per_row_2_7_kernelILj256ELj3EiliEEv20rocsparse_direction_T3_S2_21rocsparse_index_base_PKT1_PKT2_PKS2_S2_S3_PS4_PS7_PS2_
; %bb.0:
	s_clause 0x2
	s_load_dwordx2 s[0:1], s[4:5], 0x18
	s_load_dword s8, s[4:5], 0x2c
	s_load_dwordx2 s[10:11], s[4:5], 0x38
	s_ashr_i32 s7, s6, 31
	v_or_b32_e32 v1, s6, v0
	s_lshl_b64 s[2:3], s[6:7], 3
	s_waitcnt lgkmcnt(0)
	s_add_u32 s0, s0, s2
	s_addc_u32 s1, s1, s3
	s_mov_b32 s2, exec_lo
	v_cmpx_eq_u32_e32 0, v1
	s_cbranch_execz .LBB15_2
; %bb.1:
	v_mov_b32_e32 v1, s8
	v_mov_b32_e32 v2, 0
	global_store_dwordx2 v2, v[1:2], s[10:11]
.LBB15_2:
	s_or_b32 exec_lo, exec_lo, s2
	v_and_b32_e32 v4, 3, v0
	s_mov_b32 s2, exec_lo
	v_cmpx_ne_u32_e32 3, v4
	s_cbranch_execz .LBB15_6
; %bb.3:
	s_load_dwordx4 s[0:3], s[0:1], 0x0
	s_load_dword s7, s[4:5], 0xc
	s_mul_i32 s6, s6, 3
	v_mov_b32_e32 v2, 0
	v_add3_u32 v1, v4, s6, 1
	v_lshrrev_b32_e32 v5, 2, v0
	v_lshlrev_b64 v[6:7], 3, v[1:2]
	v_add_co_u32 v6, vcc_lo, s10, v6
	v_add_co_ci_u32_e64 v7, null, s11, v7, vcc_lo
	s_waitcnt lgkmcnt(0)
	s_sub_u32 s6, s0, s7
	s_subb_u32 s9, s1, 0
	s_mul_hi_u32 s12, s6, 9
	s_mul_i32 s13, s9, 9
	s_sub_u32 s2, s2, s7
	s_subb_u32 s3, s3, 0
	s_add_i32 s12, s12, s13
	s_sub_u32 s13, s2, s6
	s_subb_u32 s11, s3, s9
	s_mul_i32 s14, s13, 3
	s_mul_hi_u32 s13, s13, 3
	v_mad_u64_u32 v[2:3], null, s14, v4, 0
	s_mul_i32 s11, s11, 3
	s_mul_i32 s10, s6, 9
	s_add_i32 s13, s13, s11
	v_add_co_u32 v0, s6, s6, v5
	v_add_co_ci_u32_e64 v1, null, s9, 0, s6
	v_mad_u64_u32 v[8:9], null, s13, v4, v[3:4]
	s_add_u32 s6, s14, s8
	s_addc_u32 s9, s13, 0
	s_add_u32 s6, s6, s10
	s_addc_u32 s9, s9, s12
	v_add_co_u32 v9, vcc_lo, s6, v2
	v_add_co_ci_u32_e64 v10, null, s9, v8, vcc_lo
	v_cmp_gt_i64_e32 vcc_lo, s[2:3], v[0:1]
	v_mov_b32_e32 v3, v8
	s_mov_b32 s6, 0
	global_store_dwordx2 v[6:7], v[9:10], off
	s_and_b32 exec_lo, exec_lo, vcc_lo
	s_cbranch_execz .LBB15_6
; %bb.4:
	v_mad_u64_u32 v[6:7], null, s0, 9, v[2:3]
	s_clause 0x1
	s_load_dwordx2 s[10:11], s[4:5], 0x30
	s_load_dwordx2 s[12:13], s[4:5], 0x10
	v_mul_u32_u24_e32 v12, 3, v4
	v_lshlrev_b32_e32 v9, 2, v4
	v_mov_b32_e32 v2, v7
	v_mad_u64_u32 v[2:3], null, s1, 9, v[2:3]
	s_clause 0x2
	s_load_dwordx2 s[0:1], s[4:5], 0x20
	s_load_dword s9, s[4:5], 0x0
	s_load_dwordx2 s[4:5], s[4:5], 0x40
	v_mov_b32_e32 v7, v2
	s_waitcnt lgkmcnt(0)
	v_mad_u64_u32 v[2:3], null, v0, 36, s[12:13]
	s_mul_i32 s13, s7, 9
	s_mul_hi_u32 s12, s7, 9
	v_mad_u64_u32 v[5:6], null, v5, 3, v[6:7]
	v_lshlrev_b64 v[7:8], 2, v[0:1]
	v_mad_u64_u32 v[10:11], null, v1, 36, v[3:4]
	v_lshlrev_b32_e32 v11, 2, v12
	v_sub_co_u32 v5, vcc_lo, v5, s13
	v_subrev_co_ci_u32_e64 v6, null, s12, v6, vcc_lo
	v_add_co_u32 v3, vcc_lo, s0, v7
	v_add_co_ci_u32_e64 v4, null, s1, v8, vcc_lo
	v_lshlrev_b64 v[5:6], 2, v[5:6]
	s_cmp_eq_u32 s9, 0
	v_add_co_u32 v7, vcc_lo, v5, 4
	v_add_co_ci_u32_e64 v8, null, 0, v6, vcc_lo
	v_add_co_u32 v5, vcc_lo, s10, v7
	v_add_co_ci_u32_e64 v6, null, s11, v8, vcc_lo
	;; [unrolled: 2-line block ×3, first 2 shown]
	s_cselect_b32 vcc_lo, -1, 0
.LBB15_5:                               ; =>This Inner Loop Header: Depth=1
	v_add_co_u32 v12, s0, v2, v11
	v_add_co_ci_u32_e64 v13, null, 0, v10, s0
	v_add_co_u32 v14, s0, v2, v9
	v_add_co_ci_u32_e64 v15, null, 0, v10, s0
	global_load_dword v18, v[3:4], off
	v_add_co_u32 v16, s0, v12, 4
	v_add_co_ci_u32_e64 v17, null, 0, v13, s0
	v_add_co_u32 v19, s0, v14, 12
	v_add_co_ci_u32_e64 v20, null, 0, v15, s0
	;; [unrolled: 2-line block ×4, first 2 shown]
	v_cndmask_b32_e32 v13, v15, v13, vcc_lo
	v_cndmask_b32_e32 v12, v14, v12, vcc_lo
	;; [unrolled: 1-line block ×6, first 2 shown]
	global_load_dword v12, v[12:13], off
	global_load_dword v13, v[14:15], off
	;; [unrolled: 1-line block ×3, first 2 shown]
	v_add_co_u32 v0, s0, v0, 64
	v_add_co_ci_u32_e64 v1, null, 0, v1, s0
	v_add_co_u32 v3, s0, 0x100, v3
	v_add_co_ci_u32_e64 v4, null, 0, v4, s0
	;; [unrolled: 2-line block ×3, first 2 shown]
	v_cmp_le_i64_e64 s0, s[2:3], v[0:1]
	s_or_b32 s6, s0, s6
	s_waitcnt vmcnt(3)
	v_subrev_nc_u32_e32 v15, s7, v18
	v_mad_u64_u32 v[15:16], null, v15, 3, s[8:9]
	v_add_nc_u32_e32 v16, 1, v15
	v_add_nc_u32_e32 v17, 2, v15
	global_store_dwordx3 v[7:8], v[15:17], off offset:-4
	s_waitcnt vmcnt(0)
	global_store_dwordx3 v[5:6], v[12:14], off offset:-4
	v_add_co_u32 v5, s1, 0x300, v5
	v_add_co_ci_u32_e64 v6, null, 0, v6, s1
	v_add_co_u32 v7, s1, 0x300, v7
	v_add_co_ci_u32_e64 v8, null, 0, v8, s1
	s_andn2_b32 exec_lo, exec_lo, s6
	s_cbranch_execnz .LBB15_5
.LBB15_6:
	s_endpgm
	.section	.rodata,"a",@progbits
	.p2align	6, 0x0
	.amdhsa_kernel _ZN9rocsparseL32bsr2csr_block_per_row_2_7_kernelILj256ELj3EiliEEv20rocsparse_direction_T3_S2_21rocsparse_index_base_PKT1_PKT2_PKS2_S2_S3_PS4_PS7_PS2_
		.amdhsa_group_segment_fixed_size 0
		.amdhsa_private_segment_fixed_size 0
		.amdhsa_kernarg_size 72
		.amdhsa_user_sgpr_count 6
		.amdhsa_user_sgpr_private_segment_buffer 1
		.amdhsa_user_sgpr_dispatch_ptr 0
		.amdhsa_user_sgpr_queue_ptr 0
		.amdhsa_user_sgpr_kernarg_segment_ptr 1
		.amdhsa_user_sgpr_dispatch_id 0
		.amdhsa_user_sgpr_flat_scratch_init 0
		.amdhsa_user_sgpr_private_segment_size 0
		.amdhsa_wavefront_size32 1
		.amdhsa_uses_dynamic_stack 0
		.amdhsa_system_sgpr_private_segment_wavefront_offset 0
		.amdhsa_system_sgpr_workgroup_id_x 1
		.amdhsa_system_sgpr_workgroup_id_y 0
		.amdhsa_system_sgpr_workgroup_id_z 0
		.amdhsa_system_sgpr_workgroup_info 0
		.amdhsa_system_vgpr_workitem_id 0
		.amdhsa_next_free_vgpr 25
		.amdhsa_next_free_sgpr 15
		.amdhsa_reserve_vcc 1
		.amdhsa_reserve_flat_scratch 0
		.amdhsa_float_round_mode_32 0
		.amdhsa_float_round_mode_16_64 0
		.amdhsa_float_denorm_mode_32 3
		.amdhsa_float_denorm_mode_16_64 3
		.amdhsa_dx10_clamp 1
		.amdhsa_ieee_mode 1
		.amdhsa_fp16_overflow 0
		.amdhsa_workgroup_processor_mode 1
		.amdhsa_memory_ordered 1
		.amdhsa_forward_progress 1
		.amdhsa_shared_vgpr_count 0
		.amdhsa_exception_fp_ieee_invalid_op 0
		.amdhsa_exception_fp_denorm_src 0
		.amdhsa_exception_fp_ieee_div_zero 0
		.amdhsa_exception_fp_ieee_overflow 0
		.amdhsa_exception_fp_ieee_underflow 0
		.amdhsa_exception_fp_ieee_inexact 0
		.amdhsa_exception_int_div_zero 0
	.end_amdhsa_kernel
	.section	.text._ZN9rocsparseL32bsr2csr_block_per_row_2_7_kernelILj256ELj3EiliEEv20rocsparse_direction_T3_S2_21rocsparse_index_base_PKT1_PKT2_PKS2_S2_S3_PS4_PS7_PS2_,"axG",@progbits,_ZN9rocsparseL32bsr2csr_block_per_row_2_7_kernelILj256ELj3EiliEEv20rocsparse_direction_T3_S2_21rocsparse_index_base_PKT1_PKT2_PKS2_S2_S3_PS4_PS7_PS2_,comdat
.Lfunc_end15:
	.size	_ZN9rocsparseL32bsr2csr_block_per_row_2_7_kernelILj256ELj3EiliEEv20rocsparse_direction_T3_S2_21rocsparse_index_base_PKT1_PKT2_PKS2_S2_S3_PS4_PS7_PS2_, .Lfunc_end15-_ZN9rocsparseL32bsr2csr_block_per_row_2_7_kernelILj256ELj3EiliEEv20rocsparse_direction_T3_S2_21rocsparse_index_base_PKT1_PKT2_PKS2_S2_S3_PS4_PS7_PS2_
                                        ; -- End function
	.set _ZN9rocsparseL32bsr2csr_block_per_row_2_7_kernelILj256ELj3EiliEEv20rocsparse_direction_T3_S2_21rocsparse_index_base_PKT1_PKT2_PKS2_S2_S3_PS4_PS7_PS2_.num_vgpr, 25
	.set _ZN9rocsparseL32bsr2csr_block_per_row_2_7_kernelILj256ELj3EiliEEv20rocsparse_direction_T3_S2_21rocsparse_index_base_PKT1_PKT2_PKS2_S2_S3_PS4_PS7_PS2_.num_agpr, 0
	.set _ZN9rocsparseL32bsr2csr_block_per_row_2_7_kernelILj256ELj3EiliEEv20rocsparse_direction_T3_S2_21rocsparse_index_base_PKT1_PKT2_PKS2_S2_S3_PS4_PS7_PS2_.numbered_sgpr, 15
	.set _ZN9rocsparseL32bsr2csr_block_per_row_2_7_kernelILj256ELj3EiliEEv20rocsparse_direction_T3_S2_21rocsparse_index_base_PKT1_PKT2_PKS2_S2_S3_PS4_PS7_PS2_.num_named_barrier, 0
	.set _ZN9rocsparseL32bsr2csr_block_per_row_2_7_kernelILj256ELj3EiliEEv20rocsparse_direction_T3_S2_21rocsparse_index_base_PKT1_PKT2_PKS2_S2_S3_PS4_PS7_PS2_.private_seg_size, 0
	.set _ZN9rocsparseL32bsr2csr_block_per_row_2_7_kernelILj256ELj3EiliEEv20rocsparse_direction_T3_S2_21rocsparse_index_base_PKT1_PKT2_PKS2_S2_S3_PS4_PS7_PS2_.uses_vcc, 1
	.set _ZN9rocsparseL32bsr2csr_block_per_row_2_7_kernelILj256ELj3EiliEEv20rocsparse_direction_T3_S2_21rocsparse_index_base_PKT1_PKT2_PKS2_S2_S3_PS4_PS7_PS2_.uses_flat_scratch, 0
	.set _ZN9rocsparseL32bsr2csr_block_per_row_2_7_kernelILj256ELj3EiliEEv20rocsparse_direction_T3_S2_21rocsparse_index_base_PKT1_PKT2_PKS2_S2_S3_PS4_PS7_PS2_.has_dyn_sized_stack, 0
	.set _ZN9rocsparseL32bsr2csr_block_per_row_2_7_kernelILj256ELj3EiliEEv20rocsparse_direction_T3_S2_21rocsparse_index_base_PKT1_PKT2_PKS2_S2_S3_PS4_PS7_PS2_.has_recursion, 0
	.set _ZN9rocsparseL32bsr2csr_block_per_row_2_7_kernelILj256ELj3EiliEEv20rocsparse_direction_T3_S2_21rocsparse_index_base_PKT1_PKT2_PKS2_S2_S3_PS4_PS7_PS2_.has_indirect_call, 0
	.section	.AMDGPU.csdata,"",@progbits
; Kernel info:
; codeLenInByte = 852
; TotalNumSgprs: 17
; NumVgprs: 25
; ScratchSize: 0
; MemoryBound: 0
; FloatMode: 240
; IeeeMode: 1
; LDSByteSize: 0 bytes/workgroup (compile time only)
; SGPRBlocks: 0
; VGPRBlocks: 3
; NumSGPRsForWavesPerEU: 17
; NumVGPRsForWavesPerEU: 25
; Occupancy: 16
; WaveLimiterHint : 0
; COMPUTE_PGM_RSRC2:SCRATCH_EN: 0
; COMPUTE_PGM_RSRC2:USER_SGPR: 6
; COMPUTE_PGM_RSRC2:TRAP_HANDLER: 0
; COMPUTE_PGM_RSRC2:TGID_X_EN: 1
; COMPUTE_PGM_RSRC2:TGID_Y_EN: 0
; COMPUTE_PGM_RSRC2:TGID_Z_EN: 0
; COMPUTE_PGM_RSRC2:TIDIG_COMP_CNT: 0
	.section	.text._ZN9rocsparseL32bsr2csr_block_per_row_2_7_kernelILj256ELj4EiliEEv20rocsparse_direction_T3_S2_21rocsparse_index_base_PKT1_PKT2_PKS2_S2_S3_PS4_PS7_PS2_,"axG",@progbits,_ZN9rocsparseL32bsr2csr_block_per_row_2_7_kernelILj256ELj4EiliEEv20rocsparse_direction_T3_S2_21rocsparse_index_base_PKT1_PKT2_PKS2_S2_S3_PS4_PS7_PS2_,comdat
	.globl	_ZN9rocsparseL32bsr2csr_block_per_row_2_7_kernelILj256ELj4EiliEEv20rocsparse_direction_T3_S2_21rocsparse_index_base_PKT1_PKT2_PKS2_S2_S3_PS4_PS7_PS2_ ; -- Begin function _ZN9rocsparseL32bsr2csr_block_per_row_2_7_kernelILj256ELj4EiliEEv20rocsparse_direction_T3_S2_21rocsparse_index_base_PKT1_PKT2_PKS2_S2_S3_PS4_PS7_PS2_
	.p2align	8
	.type	_ZN9rocsparseL32bsr2csr_block_per_row_2_7_kernelILj256ELj4EiliEEv20rocsparse_direction_T3_S2_21rocsparse_index_base_PKT1_PKT2_PKS2_S2_S3_PS4_PS7_PS2_,@function
_ZN9rocsparseL32bsr2csr_block_per_row_2_7_kernelILj256ELj4EiliEEv20rocsparse_direction_T3_S2_21rocsparse_index_base_PKT1_PKT2_PKS2_S2_S3_PS4_PS7_PS2_: ; @_ZN9rocsparseL32bsr2csr_block_per_row_2_7_kernelILj256ELj4EiliEEv20rocsparse_direction_T3_S2_21rocsparse_index_base_PKT1_PKT2_PKS2_S2_S3_PS4_PS7_PS2_
; %bb.0:
	s_load_dwordx2 s[0:1], s[4:5], 0x18
	s_ashr_i32 s7, s6, 31
	s_clause 0x1
	s_load_dword s8, s[4:5], 0x2c
	s_load_dwordx2 s[12:13], s[4:5], 0x38
	s_lshl_b64 s[2:3], s[6:7], 3
	v_or_b32_e32 v1, s6, v0
	s_mov_b32 s11, 0
	s_mov_b32 s7, exec_lo
	s_waitcnt lgkmcnt(0)
	s_add_u32 s0, s0, s2
	s_addc_u32 s1, s1, s3
	s_load_dwordx4 s[0:3], s[0:1], 0x0
	v_cmpx_eq_u32_e32 0, v1
	s_cbranch_execz .LBB16_2
; %bb.1:
	s_mov_b32 s9, s11
	v_mov_b32_e32 v1, s8
	v_mov_b32_e32 v3, 0
	;; [unrolled: 1-line block ×3, first 2 shown]
	global_store_dwordx2 v3, v[1:2], s[12:13]
.LBB16_2:
	s_or_b32 exec_lo, exec_lo, s7
	s_load_dword s10, s[4:5], 0xc
	v_and_b32_e32 v4, 3, v0
	v_mov_b32_e32 v2, 0
	v_lshrrev_b32_e32 v5, 2, v0
	v_lshl_or_b32 v1, s6, 2, v4
	v_add_nc_u32_e32 v1, 1, v1
	v_lshlrev_b64 v[6:7], 3, v[1:2]
	s_waitcnt lgkmcnt(0)
	s_sub_u32 s6, s0, s10
	s_subb_u32 s7, s1, 0
	s_sub_u32 s2, s2, s10
	s_subb_u32 s3, s3, 0
	s_lshl_b64 s[14:15], s[6:7], 4
	s_sub_u32 s16, s2, s6
	s_subb_u32 s17, s3, s7
	v_add_co_u32 v0, s6, s6, v5
	s_lshl_b64 s[18:19], s[16:17], 2
	v_add_co_ci_u32_e64 v1, null, s7, 0, s6
	v_mad_u64_u32 v[2:3], null, s18, v4, 0
	s_lshr_b64 s[6:7], s[16:17], 30
	v_add_co_u32 v6, vcc_lo, s12, v6
	v_add_co_ci_u32_e64 v7, null, s13, v7, vcc_lo
	v_mad_u64_u32 v[8:9], null, s6, v4, v[3:4]
	s_add_u32 s6, s18, s8
	s_addc_u32 s7, s19, 0
	s_add_u32 s6, s6, s14
	s_addc_u32 s7, s7, s15
	v_add_co_u32 v9, vcc_lo, s6, v2
	v_add_co_ci_u32_e64 v10, null, s7, v8, vcc_lo
	v_mov_b32_e32 v3, v8
	s_mov_b32 s6, exec_lo
	global_store_dwordx2 v[6:7], v[9:10], off
	v_cmpx_gt_i64_e64 s[2:3], v[0:1]
	s_cbranch_execz .LBB16_5
; %bb.3:
	s_clause 0x3
	s_load_dwordx2 s[6:7], s[4:5], 0x20
	s_load_dwordx2 s[12:13], s[4:5], 0x30
	s_load_dword s9, s[4:5], 0x0
	s_load_dwordx2 s[14:15], s[4:5], 0x10
	v_lshlrev_b32_e32 v5, 2, v5
	s_load_dwordx2 s[4:5], s[4:5], 0x40
	v_lshlrev_b64 v[10:11], 6, v[0:1]
	v_lshlrev_b32_e32 v8, 2, v4
	v_lshlrev_b32_e32 v9, 4, v4
	s_waitcnt lgkmcnt(0)
	s_cmp_eq_u32 s9, 0
	s_cselect_b32 vcc_lo, -1, 0
	s_lshl_b64 s[0:1], s[0:1], 4
	v_add_co_u32 v2, s0, v2, s0
	v_add_co_ci_u32_e64 v3, null, s1, v3, s0
	v_add_co_u32 v2, s0, v2, v5
	v_add_co_ci_u32_e64 v3, null, 0, v3, s0
	s_lshl_b64 s[0:1], s[10:11], 4
	v_lshlrev_b64 v[5:6], 2, v[0:1]
	v_sub_co_u32 v2, s0, v2, s0
	v_subrev_co_ci_u32_e64 v3, null, s1, v3, s0
	v_lshlrev_b64 v[12:13], 2, v[2:3]
	v_add_co_u32 v2, s0, s6, v5
	v_add_co_ci_u32_e64 v3, null, s7, v6, s0
	v_add_co_u32 v6, s0, v12, 8
	v_add_co_ci_u32_e64 v7, null, 0, v13, s0
	;; [unrolled: 2-line block ×5, first 2 shown]
	s_mov_b32 s4, 0
.LBB16_4:                               ; =>This Inner Loop Header: Depth=1
	v_add_co_u32 v14, s0, v10, v8
	v_add_co_ci_u32_e64 v15, null, 0, v11, s0
	v_add_co_u32 v16, s0, v10, v9
	v_add_co_ci_u32_e64 v17, null, 0, v11, s0
	global_load_dword v20, v[2:3], off
	v_add_co_u32 v18, s0, v16, 4
	v_add_co_ci_u32_e64 v19, null, 0, v17, s0
	v_add_co_u32 v21, s0, v14, 16
	v_add_co_ci_u32_e64 v22, null, 0, v15, s0
	;; [unrolled: 2-line block ×6, first 2 shown]
	v_cndmask_b32_e32 v13, v15, v17, vcc_lo
	v_cndmask_b32_e32 v12, v14, v16, vcc_lo
	;; [unrolled: 1-line block ×8, first 2 shown]
	global_load_dword v12, v[12:13], off
	global_load_dword v13, v[14:15], off
	;; [unrolled: 1-line block ×4, first 2 shown]
	v_add_co_u32 v0, s0, v0, 64
	v_add_co_ci_u32_e64 v1, null, 0, v1, s0
	v_add_co_u32 v2, s0, 0x100, v2
	v_add_co_ci_u32_e64 v3, null, 0, v3, s0
	;; [unrolled: 2-line block ×3, first 2 shown]
	v_cmp_le_i64_e64 s0, s[2:3], v[0:1]
	s_or_b32 s4, s0, s4
	s_waitcnt vmcnt(4)
	v_subrev_nc_u32_e32 v16, s10, v20
	v_lshl_add_u32 v16, v16, 2, s8
	v_add_nc_u32_e32 v17, 1, v16
	v_add_nc_u32_e32 v18, 2, v16
	;; [unrolled: 1-line block ×3, first 2 shown]
	global_store_dwordx4 v[6:7], v[16:19], off offset:-8
	s_waitcnt vmcnt(0)
	global_store_dwordx4 v[4:5], v[12:15], off offset:-8
	v_add_co_u32 v4, s1, 0x400, v4
	v_add_co_ci_u32_e64 v5, null, 0, v5, s1
	v_add_co_u32 v6, s1, 0x400, v6
	v_add_co_ci_u32_e64 v7, null, 0, v7, s1
	s_andn2_b32 exec_lo, exec_lo, s4
	s_cbranch_execnz .LBB16_4
.LBB16_5:
	s_endpgm
	.section	.rodata,"a",@progbits
	.p2align	6, 0x0
	.amdhsa_kernel _ZN9rocsparseL32bsr2csr_block_per_row_2_7_kernelILj256ELj4EiliEEv20rocsparse_direction_T3_S2_21rocsparse_index_base_PKT1_PKT2_PKS2_S2_S3_PS4_PS7_PS2_
		.amdhsa_group_segment_fixed_size 0
		.amdhsa_private_segment_fixed_size 0
		.amdhsa_kernarg_size 72
		.amdhsa_user_sgpr_count 6
		.amdhsa_user_sgpr_private_segment_buffer 1
		.amdhsa_user_sgpr_dispatch_ptr 0
		.amdhsa_user_sgpr_queue_ptr 0
		.amdhsa_user_sgpr_kernarg_segment_ptr 1
		.amdhsa_user_sgpr_dispatch_id 0
		.amdhsa_user_sgpr_flat_scratch_init 0
		.amdhsa_user_sgpr_private_segment_size 0
		.amdhsa_wavefront_size32 1
		.amdhsa_uses_dynamic_stack 0
		.amdhsa_system_sgpr_private_segment_wavefront_offset 0
		.amdhsa_system_sgpr_workgroup_id_x 1
		.amdhsa_system_sgpr_workgroup_id_y 0
		.amdhsa_system_sgpr_workgroup_id_z 0
		.amdhsa_system_sgpr_workgroup_info 0
		.amdhsa_system_vgpr_workitem_id 0
		.amdhsa_next_free_vgpr 31
		.amdhsa_next_free_sgpr 20
		.amdhsa_reserve_vcc 1
		.amdhsa_reserve_flat_scratch 0
		.amdhsa_float_round_mode_32 0
		.amdhsa_float_round_mode_16_64 0
		.amdhsa_float_denorm_mode_32 3
		.amdhsa_float_denorm_mode_16_64 3
		.amdhsa_dx10_clamp 1
		.amdhsa_ieee_mode 1
		.amdhsa_fp16_overflow 0
		.amdhsa_workgroup_processor_mode 1
		.amdhsa_memory_ordered 1
		.amdhsa_forward_progress 1
		.amdhsa_shared_vgpr_count 0
		.amdhsa_exception_fp_ieee_invalid_op 0
		.amdhsa_exception_fp_denorm_src 0
		.amdhsa_exception_fp_ieee_div_zero 0
		.amdhsa_exception_fp_ieee_overflow 0
		.amdhsa_exception_fp_ieee_underflow 0
		.amdhsa_exception_fp_ieee_inexact 0
		.amdhsa_exception_int_div_zero 0
	.end_amdhsa_kernel
	.section	.text._ZN9rocsparseL32bsr2csr_block_per_row_2_7_kernelILj256ELj4EiliEEv20rocsparse_direction_T3_S2_21rocsparse_index_base_PKT1_PKT2_PKS2_S2_S3_PS4_PS7_PS2_,"axG",@progbits,_ZN9rocsparseL32bsr2csr_block_per_row_2_7_kernelILj256ELj4EiliEEv20rocsparse_direction_T3_S2_21rocsparse_index_base_PKT1_PKT2_PKS2_S2_S3_PS4_PS7_PS2_,comdat
.Lfunc_end16:
	.size	_ZN9rocsparseL32bsr2csr_block_per_row_2_7_kernelILj256ELj4EiliEEv20rocsparse_direction_T3_S2_21rocsparse_index_base_PKT1_PKT2_PKS2_S2_S3_PS4_PS7_PS2_, .Lfunc_end16-_ZN9rocsparseL32bsr2csr_block_per_row_2_7_kernelILj256ELj4EiliEEv20rocsparse_direction_T3_S2_21rocsparse_index_base_PKT1_PKT2_PKS2_S2_S3_PS4_PS7_PS2_
                                        ; -- End function
	.set _ZN9rocsparseL32bsr2csr_block_per_row_2_7_kernelILj256ELj4EiliEEv20rocsparse_direction_T3_S2_21rocsparse_index_base_PKT1_PKT2_PKS2_S2_S3_PS4_PS7_PS2_.num_vgpr, 31
	.set _ZN9rocsparseL32bsr2csr_block_per_row_2_7_kernelILj256ELj4EiliEEv20rocsparse_direction_T3_S2_21rocsparse_index_base_PKT1_PKT2_PKS2_S2_S3_PS4_PS7_PS2_.num_agpr, 0
	.set _ZN9rocsparseL32bsr2csr_block_per_row_2_7_kernelILj256ELj4EiliEEv20rocsparse_direction_T3_S2_21rocsparse_index_base_PKT1_PKT2_PKS2_S2_S3_PS4_PS7_PS2_.numbered_sgpr, 20
	.set _ZN9rocsparseL32bsr2csr_block_per_row_2_7_kernelILj256ELj4EiliEEv20rocsparse_direction_T3_S2_21rocsparse_index_base_PKT1_PKT2_PKS2_S2_S3_PS4_PS7_PS2_.num_named_barrier, 0
	.set _ZN9rocsparseL32bsr2csr_block_per_row_2_7_kernelILj256ELj4EiliEEv20rocsparse_direction_T3_S2_21rocsparse_index_base_PKT1_PKT2_PKS2_S2_S3_PS4_PS7_PS2_.private_seg_size, 0
	.set _ZN9rocsparseL32bsr2csr_block_per_row_2_7_kernelILj256ELj4EiliEEv20rocsparse_direction_T3_S2_21rocsparse_index_base_PKT1_PKT2_PKS2_S2_S3_PS4_PS7_PS2_.uses_vcc, 1
	.set _ZN9rocsparseL32bsr2csr_block_per_row_2_7_kernelILj256ELj4EiliEEv20rocsparse_direction_T3_S2_21rocsparse_index_base_PKT1_PKT2_PKS2_S2_S3_PS4_PS7_PS2_.uses_flat_scratch, 0
	.set _ZN9rocsparseL32bsr2csr_block_per_row_2_7_kernelILj256ELj4EiliEEv20rocsparse_direction_T3_S2_21rocsparse_index_base_PKT1_PKT2_PKS2_S2_S3_PS4_PS7_PS2_.has_dyn_sized_stack, 0
	.set _ZN9rocsparseL32bsr2csr_block_per_row_2_7_kernelILj256ELj4EiliEEv20rocsparse_direction_T3_S2_21rocsparse_index_base_PKT1_PKT2_PKS2_S2_S3_PS4_PS7_PS2_.has_recursion, 0
	.set _ZN9rocsparseL32bsr2csr_block_per_row_2_7_kernelILj256ELj4EiliEEv20rocsparse_direction_T3_S2_21rocsparse_index_base_PKT1_PKT2_PKS2_S2_S3_PS4_PS7_PS2_.has_indirect_call, 0
	.section	.AMDGPU.csdata,"",@progbits
; Kernel info:
; codeLenInByte = 892
; TotalNumSgprs: 22
; NumVgprs: 31
; ScratchSize: 0
; MemoryBound: 0
; FloatMode: 240
; IeeeMode: 1
; LDSByteSize: 0 bytes/workgroup (compile time only)
; SGPRBlocks: 0
; VGPRBlocks: 3
; NumSGPRsForWavesPerEU: 22
; NumVGPRsForWavesPerEU: 31
; Occupancy: 16
; WaveLimiterHint : 0
; COMPUTE_PGM_RSRC2:SCRATCH_EN: 0
; COMPUTE_PGM_RSRC2:USER_SGPR: 6
; COMPUTE_PGM_RSRC2:TRAP_HANDLER: 0
; COMPUTE_PGM_RSRC2:TGID_X_EN: 1
; COMPUTE_PGM_RSRC2:TGID_Y_EN: 0
; COMPUTE_PGM_RSRC2:TGID_Z_EN: 0
; COMPUTE_PGM_RSRC2:TIDIG_COMP_CNT: 0
	.section	.text._ZN9rocsparseL32bsr2csr_block_per_row_2_7_kernelILj256ELj5EiliEEv20rocsparse_direction_T3_S2_21rocsparse_index_base_PKT1_PKT2_PKS2_S2_S3_PS4_PS7_PS2_,"axG",@progbits,_ZN9rocsparseL32bsr2csr_block_per_row_2_7_kernelILj256ELj5EiliEEv20rocsparse_direction_T3_S2_21rocsparse_index_base_PKT1_PKT2_PKS2_S2_S3_PS4_PS7_PS2_,comdat
	.globl	_ZN9rocsparseL32bsr2csr_block_per_row_2_7_kernelILj256ELj5EiliEEv20rocsparse_direction_T3_S2_21rocsparse_index_base_PKT1_PKT2_PKS2_S2_S3_PS4_PS7_PS2_ ; -- Begin function _ZN9rocsparseL32bsr2csr_block_per_row_2_7_kernelILj256ELj5EiliEEv20rocsparse_direction_T3_S2_21rocsparse_index_base_PKT1_PKT2_PKS2_S2_S3_PS4_PS7_PS2_
	.p2align	8
	.type	_ZN9rocsparseL32bsr2csr_block_per_row_2_7_kernelILj256ELj5EiliEEv20rocsparse_direction_T3_S2_21rocsparse_index_base_PKT1_PKT2_PKS2_S2_S3_PS4_PS7_PS2_,@function
_ZN9rocsparseL32bsr2csr_block_per_row_2_7_kernelILj256ELj5EiliEEv20rocsparse_direction_T3_S2_21rocsparse_index_base_PKT1_PKT2_PKS2_S2_S3_PS4_PS7_PS2_: ; @_ZN9rocsparseL32bsr2csr_block_per_row_2_7_kernelILj256ELj5EiliEEv20rocsparse_direction_T3_S2_21rocsparse_index_base_PKT1_PKT2_PKS2_S2_S3_PS4_PS7_PS2_
; %bb.0:
	s_clause 0x2
	s_load_dwordx2 s[0:1], s[4:5], 0x18
	s_load_dword s8, s[4:5], 0x2c
	s_load_dwordx2 s[10:11], s[4:5], 0x38
	s_ashr_i32 s7, s6, 31
	v_or_b32_e32 v1, s6, v0
	s_lshl_b64 s[2:3], s[6:7], 3
	s_waitcnt lgkmcnt(0)
	s_add_u32 s0, s0, s2
	s_addc_u32 s1, s1, s3
	s_mov_b32 s2, exec_lo
	v_cmpx_eq_u32_e32 0, v1
	s_cbranch_execz .LBB17_2
; %bb.1:
	v_mov_b32_e32 v1, s8
	v_mov_b32_e32 v2, 0
	global_store_dwordx2 v2, v[1:2], s[10:11]
.LBB17_2:
	s_or_b32 exec_lo, exec_lo, s2
	v_and_b32_e32 v4, 7, v0
	s_mov_b32 s2, exec_lo
	v_cmpx_gt_u32_e32 5, v4
	s_cbranch_execz .LBB17_6
; %bb.3:
	s_load_dwordx4 s[0:3], s[0:1], 0x0
	s_load_dword s7, s[4:5], 0xc
	s_mul_i32 s6, s6, 5
	v_mov_b32_e32 v2, 0
	v_add3_u32 v1, v4, s6, 1
	v_lshrrev_b32_e32 v5, 3, v0
	v_lshlrev_b64 v[6:7], 3, v[1:2]
	v_add_co_u32 v6, vcc_lo, s10, v6
	v_add_co_ci_u32_e64 v7, null, s11, v7, vcc_lo
	s_waitcnt lgkmcnt(0)
	s_sub_u32 s6, s0, s7
	s_subb_u32 s9, s1, 0
	s_mul_hi_u32 s12, s6, 25
	s_mul_i32 s13, s9, 25
	s_sub_u32 s2, s2, s7
	s_subb_u32 s3, s3, 0
	s_add_i32 s12, s12, s13
	s_sub_u32 s13, s2, s6
	s_subb_u32 s11, s3, s9
	s_mul_i32 s14, s13, 5
	s_mul_hi_u32 s13, s13, 5
	v_mad_u64_u32 v[2:3], null, s14, v4, 0
	s_mul_i32 s11, s11, 5
	s_mul_i32 s10, s6, 25
	s_add_i32 s13, s13, s11
	v_add_co_u32 v0, s6, s6, v5
	v_add_co_ci_u32_e64 v1, null, s9, 0, s6
	v_mad_u64_u32 v[8:9], null, s13, v4, v[3:4]
	s_add_u32 s6, s14, s8
	s_addc_u32 s9, s13, 0
	s_add_u32 s6, s6, s10
	s_addc_u32 s9, s9, s12
	v_add_co_u32 v9, vcc_lo, s6, v2
	v_add_co_ci_u32_e64 v10, null, s9, v8, vcc_lo
	v_cmp_gt_i64_e32 vcc_lo, s[2:3], v[0:1]
	v_mov_b32_e32 v3, v8
	s_mov_b32 s6, 0
	global_store_dwordx2 v[6:7], v[9:10], off
	s_and_b32 exec_lo, exec_lo, vcc_lo
	s_cbranch_execz .LBB17_6
; %bb.4:
	v_mad_u64_u32 v[6:7], null, s0, 25, v[2:3]
	s_clause 0x1
	s_load_dwordx2 s[10:11], s[4:5], 0x30
	s_load_dwordx2 s[12:13], s[4:5], 0x10
	v_mul_u32_u24_e32 v10, 5, v4
	v_lshlrev_b32_e32 v9, 2, v4
	v_lshlrev_b32_e32 v10, 2, v10
	v_mov_b32_e32 v2, v7
	v_mad_u64_u32 v[2:3], null, s1, 25, v[2:3]
	s_clause 0x2
	s_load_dwordx2 s[0:1], s[4:5], 0x20
	s_load_dword s9, s[4:5], 0x0
	s_load_dwordx2 s[4:5], s[4:5], 0x40
	v_mov_b32_e32 v7, v2
	s_waitcnt lgkmcnt(0)
	v_mad_u64_u32 v[2:3], null, 0x64, v0, s[12:13]
	s_mul_i32 s13, s7, 25
	s_mul_hi_u32 s12, s7, 25
	v_mad_u64_u32 v[5:6], null, v5, 5, v[6:7]
	v_lshlrev_b64 v[7:8], 2, v[0:1]
	v_mad_u64_u32 v[11:12], null, 0x64, v1, v[3:4]
	v_sub_co_u32 v5, vcc_lo, v5, s13
	v_subrev_co_ci_u32_e64 v6, null, s12, v6, vcc_lo
	v_add_co_u32 v3, vcc_lo, s0, v7
	v_add_co_ci_u32_e64 v4, null, s1, v8, vcc_lo
	v_lshlrev_b64 v[5:6], 2, v[5:6]
	s_cmp_eq_u32 s9, 0
	v_add_co_u32 v7, vcc_lo, v5, 8
	v_add_co_ci_u32_e64 v8, null, 0, v6, vcc_lo
	v_add_co_u32 v5, vcc_lo, s10, v7
	v_add_co_ci_u32_e64 v6, null, s11, v8, vcc_lo
	;; [unrolled: 2-line block ×3, first 2 shown]
	s_cselect_b32 vcc_lo, -1, 0
.LBB17_5:                               ; =>This Inner Loop Header: Depth=1
	v_add_co_u32 v14, s0, v2, v9
	v_add_co_ci_u32_e64 v15, null, 0, v11, s0
	v_add_co_u32 v16, s0, v2, v10
	v_add_co_ci_u32_e64 v17, null, 0, v11, s0
	global_load_dword v22, v[3:4], off
	v_add_co_u32 v18, s0, v16, 4
	v_add_co_ci_u32_e64 v19, null, 0, v17, s0
	v_add_co_u32 v20, s0, v14, 20
	v_add_co_ci_u32_e64 v21, null, 0, v15, s0
	;; [unrolled: 2-line block ×8, first 2 shown]
	v_cndmask_b32_e32 v13, v15, v17, vcc_lo
	v_cndmask_b32_e32 v12, v14, v16, vcc_lo
	;; [unrolled: 1-line block ×10, first 2 shown]
	global_load_dword v12, v[12:13], off
	global_load_dword v13, v[14:15], off
	;; [unrolled: 1-line block ×5, first 2 shown]
	v_add_co_u32 v0, s0, v0, 32
	v_add_co_ci_u32_e64 v1, null, 0, v1, s0
	v_add_co_u32 v3, s0, 0x80, v3
	v_add_co_ci_u32_e64 v4, null, 0, v4, s0
	;; [unrolled: 2-line block ×3, first 2 shown]
	v_cmp_le_i64_e64 s0, s[2:3], v[0:1]
	s_waitcnt vmcnt(1)
	global_store_dwordx4 v[5:6], v[12:15], off offset:-8
	s_waitcnt vmcnt(0)
	global_store_dword v[5:6], v20, off offset:8
	v_subrev_nc_u32_e32 v16, s7, v22
	v_add_co_u32 v5, s1, 0x280, v5
	v_add_co_ci_u32_e64 v6, null, 0, v6, s1
	v_mad_u64_u32 v[16:17], null, v16, 5, s[8:9]
	s_or_b32 s6, s0, s6
	v_add_nc_u32_e32 v17, 1, v16
	v_add_nc_u32_e32 v18, 2, v16
	;; [unrolled: 1-line block ×4, first 2 shown]
	global_store_dwordx4 v[7:8], v[16:19], off offset:-8
	global_store_dword v[7:8], v21, off offset:8
	v_add_co_u32 v7, s1, 0x280, v7
	v_add_co_ci_u32_e64 v8, null, 0, v8, s1
	s_andn2_b32 exec_lo, exec_lo, s6
	s_cbranch_execnz .LBB17_5
.LBB17_6:
	s_endpgm
	.section	.rodata,"a",@progbits
	.p2align	6, 0x0
	.amdhsa_kernel _ZN9rocsparseL32bsr2csr_block_per_row_2_7_kernelILj256ELj5EiliEEv20rocsparse_direction_T3_S2_21rocsparse_index_base_PKT1_PKT2_PKS2_S2_S3_PS4_PS7_PS2_
		.amdhsa_group_segment_fixed_size 0
		.amdhsa_private_segment_fixed_size 0
		.amdhsa_kernarg_size 72
		.amdhsa_user_sgpr_count 6
		.amdhsa_user_sgpr_private_segment_buffer 1
		.amdhsa_user_sgpr_dispatch_ptr 0
		.amdhsa_user_sgpr_queue_ptr 0
		.amdhsa_user_sgpr_kernarg_segment_ptr 1
		.amdhsa_user_sgpr_dispatch_id 0
		.amdhsa_user_sgpr_flat_scratch_init 0
		.amdhsa_user_sgpr_private_segment_size 0
		.amdhsa_wavefront_size32 1
		.amdhsa_uses_dynamic_stack 0
		.amdhsa_system_sgpr_private_segment_wavefront_offset 0
		.amdhsa_system_sgpr_workgroup_id_x 1
		.amdhsa_system_sgpr_workgroup_id_y 0
		.amdhsa_system_sgpr_workgroup_id_z 0
		.amdhsa_system_sgpr_workgroup_info 0
		.amdhsa_system_vgpr_workitem_id 0
		.amdhsa_next_free_vgpr 35
		.amdhsa_next_free_sgpr 15
		.amdhsa_reserve_vcc 1
		.amdhsa_reserve_flat_scratch 0
		.amdhsa_float_round_mode_32 0
		.amdhsa_float_round_mode_16_64 0
		.amdhsa_float_denorm_mode_32 3
		.amdhsa_float_denorm_mode_16_64 3
		.amdhsa_dx10_clamp 1
		.amdhsa_ieee_mode 1
		.amdhsa_fp16_overflow 0
		.amdhsa_workgroup_processor_mode 1
		.amdhsa_memory_ordered 1
		.amdhsa_forward_progress 1
		.amdhsa_shared_vgpr_count 0
		.amdhsa_exception_fp_ieee_invalid_op 0
		.amdhsa_exception_fp_denorm_src 0
		.amdhsa_exception_fp_ieee_div_zero 0
		.amdhsa_exception_fp_ieee_overflow 0
		.amdhsa_exception_fp_ieee_underflow 0
		.amdhsa_exception_fp_ieee_inexact 0
		.amdhsa_exception_int_div_zero 0
	.end_amdhsa_kernel
	.section	.text._ZN9rocsparseL32bsr2csr_block_per_row_2_7_kernelILj256ELj5EiliEEv20rocsparse_direction_T3_S2_21rocsparse_index_base_PKT1_PKT2_PKS2_S2_S3_PS4_PS7_PS2_,"axG",@progbits,_ZN9rocsparseL32bsr2csr_block_per_row_2_7_kernelILj256ELj5EiliEEv20rocsparse_direction_T3_S2_21rocsparse_index_base_PKT1_PKT2_PKS2_S2_S3_PS4_PS7_PS2_,comdat
.Lfunc_end17:
	.size	_ZN9rocsparseL32bsr2csr_block_per_row_2_7_kernelILj256ELj5EiliEEv20rocsparse_direction_T3_S2_21rocsparse_index_base_PKT1_PKT2_PKS2_S2_S3_PS4_PS7_PS2_, .Lfunc_end17-_ZN9rocsparseL32bsr2csr_block_per_row_2_7_kernelILj256ELj5EiliEEv20rocsparse_direction_T3_S2_21rocsparse_index_base_PKT1_PKT2_PKS2_S2_S3_PS4_PS7_PS2_
                                        ; -- End function
	.set _ZN9rocsparseL32bsr2csr_block_per_row_2_7_kernelILj256ELj5EiliEEv20rocsparse_direction_T3_S2_21rocsparse_index_base_PKT1_PKT2_PKS2_S2_S3_PS4_PS7_PS2_.num_vgpr, 35
	.set _ZN9rocsparseL32bsr2csr_block_per_row_2_7_kernelILj256ELj5EiliEEv20rocsparse_direction_T3_S2_21rocsparse_index_base_PKT1_PKT2_PKS2_S2_S3_PS4_PS7_PS2_.num_agpr, 0
	.set _ZN9rocsparseL32bsr2csr_block_per_row_2_7_kernelILj256ELj5EiliEEv20rocsparse_direction_T3_S2_21rocsparse_index_base_PKT1_PKT2_PKS2_S2_S3_PS4_PS7_PS2_.numbered_sgpr, 15
	.set _ZN9rocsparseL32bsr2csr_block_per_row_2_7_kernelILj256ELj5EiliEEv20rocsparse_direction_T3_S2_21rocsparse_index_base_PKT1_PKT2_PKS2_S2_S3_PS4_PS7_PS2_.num_named_barrier, 0
	.set _ZN9rocsparseL32bsr2csr_block_per_row_2_7_kernelILj256ELj5EiliEEv20rocsparse_direction_T3_S2_21rocsparse_index_base_PKT1_PKT2_PKS2_S2_S3_PS4_PS7_PS2_.private_seg_size, 0
	.set _ZN9rocsparseL32bsr2csr_block_per_row_2_7_kernelILj256ELj5EiliEEv20rocsparse_direction_T3_S2_21rocsparse_index_base_PKT1_PKT2_PKS2_S2_S3_PS4_PS7_PS2_.uses_vcc, 1
	.set _ZN9rocsparseL32bsr2csr_block_per_row_2_7_kernelILj256ELj5EiliEEv20rocsparse_direction_T3_S2_21rocsparse_index_base_PKT1_PKT2_PKS2_S2_S3_PS4_PS7_PS2_.uses_flat_scratch, 0
	.set _ZN9rocsparseL32bsr2csr_block_per_row_2_7_kernelILj256ELj5EiliEEv20rocsparse_direction_T3_S2_21rocsparse_index_base_PKT1_PKT2_PKS2_S2_S3_PS4_PS7_PS2_.has_dyn_sized_stack, 0
	.set _ZN9rocsparseL32bsr2csr_block_per_row_2_7_kernelILj256ELj5EiliEEv20rocsparse_direction_T3_S2_21rocsparse_index_base_PKT1_PKT2_PKS2_S2_S3_PS4_PS7_PS2_.has_recursion, 0
	.set _ZN9rocsparseL32bsr2csr_block_per_row_2_7_kernelILj256ELj5EiliEEv20rocsparse_direction_T3_S2_21rocsparse_index_base_PKT1_PKT2_PKS2_S2_S3_PS4_PS7_PS2_.has_indirect_call, 0
	.section	.AMDGPU.csdata,"",@progbits
; Kernel info:
; codeLenInByte = 984
; TotalNumSgprs: 17
; NumVgprs: 35
; ScratchSize: 0
; MemoryBound: 0
; FloatMode: 240
; IeeeMode: 1
; LDSByteSize: 0 bytes/workgroup (compile time only)
; SGPRBlocks: 0
; VGPRBlocks: 4
; NumSGPRsForWavesPerEU: 17
; NumVGPRsForWavesPerEU: 35
; Occupancy: 16
; WaveLimiterHint : 0
; COMPUTE_PGM_RSRC2:SCRATCH_EN: 0
; COMPUTE_PGM_RSRC2:USER_SGPR: 6
; COMPUTE_PGM_RSRC2:TRAP_HANDLER: 0
; COMPUTE_PGM_RSRC2:TGID_X_EN: 1
; COMPUTE_PGM_RSRC2:TGID_Y_EN: 0
; COMPUTE_PGM_RSRC2:TGID_Z_EN: 0
; COMPUTE_PGM_RSRC2:TIDIG_COMP_CNT: 0
	.section	.text._ZN9rocsparseL32bsr2csr_block_per_row_2_7_kernelILj256ELj6EiliEEv20rocsparse_direction_T3_S2_21rocsparse_index_base_PKT1_PKT2_PKS2_S2_S3_PS4_PS7_PS2_,"axG",@progbits,_ZN9rocsparseL32bsr2csr_block_per_row_2_7_kernelILj256ELj6EiliEEv20rocsparse_direction_T3_S2_21rocsparse_index_base_PKT1_PKT2_PKS2_S2_S3_PS4_PS7_PS2_,comdat
	.globl	_ZN9rocsparseL32bsr2csr_block_per_row_2_7_kernelILj256ELj6EiliEEv20rocsparse_direction_T3_S2_21rocsparse_index_base_PKT1_PKT2_PKS2_S2_S3_PS4_PS7_PS2_ ; -- Begin function _ZN9rocsparseL32bsr2csr_block_per_row_2_7_kernelILj256ELj6EiliEEv20rocsparse_direction_T3_S2_21rocsparse_index_base_PKT1_PKT2_PKS2_S2_S3_PS4_PS7_PS2_
	.p2align	8
	.type	_ZN9rocsparseL32bsr2csr_block_per_row_2_7_kernelILj256ELj6EiliEEv20rocsparse_direction_T3_S2_21rocsparse_index_base_PKT1_PKT2_PKS2_S2_S3_PS4_PS7_PS2_,@function
_ZN9rocsparseL32bsr2csr_block_per_row_2_7_kernelILj256ELj6EiliEEv20rocsparse_direction_T3_S2_21rocsparse_index_base_PKT1_PKT2_PKS2_S2_S3_PS4_PS7_PS2_: ; @_ZN9rocsparseL32bsr2csr_block_per_row_2_7_kernelILj256ELj6EiliEEv20rocsparse_direction_T3_S2_21rocsparse_index_base_PKT1_PKT2_PKS2_S2_S3_PS4_PS7_PS2_
; %bb.0:
	s_clause 0x2
	s_load_dwordx2 s[0:1], s[4:5], 0x18
	s_load_dword s8, s[4:5], 0x2c
	s_load_dwordx2 s[10:11], s[4:5], 0x38
	s_ashr_i32 s7, s6, 31
	v_or_b32_e32 v1, s6, v0
	s_lshl_b64 s[2:3], s[6:7], 3
	s_waitcnt lgkmcnt(0)
	s_add_u32 s0, s0, s2
	s_addc_u32 s1, s1, s3
	s_mov_b32 s2, exec_lo
	v_cmpx_eq_u32_e32 0, v1
	s_cbranch_execz .LBB18_2
; %bb.1:
	v_mov_b32_e32 v1, s8
	v_mov_b32_e32 v2, 0
	global_store_dwordx2 v2, v[1:2], s[10:11]
.LBB18_2:
	s_or_b32 exec_lo, exec_lo, s2
	v_and_b32_e32 v4, 7, v0
	s_mov_b32 s2, exec_lo
	v_cmpx_gt_u32_e32 6, v4
	s_cbranch_execz .LBB18_6
; %bb.3:
	s_load_dwordx4 s[0:3], s[0:1], 0x0
	s_load_dword s7, s[4:5], 0xc
	s_mul_i32 s6, s6, 6
	v_mov_b32_e32 v2, 0
	v_add3_u32 v1, v4, s6, 1
	v_lshrrev_b32_e32 v5, 3, v0
	v_lshlrev_b64 v[6:7], 3, v[1:2]
	v_add_co_u32 v6, vcc_lo, s10, v6
	v_add_co_ci_u32_e64 v7, null, s11, v7, vcc_lo
	s_waitcnt lgkmcnt(0)
	s_sub_u32 s6, s0, s7
	s_subb_u32 s9, s1, 0
	s_mul_hi_u32 s12, s6, 36
	s_mul_i32 s13, s9, 36
	s_sub_u32 s2, s2, s7
	s_subb_u32 s3, s3, 0
	s_add_i32 s12, s12, s13
	s_sub_u32 s13, s2, s6
	s_subb_u32 s11, s3, s9
	s_mul_i32 s14, s13, 6
	s_mul_hi_u32 s13, s13, 6
	v_mad_u64_u32 v[2:3], null, s14, v4, 0
	s_mul_i32 s11, s11, 6
	s_mul_i32 s10, s6, 36
	s_add_i32 s13, s13, s11
	v_add_co_u32 v0, s6, s6, v5
	v_add_co_ci_u32_e64 v1, null, s9, 0, s6
	v_mad_u64_u32 v[8:9], null, s13, v4, v[3:4]
	s_add_u32 s6, s14, s8
	s_addc_u32 s9, s13, 0
	s_add_u32 s6, s6, s10
	s_addc_u32 s9, s9, s12
	v_add_co_u32 v9, vcc_lo, s6, v2
	v_add_co_ci_u32_e64 v10, null, s9, v8, vcc_lo
	v_cmp_gt_i64_e32 vcc_lo, s[2:3], v[0:1]
	v_mov_b32_e32 v3, v8
	s_mov_b32 s6, 0
	global_store_dwordx2 v[6:7], v[9:10], off
	s_and_b32 exec_lo, exec_lo, vcc_lo
	s_cbranch_execz .LBB18_6
; %bb.4:
	v_mad_u64_u32 v[6:7], null, s0, 36, v[2:3]
	s_clause 0x1
	s_load_dwordx2 s[10:11], s[4:5], 0x30
	s_load_dwordx2 s[12:13], s[4:5], 0x10
	v_mul_u32_u24_e32 v10, 6, v4
	v_lshlrev_b32_e32 v9, 2, v4
	v_lshlrev_b32_e32 v10, 2, v10
	v_mov_b32_e32 v2, v7
	v_mad_u64_u32 v[2:3], null, s1, 36, v[2:3]
	s_clause 0x2
	s_load_dwordx2 s[0:1], s[4:5], 0x20
	s_load_dword s9, s[4:5], 0x0
	s_load_dwordx2 s[4:5], s[4:5], 0x40
	v_mov_b32_e32 v7, v2
	s_waitcnt lgkmcnt(0)
	v_mad_u64_u32 v[2:3], null, 0x90, v0, s[12:13]
	s_mul_i32 s13, s7, 36
	s_mul_hi_u32 s12, s7, 36
	v_mad_u64_u32 v[5:6], null, v5, 6, v[6:7]
	v_lshlrev_b64 v[7:8], 2, v[0:1]
	v_mad_u64_u32 v[11:12], null, 0x90, v1, v[3:4]
	v_sub_co_u32 v5, vcc_lo, v5, s13
	v_subrev_co_ci_u32_e64 v6, null, s12, v6, vcc_lo
	v_add_co_u32 v3, vcc_lo, s0, v7
	v_add_co_ci_u32_e64 v4, null, s1, v8, vcc_lo
	v_lshlrev_b64 v[5:6], 2, v[5:6]
	s_cmp_eq_u32 s9, 0
	v_add_co_u32 v7, vcc_lo, v5, 12
	v_add_co_ci_u32_e64 v8, null, 0, v6, vcc_lo
	v_add_co_u32 v5, vcc_lo, s10, v7
	v_add_co_ci_u32_e64 v6, null, s11, v8, vcc_lo
	;; [unrolled: 2-line block ×3, first 2 shown]
	s_cselect_b32 vcc_lo, -1, 0
.LBB18_5:                               ; =>This Inner Loop Header: Depth=1
	v_add_co_u32 v14, s0, v2, v9
	v_add_co_ci_u32_e64 v15, null, 0, v11, s0
	v_add_co_u32 v16, s0, v2, v10
	v_add_co_ci_u32_e64 v17, null, 0, v11, s0
	global_load_dword v23, v[3:4], off
	v_add_co_u32 v18, s0, v16, 4
	v_add_co_ci_u32_e64 v19, null, 0, v17, s0
	v_add_co_u32 v20, s0, v14, 24
	v_add_co_ci_u32_e64 v21, null, 0, v15, s0
	;; [unrolled: 2-line block ×7, first 2 shown]
	v_add_co_u32 v33, s0, 0x60, v14
	v_cndmask_b32_e32 v13, v15, v17, vcc_lo
	v_cndmask_b32_e32 v12, v14, v16, vcc_lo
	v_add_co_ci_u32_e64 v34, null, 0, v15, s0
	v_add_co_u32 v35, s0, v16, 20
	v_add_co_ci_u32_e64 v36, null, 0, v17, s0
	v_add_co_u32 v37, s0, 0x78, v14
	v_add_co_ci_u32_e64 v38, null, 0, v15, s0
	global_load_dword v12, v[12:13], off
	v_cndmask_b32_e32 v14, v21, v19, vcc_lo
	v_cndmask_b32_e32 v13, v20, v18, vcc_lo
	;; [unrolled: 1-line block ×10, first 2 shown]
	global_load_dword v13, v[13:14], off
	global_load_dword v14, v[15:16], off
	;; [unrolled: 1-line block ×5, first 2 shown]
	v_add_co_u32 v0, s0, v0, 32
	v_add_co_ci_u32_e64 v1, null, 0, v1, s0
	v_add_co_u32 v3, s0, 0x80, v3
	v_add_co_ci_u32_e64 v4, null, 0, v4, s0
	v_add_co_u32 v2, s0, 0x1200, v2
	v_add_co_ci_u32_e64 v11, null, 0, v11, s0
	v_cmp_le_i64_e64 s0, s[2:3], v[0:1]
	s_waitcnt vmcnt(2)
	global_store_dwordx4 v[5:6], v[12:15], off offset:-12
	s_waitcnt vmcnt(0)
	global_store_dwordx2 v[5:6], v[20:21], off offset:4
	v_subrev_nc_u32_e32 v16, s7, v23
	v_add_co_u32 v5, s1, 0x300, v5
	v_add_co_ci_u32_e64 v6, null, 0, v6, s1
	v_mad_u64_u32 v[16:17], null, v16, 6, s[8:9]
	s_or_b32 s6, s0, s6
	v_add_nc_u32_e32 v17, 1, v16
	v_add_nc_u32_e32 v18, 2, v16
	;; [unrolled: 1-line block ×5, first 2 shown]
	global_store_dwordx4 v[7:8], v[16:19], off offset:-12
	global_store_dwordx2 v[7:8], v[22:23], off offset:4
	v_add_co_u32 v7, s1, 0x300, v7
	v_add_co_ci_u32_e64 v8, null, 0, v8, s1
	s_andn2_b32 exec_lo, exec_lo, s6
	s_cbranch_execnz .LBB18_5
.LBB18_6:
	s_endpgm
	.section	.rodata,"a",@progbits
	.p2align	6, 0x0
	.amdhsa_kernel _ZN9rocsparseL32bsr2csr_block_per_row_2_7_kernelILj256ELj6EiliEEv20rocsparse_direction_T3_S2_21rocsparse_index_base_PKT1_PKT2_PKS2_S2_S3_PS4_PS7_PS2_
		.amdhsa_group_segment_fixed_size 0
		.amdhsa_private_segment_fixed_size 0
		.amdhsa_kernarg_size 72
		.amdhsa_user_sgpr_count 6
		.amdhsa_user_sgpr_private_segment_buffer 1
		.amdhsa_user_sgpr_dispatch_ptr 0
		.amdhsa_user_sgpr_queue_ptr 0
		.amdhsa_user_sgpr_kernarg_segment_ptr 1
		.amdhsa_user_sgpr_dispatch_id 0
		.amdhsa_user_sgpr_flat_scratch_init 0
		.amdhsa_user_sgpr_private_segment_size 0
		.amdhsa_wavefront_size32 1
		.amdhsa_uses_dynamic_stack 0
		.amdhsa_system_sgpr_private_segment_wavefront_offset 0
		.amdhsa_system_sgpr_workgroup_id_x 1
		.amdhsa_system_sgpr_workgroup_id_y 0
		.amdhsa_system_sgpr_workgroup_id_z 0
		.amdhsa_system_sgpr_workgroup_info 0
		.amdhsa_system_vgpr_workitem_id 0
		.amdhsa_next_free_vgpr 39
		.amdhsa_next_free_sgpr 15
		.amdhsa_reserve_vcc 1
		.amdhsa_reserve_flat_scratch 0
		.amdhsa_float_round_mode_32 0
		.amdhsa_float_round_mode_16_64 0
		.amdhsa_float_denorm_mode_32 3
		.amdhsa_float_denorm_mode_16_64 3
		.amdhsa_dx10_clamp 1
		.amdhsa_ieee_mode 1
		.amdhsa_fp16_overflow 0
		.amdhsa_workgroup_processor_mode 1
		.amdhsa_memory_ordered 1
		.amdhsa_forward_progress 1
		.amdhsa_shared_vgpr_count 0
		.amdhsa_exception_fp_ieee_invalid_op 0
		.amdhsa_exception_fp_denorm_src 0
		.amdhsa_exception_fp_ieee_div_zero 0
		.amdhsa_exception_fp_ieee_overflow 0
		.amdhsa_exception_fp_ieee_underflow 0
		.amdhsa_exception_fp_ieee_inexact 0
		.amdhsa_exception_int_div_zero 0
	.end_amdhsa_kernel
	.section	.text._ZN9rocsparseL32bsr2csr_block_per_row_2_7_kernelILj256ELj6EiliEEv20rocsparse_direction_T3_S2_21rocsparse_index_base_PKT1_PKT2_PKS2_S2_S3_PS4_PS7_PS2_,"axG",@progbits,_ZN9rocsparseL32bsr2csr_block_per_row_2_7_kernelILj256ELj6EiliEEv20rocsparse_direction_T3_S2_21rocsparse_index_base_PKT1_PKT2_PKS2_S2_S3_PS4_PS7_PS2_,comdat
.Lfunc_end18:
	.size	_ZN9rocsparseL32bsr2csr_block_per_row_2_7_kernelILj256ELj6EiliEEv20rocsparse_direction_T3_S2_21rocsparse_index_base_PKT1_PKT2_PKS2_S2_S3_PS4_PS7_PS2_, .Lfunc_end18-_ZN9rocsparseL32bsr2csr_block_per_row_2_7_kernelILj256ELj6EiliEEv20rocsparse_direction_T3_S2_21rocsparse_index_base_PKT1_PKT2_PKS2_S2_S3_PS4_PS7_PS2_
                                        ; -- End function
	.set _ZN9rocsparseL32bsr2csr_block_per_row_2_7_kernelILj256ELj6EiliEEv20rocsparse_direction_T3_S2_21rocsparse_index_base_PKT1_PKT2_PKS2_S2_S3_PS4_PS7_PS2_.num_vgpr, 39
	.set _ZN9rocsparseL32bsr2csr_block_per_row_2_7_kernelILj256ELj6EiliEEv20rocsparse_direction_T3_S2_21rocsparse_index_base_PKT1_PKT2_PKS2_S2_S3_PS4_PS7_PS2_.num_agpr, 0
	.set _ZN9rocsparseL32bsr2csr_block_per_row_2_7_kernelILj256ELj6EiliEEv20rocsparse_direction_T3_S2_21rocsparse_index_base_PKT1_PKT2_PKS2_S2_S3_PS4_PS7_PS2_.numbered_sgpr, 15
	.set _ZN9rocsparseL32bsr2csr_block_per_row_2_7_kernelILj256ELj6EiliEEv20rocsparse_direction_T3_S2_21rocsparse_index_base_PKT1_PKT2_PKS2_S2_S3_PS4_PS7_PS2_.num_named_barrier, 0
	.set _ZN9rocsparseL32bsr2csr_block_per_row_2_7_kernelILj256ELj6EiliEEv20rocsparse_direction_T3_S2_21rocsparse_index_base_PKT1_PKT2_PKS2_S2_S3_PS4_PS7_PS2_.private_seg_size, 0
	.set _ZN9rocsparseL32bsr2csr_block_per_row_2_7_kernelILj256ELj6EiliEEv20rocsparse_direction_T3_S2_21rocsparse_index_base_PKT1_PKT2_PKS2_S2_S3_PS4_PS7_PS2_.uses_vcc, 1
	.set _ZN9rocsparseL32bsr2csr_block_per_row_2_7_kernelILj256ELj6EiliEEv20rocsparse_direction_T3_S2_21rocsparse_index_base_PKT1_PKT2_PKS2_S2_S3_PS4_PS7_PS2_.uses_flat_scratch, 0
	.set _ZN9rocsparseL32bsr2csr_block_per_row_2_7_kernelILj256ELj6EiliEEv20rocsparse_direction_T3_S2_21rocsparse_index_base_PKT1_PKT2_PKS2_S2_S3_PS4_PS7_PS2_.has_dyn_sized_stack, 0
	.set _ZN9rocsparseL32bsr2csr_block_per_row_2_7_kernelILj256ELj6EiliEEv20rocsparse_direction_T3_S2_21rocsparse_index_base_PKT1_PKT2_PKS2_S2_S3_PS4_PS7_PS2_.has_recursion, 0
	.set _ZN9rocsparseL32bsr2csr_block_per_row_2_7_kernelILj256ELj6EiliEEv20rocsparse_direction_T3_S2_21rocsparse_index_base_PKT1_PKT2_PKS2_S2_S3_PS4_PS7_PS2_.has_indirect_call, 0
	.section	.AMDGPU.csdata,"",@progbits
; Kernel info:
; codeLenInByte = 1044
; TotalNumSgprs: 17
; NumVgprs: 39
; ScratchSize: 0
; MemoryBound: 0
; FloatMode: 240
; IeeeMode: 1
; LDSByteSize: 0 bytes/workgroup (compile time only)
; SGPRBlocks: 0
; VGPRBlocks: 4
; NumSGPRsForWavesPerEU: 17
; NumVGPRsForWavesPerEU: 39
; Occupancy: 16
; WaveLimiterHint : 0
; COMPUTE_PGM_RSRC2:SCRATCH_EN: 0
; COMPUTE_PGM_RSRC2:USER_SGPR: 6
; COMPUTE_PGM_RSRC2:TRAP_HANDLER: 0
; COMPUTE_PGM_RSRC2:TGID_X_EN: 1
; COMPUTE_PGM_RSRC2:TGID_Y_EN: 0
; COMPUTE_PGM_RSRC2:TGID_Z_EN: 0
; COMPUTE_PGM_RSRC2:TIDIG_COMP_CNT: 0
	.section	.text._ZN9rocsparseL32bsr2csr_block_per_row_2_7_kernelILj256ELj7EiliEEv20rocsparse_direction_T3_S2_21rocsparse_index_base_PKT1_PKT2_PKS2_S2_S3_PS4_PS7_PS2_,"axG",@progbits,_ZN9rocsparseL32bsr2csr_block_per_row_2_7_kernelILj256ELj7EiliEEv20rocsparse_direction_T3_S2_21rocsparse_index_base_PKT1_PKT2_PKS2_S2_S3_PS4_PS7_PS2_,comdat
	.globl	_ZN9rocsparseL32bsr2csr_block_per_row_2_7_kernelILj256ELj7EiliEEv20rocsparse_direction_T3_S2_21rocsparse_index_base_PKT1_PKT2_PKS2_S2_S3_PS4_PS7_PS2_ ; -- Begin function _ZN9rocsparseL32bsr2csr_block_per_row_2_7_kernelILj256ELj7EiliEEv20rocsparse_direction_T3_S2_21rocsparse_index_base_PKT1_PKT2_PKS2_S2_S3_PS4_PS7_PS2_
	.p2align	8
	.type	_ZN9rocsparseL32bsr2csr_block_per_row_2_7_kernelILj256ELj7EiliEEv20rocsparse_direction_T3_S2_21rocsparse_index_base_PKT1_PKT2_PKS2_S2_S3_PS4_PS7_PS2_,@function
_ZN9rocsparseL32bsr2csr_block_per_row_2_7_kernelILj256ELj7EiliEEv20rocsparse_direction_T3_S2_21rocsparse_index_base_PKT1_PKT2_PKS2_S2_S3_PS4_PS7_PS2_: ; @_ZN9rocsparseL32bsr2csr_block_per_row_2_7_kernelILj256ELj7EiliEEv20rocsparse_direction_T3_S2_21rocsparse_index_base_PKT1_PKT2_PKS2_S2_S3_PS4_PS7_PS2_
; %bb.0:
	s_clause 0x2
	s_load_dwordx2 s[0:1], s[4:5], 0x18
	s_load_dword s8, s[4:5], 0x2c
	s_load_dwordx2 s[10:11], s[4:5], 0x38
	s_ashr_i32 s7, s6, 31
	v_or_b32_e32 v1, s6, v0
	s_lshl_b64 s[2:3], s[6:7], 3
	s_waitcnt lgkmcnt(0)
	s_add_u32 s0, s0, s2
	s_addc_u32 s1, s1, s3
	s_mov_b32 s2, exec_lo
	v_cmpx_eq_u32_e32 0, v1
	s_cbranch_execz .LBB19_2
; %bb.1:
	v_mov_b32_e32 v1, s8
	v_mov_b32_e32 v2, 0
	global_store_dwordx2 v2, v[1:2], s[10:11]
.LBB19_2:
	s_or_b32 exec_lo, exec_lo, s2
	v_and_b32_e32 v4, 7, v0
	s_mov_b32 s2, exec_lo
	v_cmpx_ne_u32_e32 7, v4
	s_cbranch_execz .LBB19_6
; %bb.3:
	s_load_dwordx4 s[0:3], s[0:1], 0x0
	s_load_dword s7, s[4:5], 0xc
	s_mul_i32 s6, s6, 7
	v_mov_b32_e32 v2, 0
	v_add3_u32 v1, v4, s6, 1
	v_lshrrev_b32_e32 v5, 3, v0
	v_lshlrev_b64 v[6:7], 3, v[1:2]
	v_add_co_u32 v6, vcc_lo, s10, v6
	v_add_co_ci_u32_e64 v7, null, s11, v7, vcc_lo
	s_waitcnt lgkmcnt(0)
	s_sub_u32 s6, s0, s7
	s_subb_u32 s9, s1, 0
	s_mul_hi_u32 s12, s6, 49
	s_mul_i32 s13, s9, 49
	s_sub_u32 s2, s2, s7
	s_subb_u32 s3, s3, 0
	s_add_i32 s12, s12, s13
	s_sub_u32 s13, s2, s6
	s_subb_u32 s11, s3, s9
	s_mul_i32 s14, s13, 7
	s_mul_hi_u32 s13, s13, 7
	v_mad_u64_u32 v[2:3], null, s14, v4, 0
	s_mul_i32 s11, s11, 7
	s_mul_i32 s10, s6, 49
	s_add_i32 s13, s13, s11
	v_add_co_u32 v0, s6, s6, v5
	v_add_co_ci_u32_e64 v1, null, s9, 0, s6
	v_mad_u64_u32 v[8:9], null, s13, v4, v[3:4]
	s_add_u32 s6, s14, s8
	s_addc_u32 s9, s13, 0
	s_add_u32 s6, s6, s10
	s_addc_u32 s9, s9, s12
	v_add_co_u32 v9, vcc_lo, s6, v2
	v_add_co_ci_u32_e64 v10, null, s9, v8, vcc_lo
	v_cmp_gt_i64_e32 vcc_lo, s[2:3], v[0:1]
	v_mov_b32_e32 v3, v8
	s_mov_b32 s6, 0
	global_store_dwordx2 v[6:7], v[9:10], off
	s_and_b32 exec_lo, exec_lo, vcc_lo
	s_cbranch_execz .LBB19_6
; %bb.4:
	v_mad_u64_u32 v[6:7], null, s0, 49, v[2:3]
	s_clause 0x1
	s_load_dwordx2 s[10:11], s[4:5], 0x30
	s_load_dwordx2 s[12:13], s[4:5], 0x10
	v_mul_u32_u24_e32 v10, 7, v4
	v_lshlrev_b32_e32 v9, 2, v4
	v_lshlrev_b32_e32 v10, 2, v10
	v_mov_b32_e32 v2, v7
	v_mad_u64_u32 v[2:3], null, s1, 49, v[2:3]
	s_clause 0x2
	s_load_dwordx2 s[0:1], s[4:5], 0x20
	s_load_dword s9, s[4:5], 0x0
	s_load_dwordx2 s[4:5], s[4:5], 0x40
	v_mov_b32_e32 v7, v2
	s_waitcnt lgkmcnt(0)
	v_mad_u64_u32 v[2:3], null, 0xc4, v0, s[12:13]
	s_mul_i32 s13, s7, 49
	s_mul_hi_u32 s12, s7, 49
	v_mad_u64_u32 v[5:6], null, v5, 7, v[6:7]
	v_lshlrev_b64 v[7:8], 2, v[0:1]
	v_mad_u64_u32 v[11:12], null, 0xc4, v1, v[3:4]
	v_sub_co_u32 v5, vcc_lo, v5, s13
	v_subrev_co_ci_u32_e64 v6, null, s12, v6, vcc_lo
	v_add_co_u32 v3, vcc_lo, s0, v7
	v_add_co_ci_u32_e64 v4, null, s1, v8, vcc_lo
	v_lshlrev_b64 v[5:6], 2, v[5:6]
	s_cmp_eq_u32 s9, 0
	v_add_co_u32 v7, vcc_lo, v5, 12
	v_add_co_ci_u32_e64 v8, null, 0, v6, vcc_lo
	v_add_co_u32 v5, vcc_lo, s10, v7
	v_add_co_ci_u32_e64 v6, null, s11, v8, vcc_lo
	v_add_co_u32 v7, vcc_lo, s4, v7
	v_add_co_ci_u32_e64 v8, null, s5, v8, vcc_lo
	s_cselect_b32 vcc_lo, -1, 0
.LBB19_5:                               ; =>This Inner Loop Header: Depth=1
	v_add_co_u32 v14, s0, v2, v9
	v_add_co_ci_u32_e64 v15, null, 0, v11, s0
	v_add_co_u32 v16, s0, v2, v10
	v_add_co_ci_u32_e64 v17, null, 0, v11, s0
	global_load_dword v25, v[3:4], off
	v_add_co_u32 v18, s0, v16, 4
	v_add_co_ci_u32_e64 v19, null, 0, v17, s0
	v_add_co_u32 v20, s0, v14, 28
	v_add_co_ci_u32_e64 v21, null, 0, v15, s0
	;; [unrolled: 2-line block ×9, first 2 shown]
	v_add_co_u32 v37, s0, 0x8c, v14
	v_cndmask_b32_e32 v13, v15, v17, vcc_lo
	v_cndmask_b32_e32 v12, v14, v16, vcc_lo
	v_add_co_ci_u32_e64 v38, null, 0, v15, s0
	v_add_co_u32 v39, s0, v16, 24
	v_add_co_ci_u32_e64 v40, null, 0, v17, s0
	v_add_co_u32 v41, s0, 0xa8, v14
	v_add_co_ci_u32_e64 v42, null, 0, v15, s0
	global_load_dword v12, v[12:13], off
	v_cndmask_b32_e32 v14, v21, v19, vcc_lo
	v_cndmask_b32_e32 v13, v20, v18, vcc_lo
	;; [unrolled: 1-line block ×12, first 2 shown]
	global_load_dword v13, v[13:14], off
	global_load_dword v14, v[15:16], off
	;; [unrolled: 1-line block ×6, first 2 shown]
	v_add_co_u32 v0, s0, v0, 32
	v_add_co_ci_u32_e64 v1, null, 0, v1, s0
	v_add_co_u32 v3, s0, 0x80, v3
	v_add_co_ci_u32_e64 v4, null, 0, v4, s0
	;; [unrolled: 2-line block ×3, first 2 shown]
	v_cmp_le_i64_e64 s0, s[2:3], v[0:1]
	s_waitcnt vmcnt(3)
	global_store_dwordx4 v[5:6], v[12:15], off offset:-12
	s_waitcnt vmcnt(0)
	global_store_dwordx3 v[5:6], v[20:22], off offset:4
	v_subrev_nc_u32_e32 v16, s7, v25
	v_add_co_u32 v5, s1, 0x380, v5
	v_add_co_ci_u32_e64 v6, null, 0, v6, s1
	v_mad_u64_u32 v[16:17], null, v16, 7, s[8:9]
	s_or_b32 s6, s0, s6
	v_add_nc_u32_e32 v17, 1, v16
	v_add_nc_u32_e32 v18, 2, v16
	;; [unrolled: 1-line block ×6, first 2 shown]
	global_store_dwordx4 v[7:8], v[16:19], off offset:-12
	global_store_dwordx3 v[7:8], v[23:25], off offset:4
	v_add_co_u32 v7, s1, 0x380, v7
	v_add_co_ci_u32_e64 v8, null, 0, v8, s1
	s_andn2_b32 exec_lo, exec_lo, s6
	s_cbranch_execnz .LBB19_5
.LBB19_6:
	s_endpgm
	.section	.rodata,"a",@progbits
	.p2align	6, 0x0
	.amdhsa_kernel _ZN9rocsparseL32bsr2csr_block_per_row_2_7_kernelILj256ELj7EiliEEv20rocsparse_direction_T3_S2_21rocsparse_index_base_PKT1_PKT2_PKS2_S2_S3_PS4_PS7_PS2_
		.amdhsa_group_segment_fixed_size 0
		.amdhsa_private_segment_fixed_size 0
		.amdhsa_kernarg_size 72
		.amdhsa_user_sgpr_count 6
		.amdhsa_user_sgpr_private_segment_buffer 1
		.amdhsa_user_sgpr_dispatch_ptr 0
		.amdhsa_user_sgpr_queue_ptr 0
		.amdhsa_user_sgpr_kernarg_segment_ptr 1
		.amdhsa_user_sgpr_dispatch_id 0
		.amdhsa_user_sgpr_flat_scratch_init 0
		.amdhsa_user_sgpr_private_segment_size 0
		.amdhsa_wavefront_size32 1
		.amdhsa_uses_dynamic_stack 0
		.amdhsa_system_sgpr_private_segment_wavefront_offset 0
		.amdhsa_system_sgpr_workgroup_id_x 1
		.amdhsa_system_sgpr_workgroup_id_y 0
		.amdhsa_system_sgpr_workgroup_id_z 0
		.amdhsa_system_sgpr_workgroup_info 0
		.amdhsa_system_vgpr_workitem_id 0
		.amdhsa_next_free_vgpr 43
		.amdhsa_next_free_sgpr 15
		.amdhsa_reserve_vcc 1
		.amdhsa_reserve_flat_scratch 0
		.amdhsa_float_round_mode_32 0
		.amdhsa_float_round_mode_16_64 0
		.amdhsa_float_denorm_mode_32 3
		.amdhsa_float_denorm_mode_16_64 3
		.amdhsa_dx10_clamp 1
		.amdhsa_ieee_mode 1
		.amdhsa_fp16_overflow 0
		.amdhsa_workgroup_processor_mode 1
		.amdhsa_memory_ordered 1
		.amdhsa_forward_progress 1
		.amdhsa_shared_vgpr_count 0
		.amdhsa_exception_fp_ieee_invalid_op 0
		.amdhsa_exception_fp_denorm_src 0
		.amdhsa_exception_fp_ieee_div_zero 0
		.amdhsa_exception_fp_ieee_overflow 0
		.amdhsa_exception_fp_ieee_underflow 0
		.amdhsa_exception_fp_ieee_inexact 0
		.amdhsa_exception_int_div_zero 0
	.end_amdhsa_kernel
	.section	.text._ZN9rocsparseL32bsr2csr_block_per_row_2_7_kernelILj256ELj7EiliEEv20rocsparse_direction_T3_S2_21rocsparse_index_base_PKT1_PKT2_PKS2_S2_S3_PS4_PS7_PS2_,"axG",@progbits,_ZN9rocsparseL32bsr2csr_block_per_row_2_7_kernelILj256ELj7EiliEEv20rocsparse_direction_T3_S2_21rocsparse_index_base_PKT1_PKT2_PKS2_S2_S3_PS4_PS7_PS2_,comdat
.Lfunc_end19:
	.size	_ZN9rocsparseL32bsr2csr_block_per_row_2_7_kernelILj256ELj7EiliEEv20rocsparse_direction_T3_S2_21rocsparse_index_base_PKT1_PKT2_PKS2_S2_S3_PS4_PS7_PS2_, .Lfunc_end19-_ZN9rocsparseL32bsr2csr_block_per_row_2_7_kernelILj256ELj7EiliEEv20rocsparse_direction_T3_S2_21rocsparse_index_base_PKT1_PKT2_PKS2_S2_S3_PS4_PS7_PS2_
                                        ; -- End function
	.set _ZN9rocsparseL32bsr2csr_block_per_row_2_7_kernelILj256ELj7EiliEEv20rocsparse_direction_T3_S2_21rocsparse_index_base_PKT1_PKT2_PKS2_S2_S3_PS4_PS7_PS2_.num_vgpr, 43
	.set _ZN9rocsparseL32bsr2csr_block_per_row_2_7_kernelILj256ELj7EiliEEv20rocsparse_direction_T3_S2_21rocsparse_index_base_PKT1_PKT2_PKS2_S2_S3_PS4_PS7_PS2_.num_agpr, 0
	.set _ZN9rocsparseL32bsr2csr_block_per_row_2_7_kernelILj256ELj7EiliEEv20rocsparse_direction_T3_S2_21rocsparse_index_base_PKT1_PKT2_PKS2_S2_S3_PS4_PS7_PS2_.numbered_sgpr, 15
	.set _ZN9rocsparseL32bsr2csr_block_per_row_2_7_kernelILj256ELj7EiliEEv20rocsparse_direction_T3_S2_21rocsparse_index_base_PKT1_PKT2_PKS2_S2_S3_PS4_PS7_PS2_.num_named_barrier, 0
	.set _ZN9rocsparseL32bsr2csr_block_per_row_2_7_kernelILj256ELj7EiliEEv20rocsparse_direction_T3_S2_21rocsparse_index_base_PKT1_PKT2_PKS2_S2_S3_PS4_PS7_PS2_.private_seg_size, 0
	.set _ZN9rocsparseL32bsr2csr_block_per_row_2_7_kernelILj256ELj7EiliEEv20rocsparse_direction_T3_S2_21rocsparse_index_base_PKT1_PKT2_PKS2_S2_S3_PS4_PS7_PS2_.uses_vcc, 1
	.set _ZN9rocsparseL32bsr2csr_block_per_row_2_7_kernelILj256ELj7EiliEEv20rocsparse_direction_T3_S2_21rocsparse_index_base_PKT1_PKT2_PKS2_S2_S3_PS4_PS7_PS2_.uses_flat_scratch, 0
	.set _ZN9rocsparseL32bsr2csr_block_per_row_2_7_kernelILj256ELj7EiliEEv20rocsparse_direction_T3_S2_21rocsparse_index_base_PKT1_PKT2_PKS2_S2_S3_PS4_PS7_PS2_.has_dyn_sized_stack, 0
	.set _ZN9rocsparseL32bsr2csr_block_per_row_2_7_kernelILj256ELj7EiliEEv20rocsparse_direction_T3_S2_21rocsparse_index_base_PKT1_PKT2_PKS2_S2_S3_PS4_PS7_PS2_.has_recursion, 0
	.set _ZN9rocsparseL32bsr2csr_block_per_row_2_7_kernelILj256ELj7EiliEEv20rocsparse_direction_T3_S2_21rocsparse_index_base_PKT1_PKT2_PKS2_S2_S3_PS4_PS7_PS2_.has_indirect_call, 0
	.section	.AMDGPU.csdata,"",@progbits
; Kernel info:
; codeLenInByte = 1100
; TotalNumSgprs: 17
; NumVgprs: 43
; ScratchSize: 0
; MemoryBound: 0
; FloatMode: 240
; IeeeMode: 1
; LDSByteSize: 0 bytes/workgroup (compile time only)
; SGPRBlocks: 0
; VGPRBlocks: 5
; NumSGPRsForWavesPerEU: 17
; NumVGPRsForWavesPerEU: 43
; Occupancy: 16
; WaveLimiterHint : 0
; COMPUTE_PGM_RSRC2:SCRATCH_EN: 0
; COMPUTE_PGM_RSRC2:USER_SGPR: 6
; COMPUTE_PGM_RSRC2:TRAP_HANDLER: 0
; COMPUTE_PGM_RSRC2:TGID_X_EN: 1
; COMPUTE_PGM_RSRC2:TGID_Y_EN: 0
; COMPUTE_PGM_RSRC2:TGID_Z_EN: 0
; COMPUTE_PGM_RSRC2:TIDIG_COMP_CNT: 0
	.section	.text._ZN9rocsparseL33bsr2csr_block_per_row_8_32_kernelILj1024ELj8EiliEEv20rocsparse_direction_T3_S2_21rocsparse_index_base_PKT1_PKT2_PKS2_S2_S3_PS4_PS7_PS2_,"axG",@progbits,_ZN9rocsparseL33bsr2csr_block_per_row_8_32_kernelILj1024ELj8EiliEEv20rocsparse_direction_T3_S2_21rocsparse_index_base_PKT1_PKT2_PKS2_S2_S3_PS4_PS7_PS2_,comdat
	.globl	_ZN9rocsparseL33bsr2csr_block_per_row_8_32_kernelILj1024ELj8EiliEEv20rocsparse_direction_T3_S2_21rocsparse_index_base_PKT1_PKT2_PKS2_S2_S3_PS4_PS7_PS2_ ; -- Begin function _ZN9rocsparseL33bsr2csr_block_per_row_8_32_kernelILj1024ELj8EiliEEv20rocsparse_direction_T3_S2_21rocsparse_index_base_PKT1_PKT2_PKS2_S2_S3_PS4_PS7_PS2_
	.p2align	8
	.type	_ZN9rocsparseL33bsr2csr_block_per_row_8_32_kernelILj1024ELj8EiliEEv20rocsparse_direction_T3_S2_21rocsparse_index_base_PKT1_PKT2_PKS2_S2_S3_PS4_PS7_PS2_,@function
_ZN9rocsparseL33bsr2csr_block_per_row_8_32_kernelILj1024ELj8EiliEEv20rocsparse_direction_T3_S2_21rocsparse_index_base_PKT1_PKT2_PKS2_S2_S3_PS4_PS7_PS2_: ; @_ZN9rocsparseL33bsr2csr_block_per_row_8_32_kernelILj1024ELj8EiliEEv20rocsparse_direction_T3_S2_21rocsparse_index_base_PKT1_PKT2_PKS2_S2_S3_PS4_PS7_PS2_
; %bb.0:
	s_clause 0x2
	s_load_dwordx2 s[0:1], s[4:5], 0x18
	s_load_dwordx2 s[2:3], s[4:5], 0x28
	s_load_dwordx2 s[8:9], s[4:5], 0x38
	s_ashr_i32 s7, s6, 31
	v_or_b32_e32 v1, s6, v0
	s_lshl_b64 s[10:11], s[6:7], 3
	s_mov_b32 s7, exec_lo
	s_waitcnt lgkmcnt(0)
	s_add_u32 s0, s0, s10
	s_addc_u32 s1, s1, s11
	v_cmpx_eq_u32_e32 0, v1
	s_cbranch_execz .LBB20_2
; %bb.1:
	v_mov_b32_e32 v1, s3
	v_mov_b32_e32 v2, 0
	global_store_dwordx2 v2, v[1:2], s[8:9]
.LBB20_2:
	s_or_b32 exec_lo, exec_lo, s7
	v_and_b32_e32 v6, 7, v0
	v_bfe_u32 v2, v0, 3, 3
	s_mov_b32 s7, exec_lo
	v_max_i32_e32 v1, v2, v6
	v_cmpx_gt_i32_e64 s2, v1
	s_cbranch_execz .LBB20_6
; %bb.3:
	s_load_dwordx4 s[16:19], s[0:1], 0x0
	s_load_dword s14, s[4:5], 0xc
	s_mul_i32 s0, s2, s2
	v_mad_u64_u32 v[7:8], null, s2, s6, v[2:3]
	v_lshrrev_b32_e32 v4, 6, v0
	v_mov_b32_e32 v5, 0
	v_ashrrev_i32_e32 v8, 31, v7
	v_lshlrev_b64 v[7:8], 3, v[7:8]
	s_waitcnt lgkmcnt(0)
	s_sub_u32 s1, s16, s14
	s_subb_u32 s15, s17, 0
	s_mul_hi_u32 s11, s1, s0
	s_mul_i32 s12, s15, s0
	s_sub_u32 s6, s18, s14
	s_subb_u32 s7, s19, 0
	s_add_i32 s11, s11, s12
	s_sub_u32 s13, s6, s1
	s_subb_u32 s12, s7, s15
	s_mul_hi_u32 s16, s13, s2
	s_mul_i32 s17, s12, s2
	s_mul_i32 s18, s13, s2
	s_add_i32 s19, s16, s17
	s_mul_i32 s10, s1, s0
	s_add_u32 s16, s18, s3
	s_addc_u32 s17, s19, 0
	s_add_u32 s16, s16, s10
	s_addc_u32 s17, s17, s11
	v_add_co_u32 v0, s1, s1, v4
	v_mad_u64_u32 v[9:10], null, s18, v2, s[16:17]
	v_add_co_u32 v7, vcc_lo, s8, v7
	v_add_co_ci_u32_e64 v8, null, s9, v8, vcc_lo
	v_mov_b32_e32 v1, v10
	v_mad_u64_u32 v[10:11], null, s19, v2, v[1:2]
	v_add_co_ci_u32_e64 v1, null, s15, 0, s1
	s_mov_b32 s1, 0
	v_cmp_gt_i64_e32 vcc_lo, s[6:7], v[0:1]
	global_store_dwordx2 v[7:8], v[9:10], off offset:8
	s_and_b32 exec_lo, exec_lo, vcc_lo
	s_cbranch_execz .LBB20_6
; %bb.4:
	s_clause 0x3
	s_load_dwordx2 s[16:17], s[4:5], 0x10
	s_load_dwordx2 s[18:19], s[4:5], 0x20
	;; [unrolled: 1-line block ×3, first 2 shown]
	s_load_dword s15, s[4:5], 0x0
	v_mul_lo_u32 v7, s2, v6
	v_mov_b32_e32 v8, v5
	v_mad_u64_u32 v[11:12], null, v0, s0, 0
	v_mov_b32_e32 v10, v5
	v_mad_u64_u32 v[4:5], null, s13, v2, v[4:5]
	v_mul_lo_u32 v9, s2, v2
	v_lshlrev_b64 v[7:8], 2, v[7:8]
	v_lshlrev_b32_e32 v13, 2, v2
	s_mov_b32 s20, s2
	v_add_nc_u32_e32 v3, s3, v6
	s_load_dwordx2 s[4:5], s[4:5], 0x40
	s_mov_b32 s21, s1
	v_lshlrev_b64 v[9:10], 2, v[9:10]
	s_waitcnt lgkmcnt(0)
	v_add_co_u32 v7, vcc_lo, s16, v7
	v_add_co_ci_u32_e64 v8, null, s17, v8, vcc_lo
	s_cmp_eq_u32 s15, 0
	v_add_co_u32 v15, vcc_lo, v7, v13
	v_mov_b32_e32 v7, v12
	v_mad_u64_u32 v[13:14], null, v4, s20, s[10:11]
	v_mov_b32_e32 v4, v5
	v_add_co_ci_u32_e64 v16, null, 0, v8, vcc_lo
	v_mad_u64_u32 v[7:8], null, v1, s0, v[7:8]
	v_mad_u64_u32 v[4:5], null, s12, v2, v[4:5]
	v_add_co_u32 v9, vcc_lo, s16, v9
	v_lshlrev_b32_e32 v12, 2, v6
	v_mov_b32_e32 v2, v14
	v_add_co_ci_u32_e64 v10, null, s17, v10, vcc_lo
	v_add_co_u32 v8, vcc_lo, v9, v12
	v_mov_b32_e32 v12, v7
	v_mad_u64_u32 v[4:5], null, v4, s20, v[2:3]
	v_add_co_ci_u32_e64 v9, null, 0, v10, vcc_lo
	s_cselect_b32 vcc_lo, -1, 0
	s_lshl_b64 s[10:11], s[0:1], 6
	v_cndmask_b32_e32 v5, v15, v8, vcc_lo
	v_lshlrev_b64 v[7:8], 2, v[11:12]
	v_cndmask_b32_e32 v2, v16, v9, vcc_lo
	v_add_co_u32 v9, vcc_lo, v13, v6
	v_lshlrev_b64 v[11:12], 2, v[0:1]
	v_add_co_ci_u32_e64 v10, null, 0, v4, vcc_lo
	v_add_co_u32 v4, vcc_lo, v5, v7
	v_add_co_ci_u32_e64 v5, null, v2, v8, vcc_lo
	v_add_co_u32 v8, vcc_lo, s18, v11
	v_lshlrev_b64 v[6:7], 2, v[9:10]
	v_add_co_ci_u32_e64 v9, null, s19, v12, vcc_lo
	s_lshl_b64 s[12:13], s[20:21], 6
	s_inst_prefetch 0x1
	.p2align	6
.LBB20_5:                               ; =>This Inner Loop Header: Depth=1
	global_load_dword v2, v[8:9], off
	global_load_dword v16, v[4:5], off
	v_add_co_u32 v10, vcc_lo, s4, v6
	v_add_co_ci_u32_e64 v11, null, s5, v7, vcc_lo
	v_add_co_u32 v12, vcc_lo, s8, v6
	v_add_co_ci_u32_e64 v13, null, s9, v7, vcc_lo
	;; [unrolled: 2-line block ×5, first 2 shown]
	v_cmp_le_i64_e32 vcc_lo, s[6:7], v[0:1]
	v_add_co_u32 v8, s0, v8, 64
	v_add_co_ci_u32_e64 v9, null, 0, v9, s0
	s_or_b32 s1, vcc_lo, s1
	s_waitcnt vmcnt(1)
	v_subrev_nc_u32_e32 v2, s14, v2
	v_mad_u64_u32 v[14:15], null, v2, s2, v[3:4]
	s_waitcnt vmcnt(0)
	global_store_dword v[12:13], v16, off
	global_store_dword v[10:11], v14, off
	s_andn2_b32 exec_lo, exec_lo, s1
	s_cbranch_execnz .LBB20_5
.LBB20_6:
	s_inst_prefetch 0x2
	s_endpgm
	.section	.rodata,"a",@progbits
	.p2align	6, 0x0
	.amdhsa_kernel _ZN9rocsparseL33bsr2csr_block_per_row_8_32_kernelILj1024ELj8EiliEEv20rocsparse_direction_T3_S2_21rocsparse_index_base_PKT1_PKT2_PKS2_S2_S3_PS4_PS7_PS2_
		.amdhsa_group_segment_fixed_size 0
		.amdhsa_private_segment_fixed_size 0
		.amdhsa_kernarg_size 72
		.amdhsa_user_sgpr_count 6
		.amdhsa_user_sgpr_private_segment_buffer 1
		.amdhsa_user_sgpr_dispatch_ptr 0
		.amdhsa_user_sgpr_queue_ptr 0
		.amdhsa_user_sgpr_kernarg_segment_ptr 1
		.amdhsa_user_sgpr_dispatch_id 0
		.amdhsa_user_sgpr_flat_scratch_init 0
		.amdhsa_user_sgpr_private_segment_size 0
		.amdhsa_wavefront_size32 1
		.amdhsa_uses_dynamic_stack 0
		.amdhsa_system_sgpr_private_segment_wavefront_offset 0
		.amdhsa_system_sgpr_workgroup_id_x 1
		.amdhsa_system_sgpr_workgroup_id_y 0
		.amdhsa_system_sgpr_workgroup_id_z 0
		.amdhsa_system_sgpr_workgroup_info 0
		.amdhsa_system_vgpr_workitem_id 0
		.amdhsa_next_free_vgpr 17
		.amdhsa_next_free_sgpr 22
		.amdhsa_reserve_vcc 1
		.amdhsa_reserve_flat_scratch 0
		.amdhsa_float_round_mode_32 0
		.amdhsa_float_round_mode_16_64 0
		.amdhsa_float_denorm_mode_32 3
		.amdhsa_float_denorm_mode_16_64 3
		.amdhsa_dx10_clamp 1
		.amdhsa_ieee_mode 1
		.amdhsa_fp16_overflow 0
		.amdhsa_workgroup_processor_mode 1
		.amdhsa_memory_ordered 1
		.amdhsa_forward_progress 1
		.amdhsa_shared_vgpr_count 0
		.amdhsa_exception_fp_ieee_invalid_op 0
		.amdhsa_exception_fp_denorm_src 0
		.amdhsa_exception_fp_ieee_div_zero 0
		.amdhsa_exception_fp_ieee_overflow 0
		.amdhsa_exception_fp_ieee_underflow 0
		.amdhsa_exception_fp_ieee_inexact 0
		.amdhsa_exception_int_div_zero 0
	.end_amdhsa_kernel
	.section	.text._ZN9rocsparseL33bsr2csr_block_per_row_8_32_kernelILj1024ELj8EiliEEv20rocsparse_direction_T3_S2_21rocsparse_index_base_PKT1_PKT2_PKS2_S2_S3_PS4_PS7_PS2_,"axG",@progbits,_ZN9rocsparseL33bsr2csr_block_per_row_8_32_kernelILj1024ELj8EiliEEv20rocsparse_direction_T3_S2_21rocsparse_index_base_PKT1_PKT2_PKS2_S2_S3_PS4_PS7_PS2_,comdat
.Lfunc_end20:
	.size	_ZN9rocsparseL33bsr2csr_block_per_row_8_32_kernelILj1024ELj8EiliEEv20rocsparse_direction_T3_S2_21rocsparse_index_base_PKT1_PKT2_PKS2_S2_S3_PS4_PS7_PS2_, .Lfunc_end20-_ZN9rocsparseL33bsr2csr_block_per_row_8_32_kernelILj1024ELj8EiliEEv20rocsparse_direction_T3_S2_21rocsparse_index_base_PKT1_PKT2_PKS2_S2_S3_PS4_PS7_PS2_
                                        ; -- End function
	.set _ZN9rocsparseL33bsr2csr_block_per_row_8_32_kernelILj1024ELj8EiliEEv20rocsparse_direction_T3_S2_21rocsparse_index_base_PKT1_PKT2_PKS2_S2_S3_PS4_PS7_PS2_.num_vgpr, 17
	.set _ZN9rocsparseL33bsr2csr_block_per_row_8_32_kernelILj1024ELj8EiliEEv20rocsparse_direction_T3_S2_21rocsparse_index_base_PKT1_PKT2_PKS2_S2_S3_PS4_PS7_PS2_.num_agpr, 0
	.set _ZN9rocsparseL33bsr2csr_block_per_row_8_32_kernelILj1024ELj8EiliEEv20rocsparse_direction_T3_S2_21rocsparse_index_base_PKT1_PKT2_PKS2_S2_S3_PS4_PS7_PS2_.numbered_sgpr, 22
	.set _ZN9rocsparseL33bsr2csr_block_per_row_8_32_kernelILj1024ELj8EiliEEv20rocsparse_direction_T3_S2_21rocsparse_index_base_PKT1_PKT2_PKS2_S2_S3_PS4_PS7_PS2_.num_named_barrier, 0
	.set _ZN9rocsparseL33bsr2csr_block_per_row_8_32_kernelILj1024ELj8EiliEEv20rocsparse_direction_T3_S2_21rocsparse_index_base_PKT1_PKT2_PKS2_S2_S3_PS4_PS7_PS2_.private_seg_size, 0
	.set _ZN9rocsparseL33bsr2csr_block_per_row_8_32_kernelILj1024ELj8EiliEEv20rocsparse_direction_T3_S2_21rocsparse_index_base_PKT1_PKT2_PKS2_S2_S3_PS4_PS7_PS2_.uses_vcc, 1
	.set _ZN9rocsparseL33bsr2csr_block_per_row_8_32_kernelILj1024ELj8EiliEEv20rocsparse_direction_T3_S2_21rocsparse_index_base_PKT1_PKT2_PKS2_S2_S3_PS4_PS7_PS2_.uses_flat_scratch, 0
	.set _ZN9rocsparseL33bsr2csr_block_per_row_8_32_kernelILj1024ELj8EiliEEv20rocsparse_direction_T3_S2_21rocsparse_index_base_PKT1_PKT2_PKS2_S2_S3_PS4_PS7_PS2_.has_dyn_sized_stack, 0
	.set _ZN9rocsparseL33bsr2csr_block_per_row_8_32_kernelILj1024ELj8EiliEEv20rocsparse_direction_T3_S2_21rocsparse_index_base_PKT1_PKT2_PKS2_S2_S3_PS4_PS7_PS2_.has_recursion, 0
	.set _ZN9rocsparseL33bsr2csr_block_per_row_8_32_kernelILj1024ELj8EiliEEv20rocsparse_direction_T3_S2_21rocsparse_index_base_PKT1_PKT2_PKS2_S2_S3_PS4_PS7_PS2_.has_indirect_call, 0
	.section	.AMDGPU.csdata,"",@progbits
; Kernel info:
; codeLenInByte = 876
; TotalNumSgprs: 24
; NumVgprs: 17
; ScratchSize: 0
; MemoryBound: 0
; FloatMode: 240
; IeeeMode: 1
; LDSByteSize: 0 bytes/workgroup (compile time only)
; SGPRBlocks: 0
; VGPRBlocks: 2
; NumSGPRsForWavesPerEU: 24
; NumVGPRsForWavesPerEU: 17
; Occupancy: 16
; WaveLimiterHint : 0
; COMPUTE_PGM_RSRC2:SCRATCH_EN: 0
; COMPUTE_PGM_RSRC2:USER_SGPR: 6
; COMPUTE_PGM_RSRC2:TRAP_HANDLER: 0
; COMPUTE_PGM_RSRC2:TGID_X_EN: 1
; COMPUTE_PGM_RSRC2:TGID_Y_EN: 0
; COMPUTE_PGM_RSRC2:TGID_Z_EN: 0
; COMPUTE_PGM_RSRC2:TIDIG_COMP_CNT: 0
	.section	.text._ZN9rocsparseL33bsr2csr_block_per_row_8_32_kernelILj1024ELj16EiliEEv20rocsparse_direction_T3_S2_21rocsparse_index_base_PKT1_PKT2_PKS2_S2_S3_PS4_PS7_PS2_,"axG",@progbits,_ZN9rocsparseL33bsr2csr_block_per_row_8_32_kernelILj1024ELj16EiliEEv20rocsparse_direction_T3_S2_21rocsparse_index_base_PKT1_PKT2_PKS2_S2_S3_PS4_PS7_PS2_,comdat
	.globl	_ZN9rocsparseL33bsr2csr_block_per_row_8_32_kernelILj1024ELj16EiliEEv20rocsparse_direction_T3_S2_21rocsparse_index_base_PKT1_PKT2_PKS2_S2_S3_PS4_PS7_PS2_ ; -- Begin function _ZN9rocsparseL33bsr2csr_block_per_row_8_32_kernelILj1024ELj16EiliEEv20rocsparse_direction_T3_S2_21rocsparse_index_base_PKT1_PKT2_PKS2_S2_S3_PS4_PS7_PS2_
	.p2align	8
	.type	_ZN9rocsparseL33bsr2csr_block_per_row_8_32_kernelILj1024ELj16EiliEEv20rocsparse_direction_T3_S2_21rocsparse_index_base_PKT1_PKT2_PKS2_S2_S3_PS4_PS7_PS2_,@function
_ZN9rocsparseL33bsr2csr_block_per_row_8_32_kernelILj1024ELj16EiliEEv20rocsparse_direction_T3_S2_21rocsparse_index_base_PKT1_PKT2_PKS2_S2_S3_PS4_PS7_PS2_: ; @_ZN9rocsparseL33bsr2csr_block_per_row_8_32_kernelILj1024ELj16EiliEEv20rocsparse_direction_T3_S2_21rocsparse_index_base_PKT1_PKT2_PKS2_S2_S3_PS4_PS7_PS2_
; %bb.0:
	s_clause 0x2
	s_load_dwordx2 s[0:1], s[4:5], 0x18
	s_load_dwordx2 s[2:3], s[4:5], 0x28
	;; [unrolled: 1-line block ×3, first 2 shown]
	s_ashr_i32 s7, s6, 31
	v_or_b32_e32 v1, s6, v0
	s_lshl_b64 s[10:11], s[6:7], 3
	s_mov_b32 s7, exec_lo
	s_waitcnt lgkmcnt(0)
	s_add_u32 s0, s0, s10
	s_addc_u32 s1, s1, s11
	v_cmpx_eq_u32_e32 0, v1
	s_cbranch_execz .LBB21_2
; %bb.1:
	v_mov_b32_e32 v1, s3
	v_mov_b32_e32 v2, 0
	global_store_dwordx2 v2, v[1:2], s[8:9]
.LBB21_2:
	s_or_b32 exec_lo, exec_lo, s7
	v_and_b32_e32 v6, 15, v0
	v_bfe_u32 v2, v0, 4, 4
	s_mov_b32 s7, exec_lo
	v_max_i32_e32 v1, v2, v6
	v_cmpx_gt_i32_e64 s2, v1
	s_cbranch_execz .LBB21_6
; %bb.3:
	s_load_dwordx4 s[16:19], s[0:1], 0x0
	s_load_dword s14, s[4:5], 0xc
	s_mul_i32 s0, s2, s2
	v_mad_u64_u32 v[7:8], null, s2, s6, v[2:3]
	v_lshrrev_b32_e32 v4, 8, v0
	v_mov_b32_e32 v5, 0
	v_ashrrev_i32_e32 v8, 31, v7
	v_lshlrev_b64 v[7:8], 3, v[7:8]
	s_waitcnt lgkmcnt(0)
	s_sub_u32 s1, s16, s14
	s_subb_u32 s15, s17, 0
	s_mul_hi_u32 s11, s1, s0
	s_mul_i32 s12, s15, s0
	s_sub_u32 s6, s18, s14
	s_subb_u32 s7, s19, 0
	s_add_i32 s11, s11, s12
	s_sub_u32 s13, s6, s1
	s_subb_u32 s12, s7, s15
	s_mul_hi_u32 s16, s13, s2
	s_mul_i32 s17, s12, s2
	s_mul_i32 s18, s13, s2
	s_add_i32 s19, s16, s17
	s_mul_i32 s10, s1, s0
	s_add_u32 s16, s18, s3
	s_addc_u32 s17, s19, 0
	s_add_u32 s16, s16, s10
	s_addc_u32 s17, s17, s11
	v_add_co_u32 v0, s1, s1, v4
	v_mad_u64_u32 v[9:10], null, s18, v2, s[16:17]
	v_add_co_u32 v7, vcc_lo, s8, v7
	v_add_co_ci_u32_e64 v8, null, s9, v8, vcc_lo
	v_mov_b32_e32 v1, v10
	v_mad_u64_u32 v[10:11], null, s19, v2, v[1:2]
	v_add_co_ci_u32_e64 v1, null, s15, 0, s1
	s_mov_b32 s1, 0
	v_cmp_gt_i64_e32 vcc_lo, s[6:7], v[0:1]
	global_store_dwordx2 v[7:8], v[9:10], off offset:8
	s_and_b32 exec_lo, exec_lo, vcc_lo
	s_cbranch_execz .LBB21_6
; %bb.4:
	s_clause 0x3
	s_load_dwordx2 s[16:17], s[4:5], 0x10
	s_load_dwordx2 s[18:19], s[4:5], 0x20
	;; [unrolled: 1-line block ×3, first 2 shown]
	s_load_dword s15, s[4:5], 0x0
	v_mul_lo_u32 v7, s2, v6
	v_mov_b32_e32 v8, v5
	v_mad_u64_u32 v[11:12], null, v0, s0, 0
	v_mov_b32_e32 v10, v5
	v_mad_u64_u32 v[4:5], null, s13, v2, v[4:5]
	v_mul_lo_u32 v9, s2, v2
	v_lshlrev_b64 v[7:8], 2, v[7:8]
	v_lshlrev_b32_e32 v13, 2, v2
	s_mov_b32 s20, s2
	v_add_nc_u32_e32 v3, s3, v6
	s_load_dwordx2 s[4:5], s[4:5], 0x40
	s_mov_b32 s21, s1
	v_lshlrev_b64 v[9:10], 2, v[9:10]
	s_waitcnt lgkmcnt(0)
	v_add_co_u32 v7, vcc_lo, s16, v7
	v_add_co_ci_u32_e64 v8, null, s17, v8, vcc_lo
	s_cmp_eq_u32 s15, 0
	v_add_co_u32 v15, vcc_lo, v7, v13
	v_mov_b32_e32 v7, v12
	v_mad_u64_u32 v[13:14], null, v4, s20, s[10:11]
	v_mov_b32_e32 v4, v5
	v_add_co_ci_u32_e64 v16, null, 0, v8, vcc_lo
	v_mad_u64_u32 v[7:8], null, v1, s0, v[7:8]
	v_mad_u64_u32 v[4:5], null, s12, v2, v[4:5]
	v_add_co_u32 v9, vcc_lo, s16, v9
	v_lshlrev_b32_e32 v12, 2, v6
	v_mov_b32_e32 v2, v14
	v_add_co_ci_u32_e64 v10, null, s17, v10, vcc_lo
	v_add_co_u32 v8, vcc_lo, v9, v12
	v_mov_b32_e32 v12, v7
	v_mad_u64_u32 v[4:5], null, v4, s20, v[2:3]
	v_add_co_ci_u32_e64 v9, null, 0, v10, vcc_lo
	s_cselect_b32 vcc_lo, -1, 0
	s_lshl_b64 s[10:11], s[0:1], 4
	v_cndmask_b32_e32 v5, v15, v8, vcc_lo
	v_lshlrev_b64 v[7:8], 2, v[11:12]
	v_cndmask_b32_e32 v2, v16, v9, vcc_lo
	v_add_co_u32 v9, vcc_lo, v13, v6
	v_lshlrev_b64 v[11:12], 2, v[0:1]
	v_add_co_ci_u32_e64 v10, null, 0, v4, vcc_lo
	v_add_co_u32 v4, vcc_lo, v5, v7
	v_add_co_ci_u32_e64 v5, null, v2, v8, vcc_lo
	v_add_co_u32 v8, vcc_lo, s18, v11
	v_lshlrev_b64 v[6:7], 2, v[9:10]
	v_add_co_ci_u32_e64 v9, null, s19, v12, vcc_lo
	s_lshl_b64 s[12:13], s[20:21], 4
	s_inst_prefetch 0x1
	.p2align	6
.LBB21_5:                               ; =>This Inner Loop Header: Depth=1
	global_load_dword v2, v[8:9], off
	global_load_dword v16, v[4:5], off
	v_add_co_u32 v10, vcc_lo, s4, v6
	v_add_co_ci_u32_e64 v11, null, s5, v7, vcc_lo
	v_add_co_u32 v12, vcc_lo, s8, v6
	v_add_co_ci_u32_e64 v13, null, s9, v7, vcc_lo
	;; [unrolled: 2-line block ×5, first 2 shown]
	v_cmp_le_i64_e32 vcc_lo, s[6:7], v[0:1]
	v_add_co_u32 v8, s0, v8, 16
	v_add_co_ci_u32_e64 v9, null, 0, v9, s0
	s_or_b32 s1, vcc_lo, s1
	s_waitcnt vmcnt(1)
	v_subrev_nc_u32_e32 v2, s14, v2
	v_mad_u64_u32 v[14:15], null, v2, s2, v[3:4]
	s_waitcnt vmcnt(0)
	global_store_dword v[12:13], v16, off
	global_store_dword v[10:11], v14, off
	s_andn2_b32 exec_lo, exec_lo, s1
	s_cbranch_execnz .LBB21_5
.LBB21_6:
	s_inst_prefetch 0x2
	s_endpgm
	.section	.rodata,"a",@progbits
	.p2align	6, 0x0
	.amdhsa_kernel _ZN9rocsparseL33bsr2csr_block_per_row_8_32_kernelILj1024ELj16EiliEEv20rocsparse_direction_T3_S2_21rocsparse_index_base_PKT1_PKT2_PKS2_S2_S3_PS4_PS7_PS2_
		.amdhsa_group_segment_fixed_size 0
		.amdhsa_private_segment_fixed_size 0
		.amdhsa_kernarg_size 72
		.amdhsa_user_sgpr_count 6
		.amdhsa_user_sgpr_private_segment_buffer 1
		.amdhsa_user_sgpr_dispatch_ptr 0
		.amdhsa_user_sgpr_queue_ptr 0
		.amdhsa_user_sgpr_kernarg_segment_ptr 1
		.amdhsa_user_sgpr_dispatch_id 0
		.amdhsa_user_sgpr_flat_scratch_init 0
		.amdhsa_user_sgpr_private_segment_size 0
		.amdhsa_wavefront_size32 1
		.amdhsa_uses_dynamic_stack 0
		.amdhsa_system_sgpr_private_segment_wavefront_offset 0
		.amdhsa_system_sgpr_workgroup_id_x 1
		.amdhsa_system_sgpr_workgroup_id_y 0
		.amdhsa_system_sgpr_workgroup_id_z 0
		.amdhsa_system_sgpr_workgroup_info 0
		.amdhsa_system_vgpr_workitem_id 0
		.amdhsa_next_free_vgpr 17
		.amdhsa_next_free_sgpr 22
		.amdhsa_reserve_vcc 1
		.amdhsa_reserve_flat_scratch 0
		.amdhsa_float_round_mode_32 0
		.amdhsa_float_round_mode_16_64 0
		.amdhsa_float_denorm_mode_32 3
		.amdhsa_float_denorm_mode_16_64 3
		.amdhsa_dx10_clamp 1
		.amdhsa_ieee_mode 1
		.amdhsa_fp16_overflow 0
		.amdhsa_workgroup_processor_mode 1
		.amdhsa_memory_ordered 1
		.amdhsa_forward_progress 1
		.amdhsa_shared_vgpr_count 0
		.amdhsa_exception_fp_ieee_invalid_op 0
		.amdhsa_exception_fp_denorm_src 0
		.amdhsa_exception_fp_ieee_div_zero 0
		.amdhsa_exception_fp_ieee_overflow 0
		.amdhsa_exception_fp_ieee_underflow 0
		.amdhsa_exception_fp_ieee_inexact 0
		.amdhsa_exception_int_div_zero 0
	.end_amdhsa_kernel
	.section	.text._ZN9rocsparseL33bsr2csr_block_per_row_8_32_kernelILj1024ELj16EiliEEv20rocsparse_direction_T3_S2_21rocsparse_index_base_PKT1_PKT2_PKS2_S2_S3_PS4_PS7_PS2_,"axG",@progbits,_ZN9rocsparseL33bsr2csr_block_per_row_8_32_kernelILj1024ELj16EiliEEv20rocsparse_direction_T3_S2_21rocsparse_index_base_PKT1_PKT2_PKS2_S2_S3_PS4_PS7_PS2_,comdat
.Lfunc_end21:
	.size	_ZN9rocsparseL33bsr2csr_block_per_row_8_32_kernelILj1024ELj16EiliEEv20rocsparse_direction_T3_S2_21rocsparse_index_base_PKT1_PKT2_PKS2_S2_S3_PS4_PS7_PS2_, .Lfunc_end21-_ZN9rocsparseL33bsr2csr_block_per_row_8_32_kernelILj1024ELj16EiliEEv20rocsparse_direction_T3_S2_21rocsparse_index_base_PKT1_PKT2_PKS2_S2_S3_PS4_PS7_PS2_
                                        ; -- End function
	.set _ZN9rocsparseL33bsr2csr_block_per_row_8_32_kernelILj1024ELj16EiliEEv20rocsparse_direction_T3_S2_21rocsparse_index_base_PKT1_PKT2_PKS2_S2_S3_PS4_PS7_PS2_.num_vgpr, 17
	.set _ZN9rocsparseL33bsr2csr_block_per_row_8_32_kernelILj1024ELj16EiliEEv20rocsparse_direction_T3_S2_21rocsparse_index_base_PKT1_PKT2_PKS2_S2_S3_PS4_PS7_PS2_.num_agpr, 0
	.set _ZN9rocsparseL33bsr2csr_block_per_row_8_32_kernelILj1024ELj16EiliEEv20rocsparse_direction_T3_S2_21rocsparse_index_base_PKT1_PKT2_PKS2_S2_S3_PS4_PS7_PS2_.numbered_sgpr, 22
	.set _ZN9rocsparseL33bsr2csr_block_per_row_8_32_kernelILj1024ELj16EiliEEv20rocsparse_direction_T3_S2_21rocsparse_index_base_PKT1_PKT2_PKS2_S2_S3_PS4_PS7_PS2_.num_named_barrier, 0
	.set _ZN9rocsparseL33bsr2csr_block_per_row_8_32_kernelILj1024ELj16EiliEEv20rocsparse_direction_T3_S2_21rocsparse_index_base_PKT1_PKT2_PKS2_S2_S3_PS4_PS7_PS2_.private_seg_size, 0
	.set _ZN9rocsparseL33bsr2csr_block_per_row_8_32_kernelILj1024ELj16EiliEEv20rocsparse_direction_T3_S2_21rocsparse_index_base_PKT1_PKT2_PKS2_S2_S3_PS4_PS7_PS2_.uses_vcc, 1
	.set _ZN9rocsparseL33bsr2csr_block_per_row_8_32_kernelILj1024ELj16EiliEEv20rocsparse_direction_T3_S2_21rocsparse_index_base_PKT1_PKT2_PKS2_S2_S3_PS4_PS7_PS2_.uses_flat_scratch, 0
	.set _ZN9rocsparseL33bsr2csr_block_per_row_8_32_kernelILj1024ELj16EiliEEv20rocsparse_direction_T3_S2_21rocsparse_index_base_PKT1_PKT2_PKS2_S2_S3_PS4_PS7_PS2_.has_dyn_sized_stack, 0
	.set _ZN9rocsparseL33bsr2csr_block_per_row_8_32_kernelILj1024ELj16EiliEEv20rocsparse_direction_T3_S2_21rocsparse_index_base_PKT1_PKT2_PKS2_S2_S3_PS4_PS7_PS2_.has_recursion, 0
	.set _ZN9rocsparseL33bsr2csr_block_per_row_8_32_kernelILj1024ELj16EiliEEv20rocsparse_direction_T3_S2_21rocsparse_index_base_PKT1_PKT2_PKS2_S2_S3_PS4_PS7_PS2_.has_indirect_call, 0
	.section	.AMDGPU.csdata,"",@progbits
; Kernel info:
; codeLenInByte = 876
; TotalNumSgprs: 24
; NumVgprs: 17
; ScratchSize: 0
; MemoryBound: 0
; FloatMode: 240
; IeeeMode: 1
; LDSByteSize: 0 bytes/workgroup (compile time only)
; SGPRBlocks: 0
; VGPRBlocks: 2
; NumSGPRsForWavesPerEU: 24
; NumVGPRsForWavesPerEU: 17
; Occupancy: 16
; WaveLimiterHint : 0
; COMPUTE_PGM_RSRC2:SCRATCH_EN: 0
; COMPUTE_PGM_RSRC2:USER_SGPR: 6
; COMPUTE_PGM_RSRC2:TRAP_HANDLER: 0
; COMPUTE_PGM_RSRC2:TGID_X_EN: 1
; COMPUTE_PGM_RSRC2:TGID_Y_EN: 0
; COMPUTE_PGM_RSRC2:TGID_Z_EN: 0
; COMPUTE_PGM_RSRC2:TIDIG_COMP_CNT: 0
	.section	.text._ZN9rocsparseL33bsr2csr_block_per_row_8_32_kernelILj1024ELj32EiliEEv20rocsparse_direction_T3_S2_21rocsparse_index_base_PKT1_PKT2_PKS2_S2_S3_PS4_PS7_PS2_,"axG",@progbits,_ZN9rocsparseL33bsr2csr_block_per_row_8_32_kernelILj1024ELj32EiliEEv20rocsparse_direction_T3_S2_21rocsparse_index_base_PKT1_PKT2_PKS2_S2_S3_PS4_PS7_PS2_,comdat
	.globl	_ZN9rocsparseL33bsr2csr_block_per_row_8_32_kernelILj1024ELj32EiliEEv20rocsparse_direction_T3_S2_21rocsparse_index_base_PKT1_PKT2_PKS2_S2_S3_PS4_PS7_PS2_ ; -- Begin function _ZN9rocsparseL33bsr2csr_block_per_row_8_32_kernelILj1024ELj32EiliEEv20rocsparse_direction_T3_S2_21rocsparse_index_base_PKT1_PKT2_PKS2_S2_S3_PS4_PS7_PS2_
	.p2align	8
	.type	_ZN9rocsparseL33bsr2csr_block_per_row_8_32_kernelILj1024ELj32EiliEEv20rocsparse_direction_T3_S2_21rocsparse_index_base_PKT1_PKT2_PKS2_S2_S3_PS4_PS7_PS2_,@function
_ZN9rocsparseL33bsr2csr_block_per_row_8_32_kernelILj1024ELj32EiliEEv20rocsparse_direction_T3_S2_21rocsparse_index_base_PKT1_PKT2_PKS2_S2_S3_PS4_PS7_PS2_: ; @_ZN9rocsparseL33bsr2csr_block_per_row_8_32_kernelILj1024ELj32EiliEEv20rocsparse_direction_T3_S2_21rocsparse_index_base_PKT1_PKT2_PKS2_S2_S3_PS4_PS7_PS2_
; %bb.0:
	s_clause 0x2
	s_load_dwordx2 s[0:1], s[4:5], 0x18
	s_load_dwordx2 s[8:9], s[4:5], 0x28
	;; [unrolled: 1-line block ×3, first 2 shown]
	s_ashr_i32 s7, s6, 31
	v_or_b32_e32 v1, s6, v0
	s_lshl_b64 s[2:3], s[6:7], 3
	s_waitcnt lgkmcnt(0)
	s_add_u32 s0, s0, s2
	s_addc_u32 s1, s1, s3
	s_mov_b32 s2, exec_lo
	v_cmpx_eq_u32_e32 0, v1
	s_cbranch_execz .LBB22_2
; %bb.1:
	v_mov_b32_e32 v1, s9
	v_mov_b32_e32 v2, 0
	global_store_dwordx2 v2, v[1:2], s[14:15]
.LBB22_2:
	s_or_b32 exec_lo, exec_lo, s2
	v_and_b32_e32 v3, 31, v0
	v_lshrrev_b32_e32 v0, 5, v0
	s_mov_b32 s2, exec_lo
	v_max_i32_e32 v1, v0, v3
	v_cmpx_gt_i32_e64 s8, v1
	s_cbranch_execz .LBB22_6
; %bb.3:
	s_load_dwordx4 s[0:3], s[0:1], 0x0
	s_load_dword s10, s[4:5], 0xc
	v_mad_u64_u32 v[4:5], null, s8, s6, v[0:1]
	s_mul_i32 s16, s8, s8
	v_ashrrev_i32_e32 v5, 31, v4
	v_lshlrev_b64 v[4:5], 3, v[4:5]
	v_add_co_u32 v4, vcc_lo, s14, v4
	s_waitcnt lgkmcnt(0)
	s_sub_u32 s6, s0, s10
	s_subb_u32 s7, s1, 0
	s_mul_hi_u32 s11, s6, s16
	s_mul_i32 s17, s7, s16
	s_sub_u32 s12, s2, s10
	s_subb_u32 s13, s3, 0
	s_add_i32 s19, s11, s17
	s_sub_u32 s11, s12, s6
	s_mul_i32 s18, s6, s16
	s_mul_i32 s17, s11, s8
	s_subb_u32 s20, s13, s7
	v_mad_u64_u32 v[1:2], null, s17, v0, s[18:19]
	s_mul_hi_u32 s11, s11, s8
	s_mul_i32 s20, s20, s8
	v_cmp_ge_i64_e64 s2, s[0:1], s[2:3]
	s_add_i32 s11, s11, s20
	s_add_u32 s3, s17, s9
	v_add_co_ci_u32_e64 v5, null, s15, v5, vcc_lo
	v_mad_u64_u32 v[6:7], null, s11, v0, v[2:3]
	s_addc_u32 s11, s11, 0
	v_add_co_u32 v7, vcc_lo, s3, v1
	v_add_co_ci_u32_e64 v8, null, s11, v6, vcc_lo
	s_mov_b32 s11, 0
	s_and_b32 vcc_lo, exec_lo, s2
	global_store_dwordx2 v[4:5], v[7:8], off offset:8
	s_cbranch_vccnz .LBB22_6
; %bb.4:
	s_clause 0x1
	s_load_dwordx2 s[20:21], s[4:5], 0x10
	s_load_dwordx2 s[2:3], s[4:5], 0x40
	v_mul_lo_u32 v4, s8, v3
	v_mov_b32_e32 v5, 0
	v_mov_b32_e32 v2, v6
	s_clause 0x2
	s_load_dwordx2 s[24:25], s[4:5], 0x20
	s_load_dwordx2 s[14:15], s[4:5], 0x30
	s_load_dword s4, s[4:5], 0x0
	v_lshlrev_b32_e32 v8, 2, v3
	s_mov_b32 s17, s11
	s_mov_b32 s22, s8
	;; [unrolled: 1-line block ×3, first 2 shown]
	v_lshlrev_b64 v[6:7], 2, v[4:5]
	v_mul_lo_u32 v4, s8, v0
	v_lshlrev_b32_e32 v0, 2, v0
	v_lshlrev_b64 v[4:5], 2, v[4:5]
	s_waitcnt lgkmcnt(0)
	v_add_co_u32 v6, vcc_lo, s20, v6
	v_add_co_ci_u32_e64 v7, null, s21, v7, vcc_lo
	v_add_co_u32 v4, vcc_lo, s20, v4
	v_add_co_ci_u32_e64 v5, null, s21, v5, vcc_lo
	;; [unrolled: 2-line block ×4, first 2 shown]
	s_cmp_eq_u32 s4, 0
	v_add_nc_u32_e32 v0, s9, v3
	s_cselect_b32 vcc_lo, -1, 0
	s_lshl_b64 s[4:5], s[18:19], 2
	v_cndmask_b32_e32 v6, v6, v4, vcc_lo
	v_cndmask_b32_e32 v5, v7, v5, vcc_lo
	v_add_co_u32 v3, vcc_lo, v1, v3
	v_add_co_ci_u32_e64 v4, null, 0, v2, vcc_lo
	v_add_co_u32 v1, vcc_lo, v6, s4
	v_add_co_ci_u32_e64 v2, null, s5, v5, vcc_lo
	s_lshl_b64 s[4:5], s[16:17], 2
	s_lshl_b64 s[16:17], s[0:1], 2
	s_lshl_b64 s[18:19], s[10:11], 2
	v_lshlrev_b64 v[3:4], 2, v[3:4]
	s_lshl_b64 s[0:1], s[22:23], 2
	s_sub_u32 s9, s16, s18
	s_subb_u32 s11, s17, s19
	s_add_u32 s16, s24, s9
	s_addc_u32 s17, s25, s11
	s_inst_prefetch 0x1
	.p2align	6
.LBB22_5:                               ; =>This Inner Loop Header: Depth=1
	global_load_dword v11, v[1:2], off
	s_load_dword s9, s[16:17], 0x0
	v_add_co_u32 v5, vcc_lo, s2, v3
	v_add_co_ci_u32_e64 v6, null, s3, v4, vcc_lo
	v_add_co_u32 v7, vcc_lo, s14, v3
	v_add_co_ci_u32_e64 v8, null, s15, v4, vcc_lo
	;; [unrolled: 2-line block ×4, first 2 shown]
	s_waitcnt lgkmcnt(0)
	s_sub_i32 s9, s9, s10
	s_add_u32 s6, s6, 1
	s_addc_u32 s7, s7, 0
	v_mad_u64_u32 v[9:10], null, s9, s8, v[0:1]
	v_cmp_lt_i64_e64 s11, s[6:7], s[12:13]
	s_add_u32 s16, s16, 4
	s_addc_u32 s17, s17, 0
	s_and_b32 vcc_lo, exec_lo, s11
	global_store_dword v[5:6], v9, off
	s_waitcnt vmcnt(0)
	global_store_dword v[7:8], v11, off
	s_cbranch_vccnz .LBB22_5
.LBB22_6:
	s_inst_prefetch 0x2
	s_endpgm
	.section	.rodata,"a",@progbits
	.p2align	6, 0x0
	.amdhsa_kernel _ZN9rocsparseL33bsr2csr_block_per_row_8_32_kernelILj1024ELj32EiliEEv20rocsparse_direction_T3_S2_21rocsparse_index_base_PKT1_PKT2_PKS2_S2_S3_PS4_PS7_PS2_
		.amdhsa_group_segment_fixed_size 0
		.amdhsa_private_segment_fixed_size 0
		.amdhsa_kernarg_size 72
		.amdhsa_user_sgpr_count 6
		.amdhsa_user_sgpr_private_segment_buffer 1
		.amdhsa_user_sgpr_dispatch_ptr 0
		.amdhsa_user_sgpr_queue_ptr 0
		.amdhsa_user_sgpr_kernarg_segment_ptr 1
		.amdhsa_user_sgpr_dispatch_id 0
		.amdhsa_user_sgpr_flat_scratch_init 0
		.amdhsa_user_sgpr_private_segment_size 0
		.amdhsa_wavefront_size32 1
		.amdhsa_uses_dynamic_stack 0
		.amdhsa_system_sgpr_private_segment_wavefront_offset 0
		.amdhsa_system_sgpr_workgroup_id_x 1
		.amdhsa_system_sgpr_workgroup_id_y 0
		.amdhsa_system_sgpr_workgroup_id_z 0
		.amdhsa_system_sgpr_workgroup_info 0
		.amdhsa_system_vgpr_workitem_id 0
		.amdhsa_next_free_vgpr 12
		.amdhsa_next_free_sgpr 26
		.amdhsa_reserve_vcc 1
		.amdhsa_reserve_flat_scratch 0
		.amdhsa_float_round_mode_32 0
		.amdhsa_float_round_mode_16_64 0
		.amdhsa_float_denorm_mode_32 3
		.amdhsa_float_denorm_mode_16_64 3
		.amdhsa_dx10_clamp 1
		.amdhsa_ieee_mode 1
		.amdhsa_fp16_overflow 0
		.amdhsa_workgroup_processor_mode 1
		.amdhsa_memory_ordered 1
		.amdhsa_forward_progress 1
		.amdhsa_shared_vgpr_count 0
		.amdhsa_exception_fp_ieee_invalid_op 0
		.amdhsa_exception_fp_denorm_src 0
		.amdhsa_exception_fp_ieee_div_zero 0
		.amdhsa_exception_fp_ieee_overflow 0
		.amdhsa_exception_fp_ieee_underflow 0
		.amdhsa_exception_fp_ieee_inexact 0
		.amdhsa_exception_int_div_zero 0
	.end_amdhsa_kernel
	.section	.text._ZN9rocsparseL33bsr2csr_block_per_row_8_32_kernelILj1024ELj32EiliEEv20rocsparse_direction_T3_S2_21rocsparse_index_base_PKT1_PKT2_PKS2_S2_S3_PS4_PS7_PS2_,"axG",@progbits,_ZN9rocsparseL33bsr2csr_block_per_row_8_32_kernelILj1024ELj32EiliEEv20rocsparse_direction_T3_S2_21rocsparse_index_base_PKT1_PKT2_PKS2_S2_S3_PS4_PS7_PS2_,comdat
.Lfunc_end22:
	.size	_ZN9rocsparseL33bsr2csr_block_per_row_8_32_kernelILj1024ELj32EiliEEv20rocsparse_direction_T3_S2_21rocsparse_index_base_PKT1_PKT2_PKS2_S2_S3_PS4_PS7_PS2_, .Lfunc_end22-_ZN9rocsparseL33bsr2csr_block_per_row_8_32_kernelILj1024ELj32EiliEEv20rocsparse_direction_T3_S2_21rocsparse_index_base_PKT1_PKT2_PKS2_S2_S3_PS4_PS7_PS2_
                                        ; -- End function
	.set _ZN9rocsparseL33bsr2csr_block_per_row_8_32_kernelILj1024ELj32EiliEEv20rocsparse_direction_T3_S2_21rocsparse_index_base_PKT1_PKT2_PKS2_S2_S3_PS4_PS7_PS2_.num_vgpr, 12
	.set _ZN9rocsparseL33bsr2csr_block_per_row_8_32_kernelILj1024ELj32EiliEEv20rocsparse_direction_T3_S2_21rocsparse_index_base_PKT1_PKT2_PKS2_S2_S3_PS4_PS7_PS2_.num_agpr, 0
	.set _ZN9rocsparseL33bsr2csr_block_per_row_8_32_kernelILj1024ELj32EiliEEv20rocsparse_direction_T3_S2_21rocsparse_index_base_PKT1_PKT2_PKS2_S2_S3_PS4_PS7_PS2_.numbered_sgpr, 26
	.set _ZN9rocsparseL33bsr2csr_block_per_row_8_32_kernelILj1024ELj32EiliEEv20rocsparse_direction_T3_S2_21rocsparse_index_base_PKT1_PKT2_PKS2_S2_S3_PS4_PS7_PS2_.num_named_barrier, 0
	.set _ZN9rocsparseL33bsr2csr_block_per_row_8_32_kernelILj1024ELj32EiliEEv20rocsparse_direction_T3_S2_21rocsparse_index_base_PKT1_PKT2_PKS2_S2_S3_PS4_PS7_PS2_.private_seg_size, 0
	.set _ZN9rocsparseL33bsr2csr_block_per_row_8_32_kernelILj1024ELj32EiliEEv20rocsparse_direction_T3_S2_21rocsparse_index_base_PKT1_PKT2_PKS2_S2_S3_PS4_PS7_PS2_.uses_vcc, 1
	.set _ZN9rocsparseL33bsr2csr_block_per_row_8_32_kernelILj1024ELj32EiliEEv20rocsparse_direction_T3_S2_21rocsparse_index_base_PKT1_PKT2_PKS2_S2_S3_PS4_PS7_PS2_.uses_flat_scratch, 0
	.set _ZN9rocsparseL33bsr2csr_block_per_row_8_32_kernelILj1024ELj32EiliEEv20rocsparse_direction_T3_S2_21rocsparse_index_base_PKT1_PKT2_PKS2_S2_S3_PS4_PS7_PS2_.has_dyn_sized_stack, 0
	.set _ZN9rocsparseL33bsr2csr_block_per_row_8_32_kernelILj1024ELj32EiliEEv20rocsparse_direction_T3_S2_21rocsparse_index_base_PKT1_PKT2_PKS2_S2_S3_PS4_PS7_PS2_.has_recursion, 0
	.set _ZN9rocsparseL33bsr2csr_block_per_row_8_32_kernelILj1024ELj32EiliEEv20rocsparse_direction_T3_S2_21rocsparse_index_base_PKT1_PKT2_PKS2_S2_S3_PS4_PS7_PS2_.has_indirect_call, 0
	.section	.AMDGPU.csdata,"",@progbits
; Kernel info:
; codeLenInByte = 732
; TotalNumSgprs: 28
; NumVgprs: 12
; ScratchSize: 0
; MemoryBound: 0
; FloatMode: 240
; IeeeMode: 1
; LDSByteSize: 0 bytes/workgroup (compile time only)
; SGPRBlocks: 0
; VGPRBlocks: 1
; NumSGPRsForWavesPerEU: 28
; NumVGPRsForWavesPerEU: 12
; Occupancy: 16
; WaveLimiterHint : 0
; COMPUTE_PGM_RSRC2:SCRATCH_EN: 0
; COMPUTE_PGM_RSRC2:USER_SGPR: 6
; COMPUTE_PGM_RSRC2:TRAP_HANDLER: 0
; COMPUTE_PGM_RSRC2:TGID_X_EN: 1
; COMPUTE_PGM_RSRC2:TGID_Y_EN: 0
; COMPUTE_PGM_RSRC2:TGID_Z_EN: 0
; COMPUTE_PGM_RSRC2:TIDIG_COMP_CNT: 0
	.section	.text._ZN9rocsparseL35bsr2csr_block_per_row_33_256_kernelILj1024ELj64ELj32EiliEEv20rocsparse_direction_T4_S2_21rocsparse_index_base_PKT2_PKT3_PKS2_S2_S3_PS4_PS7_PS2_,"axG",@progbits,_ZN9rocsparseL35bsr2csr_block_per_row_33_256_kernelILj1024ELj64ELj32EiliEEv20rocsparse_direction_T4_S2_21rocsparse_index_base_PKT2_PKT3_PKS2_S2_S3_PS4_PS7_PS2_,comdat
	.globl	_ZN9rocsparseL35bsr2csr_block_per_row_33_256_kernelILj1024ELj64ELj32EiliEEv20rocsparse_direction_T4_S2_21rocsparse_index_base_PKT2_PKT3_PKS2_S2_S3_PS4_PS7_PS2_ ; -- Begin function _ZN9rocsparseL35bsr2csr_block_per_row_33_256_kernelILj1024ELj64ELj32EiliEEv20rocsparse_direction_T4_S2_21rocsparse_index_base_PKT2_PKT3_PKS2_S2_S3_PS4_PS7_PS2_
	.p2align	8
	.type	_ZN9rocsparseL35bsr2csr_block_per_row_33_256_kernelILj1024ELj64ELj32EiliEEv20rocsparse_direction_T4_S2_21rocsparse_index_base_PKT2_PKT3_PKS2_S2_S3_PS4_PS7_PS2_,@function
_ZN9rocsparseL35bsr2csr_block_per_row_33_256_kernelILj1024ELj64ELj32EiliEEv20rocsparse_direction_T4_S2_21rocsparse_index_base_PKT2_PKT3_PKS2_S2_S3_PS4_PS7_PS2_: ; @_ZN9rocsparseL35bsr2csr_block_per_row_33_256_kernelILj1024ELj64ELj32EiliEEv20rocsparse_direction_T4_S2_21rocsparse_index_base_PKT2_PKT3_PKS2_S2_S3_PS4_PS7_PS2_
; %bb.0:
	s_load_dwordx2 s[0:1], s[4:5], 0x18
	s_ashr_i32 s7, s6, 31
	s_clause 0x1
	s_load_dwordx2 s[12:13], s[4:5], 0x28
	s_load_dwordx2 s[24:25], s[4:5], 0x38
	s_lshl_b64 s[2:3], s[6:7], 3
	v_or_b32_e32 v1, s6, v0
	s_mov_b32 s15, 0
	s_waitcnt lgkmcnt(0)
	s_add_u32 s0, s0, s2
	s_addc_u32 s1, s1, s3
	s_load_dwordx4 s[8:11], s[0:1], 0x0
	s_mov_b32 s0, exec_lo
	v_cmpx_eq_u32_e32 0, v1
	s_cbranch_execz .LBB23_2
; %bb.1:
	s_mov_b32 s14, s13
	v_mov_b32_e32 v3, 0
	v_mov_b32_e32 v1, s14
	;; [unrolled: 1-line block ×3, first 2 shown]
	global_store_dwordx2 v3, v[1:2], s[24:25]
.LBB23_2:
	s_or_b32 exec_lo, exec_lo, s0
	s_load_dword s14, s[4:5], 0xc
	s_mul_i32 s20, s12, s12
	v_lshrrev_b32_e32 v6, 5, v0
	v_cmp_gt_i32_e64 s1, s12, v6
	s_waitcnt lgkmcnt(0)
	s_sub_u32 s16, s8, s14
	s_subb_u32 s17, s9, 0
	s_mul_hi_u32 s0, s16, s20
	s_mul_i32 s2, s17, s20
	s_sub_u32 s18, s10, s14
	s_subb_u32 s19, s11, 0
	s_add_i32 s23, s0, s2
	s_sub_u32 s30, s18, s16
	s_subb_u32 s29, s19, s17
	s_mul_hi_u32 s0, s30, s12
	s_mul_i32 s2, s29, s12
	s_mul_i32 s22, s16, s20
	s_add_i32 s0, s0, s2
	s_mul_i32 s7, s30, s12
	s_add_u32 s2, s22, s13
	s_addc_u32 s3, s23, 0
	s_add_u32 s26, s2, s7
	s_addc_u32 s27, s3, s0
	s_mul_i32 s3, s12, s6
	s_and_saveexec_b32 s2, s1
	s_cbranch_execz .LBB23_4
; %bb.3:
	v_add_nc_u32_e32 v3, s3, v6
	v_mad_u64_u32 v[1:2], null, s7, v6, s[26:27]
	v_ashrrev_i32_e32 v4, 31, v3
	v_mad_u64_u32 v[7:8], null, s0, v6, v[2:3]
	v_lshlrev_b64 v[3:4], 3, v[3:4]
	v_add_co_u32 v3, vcc_lo, s24, v3
	v_mov_b32_e32 v2, v7
	v_add_co_ci_u32_e64 v4, null, s25, v4, vcc_lo
	global_store_dwordx2 v[3:4], v[1:2], off offset:8
.LBB23_4:
	s_or_b32 exec_lo, exec_lo, s2
	v_or_b32_e32 v8, 32, v6
	v_cmp_gt_i32_e64 s2, s12, v8
	s_and_saveexec_b32 s6, s2
	s_cbranch_execz .LBB23_6
; %bb.5:
	v_mad_u64_u32 v[1:2], null, s7, v8, s[26:27]
	s_ashr_i32 s7, s3, 31
	v_add_co_u32 v3, s3, v6, s3
	v_add_co_ci_u32_e64 v4, null, 0, s7, s3
	v_mad_u64_u32 v[9:10], null, s0, v8, v[2:3]
	v_lshlrev_b64 v[3:4], 3, v[3:4]
	v_add_co_u32 v3, vcc_lo, s24, v3
	v_mov_b32_e32 v2, v9
	v_add_co_ci_u32_e64 v4, null, s25, v4, vcc_lo
	global_store_dwordx2 v[3:4], v[1:2], off offset:264
.LBB23_6:
	s_or_b32 exec_lo, exec_lo, s6
	v_cmp_lt_i64_e64 s0, s[8:9], s[10:11]
	s_and_b32 vcc_lo, exec_lo, s0
	s_cbranch_vccz .LBB23_17
; %bb.7:
	s_clause 0x4
	s_load_dwordx2 s[6:7], s[4:5], 0x20
	s_load_dwordx2 s[10:11], s[4:5], 0x30
	s_load_dword s0, s[4:5], 0x0
	s_load_dwordx2 s[34:35], s[4:5], 0x10
	s_load_dwordx2 s[4:5], s[4:5], 0x40
	v_mad_u64_u32 v[13:14], null, v6, s30, 0
	s_mov_b32 s24, s12
	v_mul_lo_u32 v2, v6, s12
	v_and_b32_e32 v0, 31, v0
	v_mov_b32_e32 v3, 0
	v_lshlrev_b32_e32 v20, 2, v6
	s_mov_b32 s21, s15
	v_mad_u64_u32 v[15:16], null, v13, s24, 0
	v_mov_b32_e32 v7, v14
	v_mul_lo_u32 v9, v0, s12
	v_mov_b32_e32 v5, v3
	v_mov_b32_e32 v10, v3
	;; [unrolled: 1-line block ×3, first 2 shown]
	v_mad_u64_u32 v[13:14], null, v6, s29, v[7:8]
	s_waitcnt lgkmcnt(0)
	s_cmp_eq_u32 s0, 0
	v_mov_b32_e32 v7, v16
	s_cselect_b32 s0, -1, 0
	s_lshl_b32 s27, s12, 5
	v_mad_u64_u32 v[16:17], null, s30, v8, 0
	v_add_nc_u32_e32 v4, s27, v2
	v_mad_u64_u32 v[13:14], null, v13, s24, v[7:8]
	v_lshlrev_b64 v[2:3], 2, v[2:3]
	v_cmp_gt_i32_e32 vcc_lo, s12, v0
	v_lshlrev_b32_e32 v19, 2, v0
	v_lshlrev_b64 v[4:5], 2, v[4:5]
	v_add_nc_u32_e32 v11, s27, v9
	v_lshlrev_b64 v[9:10], 2, v[9:10]
	v_mov_b32_e32 v14, v17
	v_mad_u64_u32 v[17:18], null, v16, s24, 0
	s_and_b32 s26, s1, vcc_lo
	s_and_b32 s27, s2, vcc_lo
	v_add_co_u32 v2, vcc_lo, v2, v19
	v_mov_b32_e32 v16, v13
	v_add_co_ci_u32_e64 v3, null, 0, v3, vcc_lo
	v_add_co_u32 v4, vcc_lo, v4, v19
	v_add_co_ci_u32_e64 v5, null, 0, v5, vcc_lo
	v_add_co_u32 v6, vcc_lo, v20, v9
	v_mad_u64_u32 v[8:9], null, s29, v8, v[14:15]
	v_add_co_ci_u32_e64 v7, null, 0, v10, vcc_lo
	v_lshlrev_b64 v[9:10], 2, v[11:12]
	v_lshlrev_b64 v[12:13], 2, v[15:16]
	v_mov_b32_e32 v11, v18
	v_or_b32_e32 v1, 32, v0
	s_lshl_b64 s[36:37], s[22:23], 2
	s_mov_b32 s25, s15
	v_mad_u64_u32 v[14:15], null, v8, s24, v[11:12]
	v_add_co_u32 v8, vcc_lo, v20, v9
	v_add_co_ci_u32_e64 v9, null, 0, v10, vcc_lo
	v_add_co_u32 v20, vcc_lo, 0x80, v12
	v_mov_b32_e32 v18, v14
	v_add_co_ci_u32_e64 v21, null, 0, v13, vcc_lo
	v_cmp_gt_i32_e64 s3, s12, v1
	v_add_co_u32 v10, vcc_lo, s4, v20
	v_lshlrev_b64 v[16:17], 2, v[17:18]
	v_add_co_ci_u32_e64 v11, null, s5, v21, vcc_lo
	s_and_b32 s1, s1, s3
	s_and_b32 s28, s2, s3
	s_add_u32 s22, s34, s36
	v_add_co_u32 v14, vcc_lo, s10, v16
	v_add_co_ci_u32_e64 v15, null, s11, v17, vcc_lo
	v_add_co_u32 v16, vcc_lo, s4, v16
	s_addc_u32 s23, s35, s37
	s_lshl_b64 s[2:3], s[20:21], 2
	s_lshl_b64 s[8:9], s[8:9], 2
	;; [unrolled: 1-line block ×3, first 2 shown]
	v_add_co_u32 v12, s15, s36, v19
	v_add_co_ci_u32_e64 v17, null, s5, v17, vcc_lo
	v_add_co_u32 v18, vcc_lo, s10, v20
	s_sub_u32 s8, s8, s20
	v_add_co_ci_u32_e64 v13, null, s37, 0, s15
	v_add_co_ci_u32_e64 v19, null, s11, v21, vcc_lo
	s_subb_u32 s9, s9, s21
	s_add_u32 s4, s6, s8
	s_addc_u32 s5, s7, s9
	s_lshl_b64 s[6:7], s[24:25], 2
	s_branch .LBB23_9
.LBB23_8:                               ;   in Loop: Header=BB23_9 Depth=1
	s_or_b32 exec_lo, exec_lo, s8
	s_add_u32 s16, s16, 1
	s_addc_u32 s17, s17, 0
	v_add_co_u32 v12, vcc_lo, v12, s6
	v_cmp_ge_i64_e64 s8, s[16:17], s[18:19]
	s_add_u32 s22, s22, s2
	v_add_co_ci_u32_e64 v13, null, s7, v13, vcc_lo
	s_addc_u32 s23, s23, s3
	s_add_u32 s4, s4, 4
	s_addc_u32 s5, s5, 0
	s_and_b32 vcc_lo, exec_lo, s8
	s_cbranch_vccnz .LBB23_17
.LBB23_9:                               ; =>This Inner Loop Header: Depth=1
	s_load_dword s8, s[4:5], 0x0
	s_waitcnt lgkmcnt(0)
	s_sub_i32 s8, s8, s14
	s_mul_i32 s8, s8, s12
	s_add_i32 s8, s8, s13
	v_add_nc_u32_e32 v20, s8, v0
	s_and_saveexec_b32 s9, s26
	s_cbranch_execnz .LBB23_13
; %bb.10:                               ;   in Loop: Header=BB23_9 Depth=1
	s_or_b32 exec_lo, exec_lo, s9
	v_add_nc_u32_e32 v21, s8, v1
	s_and_saveexec_b32 s8, s1
	s_cbranch_execnz .LBB23_14
.LBB23_11:                              ;   in Loop: Header=BB23_9 Depth=1
	s_or_b32 exec_lo, exec_lo, s8
	s_and_saveexec_b32 s8, s27
	s_cbranch_execnz .LBB23_15
.LBB23_12:                              ;   in Loop: Header=BB23_9 Depth=1
	s_or_b32 exec_lo, exec_lo, s8
	s_and_saveexec_b32 s8, s28
	s_cbranch_execz .LBB23_8
	s_branch .LBB23_16
.LBB23_13:                              ;   in Loop: Header=BB23_9 Depth=1
	v_add_co_u32 v21, vcc_lo, s22, v2
	v_add_co_ci_u32_e64 v22, null, s23, v3, vcc_lo
	v_add_co_u32 v23, vcc_lo, s22, v6
	v_add_co_ci_u32_e64 v24, null, s23, v7, vcc_lo
	v_cndmask_b32_e64 v21, v23, v21, s0
	v_cndmask_b32_e64 v22, v24, v22, s0
	global_load_dword v25, v[21:22], off
	v_add_co_u32 v21, vcc_lo, v10, v12
	v_add_co_ci_u32_e64 v22, null, v11, v13, vcc_lo
	v_add_co_u32 v23, vcc_lo, v18, v12
	v_add_co_ci_u32_e64 v24, null, v19, v13, vcc_lo
	global_store_dword v[21:22], v20, off offset:-128
	s_waitcnt vmcnt(0)
	global_store_dword v[23:24], v25, off offset:-128
	s_or_b32 exec_lo, exec_lo, s9
	v_add_nc_u32_e32 v21, s8, v1
	s_and_saveexec_b32 s8, s1
	s_cbranch_execz .LBB23_11
.LBB23_14:                              ;   in Loop: Header=BB23_9 Depth=1
	v_add_co_u32 v22, vcc_lo, s22, v2
	v_add_co_ci_u32_e64 v23, null, s23, v3, vcc_lo
	v_add_co_u32 v22, vcc_lo, 0x80, v22
	v_add_co_ci_u32_e64 v23, null, 0, v23, vcc_lo
	;; [unrolled: 2-line block ×3, first 2 shown]
	v_cndmask_b32_e64 v22, v24, v22, s0
	v_cndmask_b32_e64 v23, v25, v23, s0
	global_load_dword v26, v[22:23], off
	v_add_co_u32 v22, vcc_lo, v10, v12
	v_add_co_ci_u32_e64 v23, null, v11, v13, vcc_lo
	v_add_co_u32 v24, vcc_lo, v18, v12
	v_add_co_ci_u32_e64 v25, null, v19, v13, vcc_lo
	global_store_dword v[22:23], v21, off
	s_waitcnt vmcnt(0)
	global_store_dword v[24:25], v26, off
	s_or_b32 exec_lo, exec_lo, s8
	s_and_saveexec_b32 s8, s27
	s_cbranch_execz .LBB23_12
.LBB23_15:                              ;   in Loop: Header=BB23_9 Depth=1
	v_add_co_u32 v22, vcc_lo, s22, v6
	v_add_co_ci_u32_e64 v23, null, s23, v7, vcc_lo
	v_add_co_u32 v24, vcc_lo, s22, v4
	v_add_co_ci_u32_e64 v25, null, s23, v5, vcc_lo
	;; [unrolled: 2-line block ×3, first 2 shown]
	v_cndmask_b32_e64 v22, v22, v24, s0
	v_cndmask_b32_e64 v23, v23, v25, s0
	global_load_dword v26, v[22:23], off
	v_add_co_u32 v22, vcc_lo, v16, v12
	v_add_co_ci_u32_e64 v23, null, v17, v13, vcc_lo
	v_add_co_u32 v24, vcc_lo, v14, v12
	v_add_co_ci_u32_e64 v25, null, v15, v13, vcc_lo
	global_store_dword v[22:23], v20, off
	s_waitcnt vmcnt(0)
	global_store_dword v[24:25], v26, off
	s_or_b32 exec_lo, exec_lo, s8
	s_and_saveexec_b32 s8, s28
	s_cbranch_execz .LBB23_8
.LBB23_16:                              ;   in Loop: Header=BB23_9 Depth=1
	v_add_co_u32 v20, vcc_lo, s22, v4
	v_add_co_ci_u32_e64 v22, null, s23, v5, vcc_lo
	v_add_co_u32 v24, vcc_lo, s22, v8
	v_add_co_ci_u32_e64 v23, null, s23, v9, vcc_lo
	v_cndmask_b32_e64 v23, v23, v22, s0
	v_cndmask_b32_e64 v22, v24, v20, s0
	global_load_dword v20, v[22:23], off offset:128
	v_add_co_u32 v22, vcc_lo, v16, v12
	v_add_co_ci_u32_e64 v23, null, v17, v13, vcc_lo
	v_add_co_u32 v24, vcc_lo, v14, v12
	v_add_co_ci_u32_e64 v25, null, v15, v13, vcc_lo
	global_store_dword v[22:23], v21, off offset:128
	s_waitcnt vmcnt(0)
	global_store_dword v[24:25], v20, off offset:128
	s_branch .LBB23_8
.LBB23_17:
	s_endpgm
	.section	.rodata,"a",@progbits
	.p2align	6, 0x0
	.amdhsa_kernel _ZN9rocsparseL35bsr2csr_block_per_row_33_256_kernelILj1024ELj64ELj32EiliEEv20rocsparse_direction_T4_S2_21rocsparse_index_base_PKT2_PKT3_PKS2_S2_S3_PS4_PS7_PS2_
		.amdhsa_group_segment_fixed_size 0
		.amdhsa_private_segment_fixed_size 0
		.amdhsa_kernarg_size 72
		.amdhsa_user_sgpr_count 6
		.amdhsa_user_sgpr_private_segment_buffer 1
		.amdhsa_user_sgpr_dispatch_ptr 0
		.amdhsa_user_sgpr_queue_ptr 0
		.amdhsa_user_sgpr_kernarg_segment_ptr 1
		.amdhsa_user_sgpr_dispatch_id 0
		.amdhsa_user_sgpr_flat_scratch_init 0
		.amdhsa_user_sgpr_private_segment_size 0
		.amdhsa_wavefront_size32 1
		.amdhsa_uses_dynamic_stack 0
		.amdhsa_system_sgpr_private_segment_wavefront_offset 0
		.amdhsa_system_sgpr_workgroup_id_x 1
		.amdhsa_system_sgpr_workgroup_id_y 0
		.amdhsa_system_sgpr_workgroup_id_z 0
		.amdhsa_system_sgpr_workgroup_info 0
		.amdhsa_system_vgpr_workitem_id 0
		.amdhsa_next_free_vgpr 27
		.amdhsa_next_free_sgpr 38
		.amdhsa_reserve_vcc 1
		.amdhsa_reserve_flat_scratch 0
		.amdhsa_float_round_mode_32 0
		.amdhsa_float_round_mode_16_64 0
		.amdhsa_float_denorm_mode_32 3
		.amdhsa_float_denorm_mode_16_64 3
		.amdhsa_dx10_clamp 1
		.amdhsa_ieee_mode 1
		.amdhsa_fp16_overflow 0
		.amdhsa_workgroup_processor_mode 1
		.amdhsa_memory_ordered 1
		.amdhsa_forward_progress 1
		.amdhsa_shared_vgpr_count 0
		.amdhsa_exception_fp_ieee_invalid_op 0
		.amdhsa_exception_fp_denorm_src 0
		.amdhsa_exception_fp_ieee_div_zero 0
		.amdhsa_exception_fp_ieee_overflow 0
		.amdhsa_exception_fp_ieee_underflow 0
		.amdhsa_exception_fp_ieee_inexact 0
		.amdhsa_exception_int_div_zero 0
	.end_amdhsa_kernel
	.section	.text._ZN9rocsparseL35bsr2csr_block_per_row_33_256_kernelILj1024ELj64ELj32EiliEEv20rocsparse_direction_T4_S2_21rocsparse_index_base_PKT2_PKT3_PKS2_S2_S3_PS4_PS7_PS2_,"axG",@progbits,_ZN9rocsparseL35bsr2csr_block_per_row_33_256_kernelILj1024ELj64ELj32EiliEEv20rocsparse_direction_T4_S2_21rocsparse_index_base_PKT2_PKT3_PKS2_S2_S3_PS4_PS7_PS2_,comdat
.Lfunc_end23:
	.size	_ZN9rocsparseL35bsr2csr_block_per_row_33_256_kernelILj1024ELj64ELj32EiliEEv20rocsparse_direction_T4_S2_21rocsparse_index_base_PKT2_PKT3_PKS2_S2_S3_PS4_PS7_PS2_, .Lfunc_end23-_ZN9rocsparseL35bsr2csr_block_per_row_33_256_kernelILj1024ELj64ELj32EiliEEv20rocsparse_direction_T4_S2_21rocsparse_index_base_PKT2_PKT3_PKS2_S2_S3_PS4_PS7_PS2_
                                        ; -- End function
	.set _ZN9rocsparseL35bsr2csr_block_per_row_33_256_kernelILj1024ELj64ELj32EiliEEv20rocsparse_direction_T4_S2_21rocsparse_index_base_PKT2_PKT3_PKS2_S2_S3_PS4_PS7_PS2_.num_vgpr, 27
	.set _ZN9rocsparseL35bsr2csr_block_per_row_33_256_kernelILj1024ELj64ELj32EiliEEv20rocsparse_direction_T4_S2_21rocsparse_index_base_PKT2_PKT3_PKS2_S2_S3_PS4_PS7_PS2_.num_agpr, 0
	.set _ZN9rocsparseL35bsr2csr_block_per_row_33_256_kernelILj1024ELj64ELj32EiliEEv20rocsparse_direction_T4_S2_21rocsparse_index_base_PKT2_PKT3_PKS2_S2_S3_PS4_PS7_PS2_.numbered_sgpr, 38
	.set _ZN9rocsparseL35bsr2csr_block_per_row_33_256_kernelILj1024ELj64ELj32EiliEEv20rocsparse_direction_T4_S2_21rocsparse_index_base_PKT2_PKT3_PKS2_S2_S3_PS4_PS7_PS2_.num_named_barrier, 0
	.set _ZN9rocsparseL35bsr2csr_block_per_row_33_256_kernelILj1024ELj64ELj32EiliEEv20rocsparse_direction_T4_S2_21rocsparse_index_base_PKT2_PKT3_PKS2_S2_S3_PS4_PS7_PS2_.private_seg_size, 0
	.set _ZN9rocsparseL35bsr2csr_block_per_row_33_256_kernelILj1024ELj64ELj32EiliEEv20rocsparse_direction_T4_S2_21rocsparse_index_base_PKT2_PKT3_PKS2_S2_S3_PS4_PS7_PS2_.uses_vcc, 1
	.set _ZN9rocsparseL35bsr2csr_block_per_row_33_256_kernelILj1024ELj64ELj32EiliEEv20rocsparse_direction_T4_S2_21rocsparse_index_base_PKT2_PKT3_PKS2_S2_S3_PS4_PS7_PS2_.uses_flat_scratch, 0
	.set _ZN9rocsparseL35bsr2csr_block_per_row_33_256_kernelILj1024ELj64ELj32EiliEEv20rocsparse_direction_T4_S2_21rocsparse_index_base_PKT2_PKT3_PKS2_S2_S3_PS4_PS7_PS2_.has_dyn_sized_stack, 0
	.set _ZN9rocsparseL35bsr2csr_block_per_row_33_256_kernelILj1024ELj64ELj32EiliEEv20rocsparse_direction_T4_S2_21rocsparse_index_base_PKT2_PKT3_PKS2_S2_S3_PS4_PS7_PS2_.has_recursion, 0
	.set _ZN9rocsparseL35bsr2csr_block_per_row_33_256_kernelILj1024ELj64ELj32EiliEEv20rocsparse_direction_T4_S2_21rocsparse_index_base_PKT2_PKT3_PKS2_S2_S3_PS4_PS7_PS2_.has_indirect_call, 0
	.section	.AMDGPU.csdata,"",@progbits
; Kernel info:
; codeLenInByte = 1556
; TotalNumSgprs: 40
; NumVgprs: 27
; ScratchSize: 0
; MemoryBound: 0
; FloatMode: 240
; IeeeMode: 1
; LDSByteSize: 0 bytes/workgroup (compile time only)
; SGPRBlocks: 0
; VGPRBlocks: 3
; NumSGPRsForWavesPerEU: 40
; NumVGPRsForWavesPerEU: 27
; Occupancy: 16
; WaveLimiterHint : 1
; COMPUTE_PGM_RSRC2:SCRATCH_EN: 0
; COMPUTE_PGM_RSRC2:USER_SGPR: 6
; COMPUTE_PGM_RSRC2:TRAP_HANDLER: 0
; COMPUTE_PGM_RSRC2:TGID_X_EN: 1
; COMPUTE_PGM_RSRC2:TGID_Y_EN: 0
; COMPUTE_PGM_RSRC2:TGID_Z_EN: 0
; COMPUTE_PGM_RSRC2:TIDIG_COMP_CNT: 0
	.section	.text._ZN9rocsparseL35bsr2csr_block_per_row_33_256_kernelILj1024ELj128ELj32EiliEEv20rocsparse_direction_T4_S2_21rocsparse_index_base_PKT2_PKT3_PKS2_S2_S3_PS4_PS7_PS2_,"axG",@progbits,_ZN9rocsparseL35bsr2csr_block_per_row_33_256_kernelILj1024ELj128ELj32EiliEEv20rocsparse_direction_T4_S2_21rocsparse_index_base_PKT2_PKT3_PKS2_S2_S3_PS4_PS7_PS2_,comdat
	.globl	_ZN9rocsparseL35bsr2csr_block_per_row_33_256_kernelILj1024ELj128ELj32EiliEEv20rocsparse_direction_T4_S2_21rocsparse_index_base_PKT2_PKT3_PKS2_S2_S3_PS4_PS7_PS2_ ; -- Begin function _ZN9rocsparseL35bsr2csr_block_per_row_33_256_kernelILj1024ELj128ELj32EiliEEv20rocsparse_direction_T4_S2_21rocsparse_index_base_PKT2_PKT3_PKS2_S2_S3_PS4_PS7_PS2_
	.p2align	8
	.type	_ZN9rocsparseL35bsr2csr_block_per_row_33_256_kernelILj1024ELj128ELj32EiliEEv20rocsparse_direction_T4_S2_21rocsparse_index_base_PKT2_PKT3_PKS2_S2_S3_PS4_PS7_PS2_,@function
_ZN9rocsparseL35bsr2csr_block_per_row_33_256_kernelILj1024ELj128ELj32EiliEEv20rocsparse_direction_T4_S2_21rocsparse_index_base_PKT2_PKT3_PKS2_S2_S3_PS4_PS7_PS2_: ; @_ZN9rocsparseL35bsr2csr_block_per_row_33_256_kernelILj1024ELj128ELj32EiliEEv20rocsparse_direction_T4_S2_21rocsparse_index_base_PKT2_PKT3_PKS2_S2_S3_PS4_PS7_PS2_
; %bb.0:
	s_load_dwordx2 s[0:1], s[4:5], 0x18
	s_ashr_i32 s7, s6, 31
	s_clause 0x1
	s_load_dwordx2 s[12:13], s[4:5], 0x28
	s_load_dwordx2 s[24:25], s[4:5], 0x38
	s_lshl_b64 s[2:3], s[6:7], 3
	v_or_b32_e32 v1, s6, v0
	s_mov_b32 s15, 0
	s_waitcnt lgkmcnt(0)
	s_add_u32 s0, s0, s2
	s_addc_u32 s1, s1, s3
	s_load_dwordx4 s[8:11], s[0:1], 0x0
	s_mov_b32 s0, exec_lo
	v_cmpx_eq_u32_e32 0, v1
	s_cbranch_execz .LBB24_2
; %bb.1:
	s_mov_b32 s14, s13
	v_mov_b32_e32 v3, 0
	v_mov_b32_e32 v1, s14
	;; [unrolled: 1-line block ×3, first 2 shown]
	global_store_dwordx2 v3, v[1:2], s[24:25]
.LBB24_2:
	s_or_b32 exec_lo, exec_lo, s0
	s_load_dword s14, s[4:5], 0xc
	s_mul_i32 s22, s12, s12
	v_lshrrev_b32_e32 v18, 5, v0
	s_mul_i32 s7, s12, s6
	v_cmp_gt_i32_e64 s1, s12, v18
	s_waitcnt lgkmcnt(0)
	s_sub_u32 s16, s8, s14
	s_subb_u32 s17, s9, 0
	s_mul_hi_u32 s0, s16, s22
	s_mul_i32 s2, s17, s22
	s_sub_u32 s18, s10, s14
	s_subb_u32 s19, s11, 0
	s_add_i32 s21, s0, s2
	s_sub_u32 s49, s18, s16
	s_subb_u32 s48, s19, s17
	s_mul_hi_u32 s0, s49, s12
	s_mul_i32 s2, s48, s12
	s_mul_i32 s20, s16, s22
	s_add_i32 s0, s0, s2
	s_mul_i32 s23, s49, s12
	s_add_u32 s2, s20, s13
	s_addc_u32 s3, s21, 0
	s_add_u32 s26, s2, s23
	s_addc_u32 s27, s3, s0
	s_and_saveexec_b32 s2, s1
	s_cbranch_execz .LBB24_4
; %bb.3:
	v_add_nc_u32_e32 v3, s7, v18
	v_mad_u64_u32 v[1:2], null, s23, v18, s[26:27]
	v_ashrrev_i32_e32 v4, 31, v3
	v_mad_u64_u32 v[5:6], null, s0, v18, v[2:3]
	v_lshlrev_b64 v[3:4], 3, v[3:4]
	v_add_co_u32 v3, vcc_lo, s24, v3
	v_mov_b32_e32 v2, v5
	v_add_co_ci_u32_e64 v4, null, s25, v4, vcc_lo
	global_store_dwordx2 v[3:4], v[1:2], off offset:8
.LBB24_4:
	s_or_b32 exec_lo, exec_lo, s2
	v_or_b32_e32 v22, 32, v18
	v_cmp_gt_i32_e64 s2, s12, v22
	s_and_saveexec_b32 s3, s2
	s_cbranch_execz .LBB24_6
; %bb.5:
	v_mad_u64_u32 v[1:2], null, s23, v22, s[26:27]
	s_ashr_i32 s6, s7, 31
	v_add_co_u32 v3, s28, v18, s7
	v_add_co_ci_u32_e64 v4, null, 0, s6, s28
	v_mad_u64_u32 v[5:6], null, s0, v22, v[2:3]
	v_lshlrev_b64 v[3:4], 3, v[3:4]
	v_add_co_u32 v3, vcc_lo, s24, v3
	v_mov_b32_e32 v2, v5
	v_add_co_ci_u32_e64 v4, null, s25, v4, vcc_lo
	global_store_dwordx2 v[3:4], v[1:2], off offset:264
.LBB24_6:
	s_or_b32 exec_lo, exec_lo, s3
	v_or_b32_e32 v24, 64, v18
	v_cmp_gt_i32_e64 s3, s12, v24
	s_and_saveexec_b32 s6, s3
	s_cbranch_execz .LBB24_8
; %bb.7:
	v_mad_u64_u32 v[1:2], null, s23, v24, s[26:27]
	s_ashr_i32 s28, s7, 31
	v_add_co_u32 v3, s29, v18, s7
	v_add_co_ci_u32_e64 v4, null, 0, s28, s29
	v_mad_u64_u32 v[5:6], null, s0, v24, v[2:3]
	v_lshlrev_b64 v[3:4], 3, v[3:4]
	v_add_co_u32 v3, vcc_lo, s24, v3
	v_mov_b32_e32 v2, v5
	v_add_co_ci_u32_e64 v4, null, s25, v4, vcc_lo
	global_store_dwordx2 v[3:4], v[1:2], off offset:520
.LBB24_8:
	;; [unrolled: 17-line block ×3, first 2 shown]
	s_or_b32 exec_lo, exec_lo, s28
	v_cmp_lt_i64_e64 s0, s[8:9], s[10:11]
	s_and_b32 vcc_lo, exec_lo, s0
	s_cbranch_vccz .LBB24_45
; %bb.11:
	s_clause 0x4
	s_load_dwordx2 s[10:11], s[4:5], 0x20
	s_load_dwordx2 s[24:25], s[4:5], 0x30
	s_load_dword s0, s[4:5], 0x0
	s_load_dwordx2 s[46:47], s[4:5], 0x10
	s_load_dwordx2 s[28:29], s[4:5], 0x40
	v_and_b32_e32 v0, 31, v0
	v_mul_lo_u32 v4, v18, s12
	v_mov_b32_e32 v5, 0
	v_lshlrev_b32_e32 v21, 2, v18
	v_mad_u64_u32 v[29:30], null, v18, s49, 0
	v_mul_lo_u32 v10, v0, s12
	v_mov_b32_e32 v7, v5
	v_mov_b32_e32 v9, v5
	;; [unrolled: 1-line block ×7, first 2 shown]
	v_cmp_gt_i32_e32 vcc_lo, s12, v0
	v_lshlrev_b32_e32 v19, 2, v0
	v_lshlrev_b64 v[27:28], 2, v[10:11]
	s_waitcnt lgkmcnt(0)
	s_cmp_eq_u32 s0, 0
	s_mov_b32 s26, s12
	s_cselect_b32 s0, -1, 0
	s_lshl_b32 s42, s12, 5
	s_and_b32 s30, s1, vcc_lo
	v_add_nc_u32_e32 v6, s42, v4
	v_add_nc_u32_e32 v12, s42, v10
	v_lshlrev_b64 v[4:5], 2, v[4:5]
	s_and_b32 s34, s2, vcc_lo
	s_and_b32 s38, s3, vcc_lo
	v_add_nc_u32_e32 v8, s42, v6
	v_add_nc_u32_e32 v14, s42, v12
	v_lshlrev_b64 v[6:7], 2, v[6:7]
	v_or_b32_e32 v1, 32, v0
	v_or_b32_e32 v2, 64, v0
	v_add_nc_u32_e32 v16, s42, v8
	v_lshlrev_b64 v[8:9], 2, v[8:9]
	v_add_nc_u32_e32 v25, s42, v14
	s_and_b32 s42, s6, vcc_lo
	v_add_co_u32 v4, vcc_lo, v4, v19
	v_lshlrev_b64 v[16:17], 2, v[16:17]
	v_add_co_ci_u32_e64 v5, null, 0, v5, vcc_lo
	v_add_co_u32 v6, vcc_lo, v6, v19
	v_add_co_ci_u32_e64 v7, null, 0, v7, vcc_lo
	v_add_co_u32 v8, vcc_lo, v8, v19
	;; [unrolled: 2-line block ×3, first 2 shown]
	v_add_co_ci_u32_e64 v11, null, 0, v17, vcc_lo
	v_lshlrev_b64 v[16:17], 2, v[12:13]
	v_add_co_u32 v12, vcc_lo, v21, v27
	v_add_co_ci_u32_e64 v13, null, 0, v28, vcc_lo
	v_lshlrev_b64 v[27:28], 2, v[14:15]
	v_add_co_u32 v14, vcc_lo, v21, v16
	v_add_co_ci_u32_e64 v15, null, 0, v17, vcc_lo
	v_mov_b32_e32 v19, v30
	v_add_co_u32 v16, vcc_lo, v21, v27
	v_add_co_ci_u32_e64 v17, null, 0, v28, vcc_lo
	v_mad_u64_u32 v[27:28], null, v29, s26, s[20:21]
	v_lshlrev_b64 v[25:26], 2, v[25:26]
	v_mad_u64_u32 v[29:30], null, v18, s48, v[19:20]
	v_mad_u64_u32 v[30:31], null, s49, v20, 0
	v_or_b32_e32 v3, 0x60, v0
	v_add_co_u32 v18, vcc_lo, v21, v25
	v_mov_b32_e32 v21, v28
	v_add_co_ci_u32_e64 v19, null, 0, v26, vcc_lo
	v_mov_b32_e32 v23, v31
	v_cmp_gt_i32_e64 s4, s12, v1
	v_mad_u64_u32 v[25:26], null, v29, s26, v[21:22]
	v_mad_u64_u32 v[28:29], null, v30, s26, s[20:21]
	;; [unrolled: 1-line block ×3, first 2 shown]
	v_add_co_u32 v26, vcc_lo, v27, v0
	v_add_co_ci_u32_e64 v27, null, 0, v25, vcc_lo
	v_mov_b32_e32 v21, v29
	v_cmp_gt_i32_e64 s5, s12, v2
	v_cmp_gt_i32_e64 s7, s12, v3
	v_lshlrev_b64 v[25:26], 2, v[26:27]
	s_and_b32 s35, s2, s4
	v_mad_u64_u32 v[29:30], null, v20, s26, v[21:22]
	v_mad_u64_u32 v[30:31], null, s49, v22, 0
	v_add_co_u32 v20, vcc_lo, s28, v25
	v_add_co_ci_u32_e64 v21, null, s29, v26, vcc_lo
	v_add_co_u32 v27, vcc_lo, v28, v0
	v_add_co_ci_u32_e64 v28, null, 0, v29, vcc_lo
	v_mov_b32_e32 v23, v31
	v_mad_u64_u32 v[29:30], null, v30, s26, s[20:21]
	v_mad_u64_u32 v[31:32], null, s49, v24, 0
	;; [unrolled: 1-line block ×3, first 2 shown]
	v_add_co_u32 v22, vcc_lo, s24, v25
	v_add_co_ci_u32_e64 v23, null, s25, v26, vcc_lo
	v_lshlrev_b64 v[26:27], 2, v[27:28]
	v_mov_b32_e32 v25, v30
	v_mov_b32_e32 v28, v32
	v_mad_u64_u32 v[30:31], null, v31, s26, s[20:21]
	s_and_b32 s36, s2, s5
	v_mad_u64_u32 v[32:33], null, v33, s26, v[25:26]
	v_mad_u64_u32 v[33:34], null, s48, v24, v[28:29]
	v_add_co_u32 v24, vcc_lo, s24, v26
	v_mov_b32_e32 v28, v31
	v_add_co_ci_u32_e64 v25, null, s25, v27, vcc_lo
	v_add_co_u32 v31, vcc_lo, v29, v0
	v_mad_u64_u32 v[28:29], null, v33, s26, v[28:29]
	v_add_co_ci_u32_e64 v32, null, 0, v32, vcc_lo
	v_add_co_u32 v26, vcc_lo, s28, v26
	v_add_co_ci_u32_e64 v27, null, s29, v27, vcc_lo
	v_add_co_u32 v33, vcc_lo, v30, v0
	v_add_co_ci_u32_e64 v34, null, 0, v28, vcc_lo
	v_lshlrev_b64 v[31:32], 2, v[31:32]
	s_and_b32 s37, s2, s7
	s_and_b32 s39, s3, s4
	v_lshlrev_b64 v[34:35], 2, v[33:34]
	s_and_b32 s40, s3, s5
	s_and_b32 s41, s3, s7
	v_add_co_u32 v28, vcc_lo, s28, v31
	v_add_co_ci_u32_e64 v29, null, s29, v32, vcc_lo
	v_add_co_u32 v30, vcc_lo, s24, v31
	s_lshl_b64 s[2:3], s[20:21], 2
	s_and_b32 s31, s1, s4
	s_and_b32 s33, s1, s5
	;; [unrolled: 1-line block ×6, first 2 shown]
	v_add_co_ci_u32_e64 v31, null, s25, v32, vcc_lo
	v_add_co_u32 v32, vcc_lo, s24, v34
	s_mov_b32 s23, s15
	s_add_u32 s46, s46, s2
	s_addc_u32 s47, s47, s3
	s_lshl_b64 s[4:5], s[8:9], 2
	s_lshl_b64 s[6:7], s[14:15], 2
	v_add_co_ci_u32_e64 v33, null, s25, v35, vcc_lo
	v_add_co_u32 v34, vcc_lo, s28, v34
	s_lshl_b64 s[2:3], s[22:23], 2
	s_sub_u32 s4, s4, s6
	v_add_co_ci_u32_e64 v35, null, s29, v35, vcc_lo
	s_mov_b32 s27, s15
	s_subb_u32 s5, s5, s7
	s_add_u32 s4, s10, s4
	s_addc_u32 s5, s11, s5
	s_lshl_b64 s[6:7], s[26:27], 2
	s_mov_b64 s[8:9], 0
	s_branch .LBB24_13
.LBB24_12:                              ;   in Loop: Header=BB24_13 Depth=1
	s_or_b32 exec_lo, exec_lo, s10
	s_add_u32 s16, s16, 1
	s_addc_u32 s17, s17, 0
	s_add_u32 s46, s46, s2
	v_cmp_ge_i64_e64 s10, s[16:17], s[18:19]
	s_addc_u32 s47, s47, s3
	s_add_u32 s4, s4, 4
	s_addc_u32 s5, s5, 0
	s_add_u32 s8, s8, s6
	s_addc_u32 s9, s9, s7
	s_and_b32 vcc_lo, exec_lo, s10
	s_cbranch_vccnz .LBB24_45
.LBB24_13:                              ; =>This Inner Loop Header: Depth=1
	s_load_dword s10, s[4:5], 0x0
	s_waitcnt lgkmcnt(0)
	s_sub_i32 s10, s10, s14
	s_mul_i32 s10, s10, s12
	s_add_i32 s10, s10, s13
	v_add_nc_u32_e32 v39, s10, v0
	s_and_saveexec_b32 s11, s30
	s_cbranch_execnz .LBB24_29
; %bb.14:                               ;   in Loop: Header=BB24_13 Depth=1
	s_or_b32 exec_lo, exec_lo, s11
	v_add_nc_u32_e32 v38, s10, v1
	s_and_saveexec_b32 s11, s31
	s_cbranch_execnz .LBB24_30
.LBB24_15:                              ;   in Loop: Header=BB24_13 Depth=1
	s_or_b32 exec_lo, exec_lo, s11
	v_add_nc_u32_e32 v36, s10, v2
	s_and_saveexec_b32 s11, s33
	s_cbranch_execnz .LBB24_31
.LBB24_16:                              ;   in Loop: Header=BB24_13 Depth=1
	s_or_b32 exec_lo, exec_lo, s11
	v_add_nc_u32_e32 v37, s10, v3
	s_and_saveexec_b32 s10, s1
	s_cbranch_execnz .LBB24_32
.LBB24_17:                              ;   in Loop: Header=BB24_13 Depth=1
	s_or_b32 exec_lo, exec_lo, s10
	s_and_saveexec_b32 s10, s34
	s_cbranch_execnz .LBB24_33
.LBB24_18:                              ;   in Loop: Header=BB24_13 Depth=1
	s_or_b32 exec_lo, exec_lo, s10
	s_and_saveexec_b32 s10, s35
	s_cbranch_execnz .LBB24_34
.LBB24_19:                              ;   in Loop: Header=BB24_13 Depth=1
	s_or_b32 exec_lo, exec_lo, s10
	s_and_saveexec_b32 s10, s36
	s_cbranch_execnz .LBB24_35
.LBB24_20:                              ;   in Loop: Header=BB24_13 Depth=1
	s_or_b32 exec_lo, exec_lo, s10
	s_and_saveexec_b32 s10, s37
	s_cbranch_execnz .LBB24_36
.LBB24_21:                              ;   in Loop: Header=BB24_13 Depth=1
	s_or_b32 exec_lo, exec_lo, s10
	s_and_saveexec_b32 s10, s38
	s_cbranch_execnz .LBB24_37
.LBB24_22:                              ;   in Loop: Header=BB24_13 Depth=1
	s_or_b32 exec_lo, exec_lo, s10
	s_and_saveexec_b32 s10, s39
	s_cbranch_execnz .LBB24_38
.LBB24_23:                              ;   in Loop: Header=BB24_13 Depth=1
	s_or_b32 exec_lo, exec_lo, s10
	s_and_saveexec_b32 s10, s40
	s_cbranch_execnz .LBB24_39
.LBB24_24:                              ;   in Loop: Header=BB24_13 Depth=1
	s_or_b32 exec_lo, exec_lo, s10
	s_and_saveexec_b32 s10, s41
	s_cbranch_execnz .LBB24_40
.LBB24_25:                              ;   in Loop: Header=BB24_13 Depth=1
	s_or_b32 exec_lo, exec_lo, s10
	s_and_saveexec_b32 s10, s42
	s_cbranch_execnz .LBB24_41
.LBB24_26:                              ;   in Loop: Header=BB24_13 Depth=1
	s_or_b32 exec_lo, exec_lo, s10
	s_and_saveexec_b32 s10, s43
	s_cbranch_execnz .LBB24_42
.LBB24_27:                              ;   in Loop: Header=BB24_13 Depth=1
	s_or_b32 exec_lo, exec_lo, s10
	s_and_saveexec_b32 s10, s44
	s_cbranch_execnz .LBB24_43
.LBB24_28:                              ;   in Loop: Header=BB24_13 Depth=1
	s_or_b32 exec_lo, exec_lo, s10
	s_and_saveexec_b32 s10, s45
	s_cbranch_execz .LBB24_12
	s_branch .LBB24_44
.LBB24_29:                              ;   in Loop: Header=BB24_13 Depth=1
	v_add_co_u32 v36, vcc_lo, s46, v4
	v_add_co_ci_u32_e64 v37, null, s47, v5, vcc_lo
	v_add_co_u32 v38, vcc_lo, s46, v12
	v_add_co_ci_u32_e64 v40, null, s47, v13, vcc_lo
	v_cndmask_b32_e64 v36, v38, v36, s0
	v_cndmask_b32_e64 v37, v40, v37, s0
	global_load_dword v38, v[36:37], off
	v_add_co_u32 v36, vcc_lo, v20, s8
	v_add_co_ci_u32_e64 v37, null, s9, v21, vcc_lo
	v_add_co_u32 v40, vcc_lo, v22, s8
	v_add_co_ci_u32_e64 v41, null, s9, v23, vcc_lo
	global_store_dword v[36:37], v39, off
	s_waitcnt vmcnt(0)
	global_store_dword v[40:41], v38, off
	s_or_b32 exec_lo, exec_lo, s11
	v_add_nc_u32_e32 v38, s10, v1
	s_and_saveexec_b32 s11, s31
	s_cbranch_execz .LBB24_15
.LBB24_30:                              ;   in Loop: Header=BB24_13 Depth=1
	v_add_co_u32 v36, vcc_lo, s46, v4
	v_add_co_ci_u32_e64 v37, null, s47, v5, vcc_lo
	v_add_co_u32 v36, vcc_lo, 0x80, v36
	v_add_co_ci_u32_e64 v37, null, 0, v37, vcc_lo
	;; [unrolled: 2-line block ×3, first 2 shown]
	v_cndmask_b32_e64 v36, v40, v36, s0
	v_cndmask_b32_e64 v37, v41, v37, s0
	global_load_dword v42, v[36:37], off
	v_add_co_u32 v36, vcc_lo, v20, s8
	v_add_co_ci_u32_e64 v37, null, s9, v21, vcc_lo
	v_add_co_u32 v40, vcc_lo, v22, s8
	v_add_co_ci_u32_e64 v41, null, s9, v23, vcc_lo
	global_store_dword v[36:37], v38, off offset:128
	s_waitcnt vmcnt(0)
	global_store_dword v[40:41], v42, off offset:128
	s_or_b32 exec_lo, exec_lo, s11
	v_add_nc_u32_e32 v36, s10, v2
	s_and_saveexec_b32 s11, s33
	s_cbranch_execz .LBB24_16
.LBB24_31:                              ;   in Loop: Header=BB24_13 Depth=1
	v_add_co_u32 v37, vcc_lo, s46, v4
	v_add_co_ci_u32_e64 v40, null, s47, v5, vcc_lo
	v_add_co_u32 v37, vcc_lo, 0x100, v37
	v_add_co_ci_u32_e64 v40, null, 0, v40, vcc_lo
	;; [unrolled: 2-line block ×3, first 2 shown]
	v_cndmask_b32_e64 v41, v41, v40, s0
	v_cndmask_b32_e64 v40, v42, v37, s0
	global_load_dword v37, v[40:41], off
	v_add_co_u32 v40, vcc_lo, v20, s8
	v_add_co_ci_u32_e64 v41, null, s9, v21, vcc_lo
	v_add_co_u32 v42, vcc_lo, v22, s8
	v_add_co_ci_u32_e64 v43, null, s9, v23, vcc_lo
	global_store_dword v[40:41], v36, off offset:256
	s_waitcnt vmcnt(0)
	global_store_dword v[42:43], v37, off offset:256
	s_or_b32 exec_lo, exec_lo, s11
	v_add_nc_u32_e32 v37, s10, v3
	s_and_saveexec_b32 s10, s1
	s_cbranch_execz .LBB24_17
.LBB24_32:                              ;   in Loop: Header=BB24_13 Depth=1
	v_add_co_u32 v40, vcc_lo, s46, v4
	v_add_co_ci_u32_e64 v41, null, s47, v5, vcc_lo
	v_add_co_u32 v40, vcc_lo, 0x180, v40
	v_add_co_ci_u32_e64 v41, null, 0, v41, vcc_lo
	;; [unrolled: 2-line block ×3, first 2 shown]
	v_cndmask_b32_e64 v40, v42, v40, s0
	v_cndmask_b32_e64 v41, v43, v41, s0
	global_load_dword v44, v[40:41], off
	v_add_co_u32 v40, vcc_lo, v20, s8
	v_add_co_ci_u32_e64 v41, null, s9, v21, vcc_lo
	v_add_co_u32 v42, vcc_lo, v22, s8
	v_add_co_ci_u32_e64 v43, null, s9, v23, vcc_lo
	global_store_dword v[40:41], v37, off offset:384
	s_waitcnt vmcnt(0)
	global_store_dword v[42:43], v44, off offset:384
	s_or_b32 exec_lo, exec_lo, s10
	s_and_saveexec_b32 s10, s34
	s_cbranch_execz .LBB24_18
.LBB24_33:                              ;   in Loop: Header=BB24_13 Depth=1
	v_add_co_u32 v40, vcc_lo, s46, v12
	v_add_co_ci_u32_e64 v41, null, s47, v13, vcc_lo
	v_add_co_u32 v42, vcc_lo, s46, v6
	v_add_co_ci_u32_e64 v43, null, s47, v7, vcc_lo
	;; [unrolled: 2-line block ×3, first 2 shown]
	v_cndmask_b32_e64 v40, v40, v42, s0
	v_cndmask_b32_e64 v41, v41, v43, s0
	global_load_dword v44, v[40:41], off
	v_add_co_u32 v40, vcc_lo, v28, s8
	v_add_co_ci_u32_e64 v41, null, s9, v29, vcc_lo
	v_add_co_u32 v42, vcc_lo, v30, s8
	v_add_co_ci_u32_e64 v43, null, s9, v31, vcc_lo
	global_store_dword v[40:41], v39, off
	s_waitcnt vmcnt(0)
	global_store_dword v[42:43], v44, off
	s_or_b32 exec_lo, exec_lo, s10
	s_and_saveexec_b32 s10, s35
	s_cbranch_execz .LBB24_19
.LBB24_34:                              ;   in Loop: Header=BB24_13 Depth=1
	v_add_co_u32 v40, vcc_lo, s46, v6
	v_add_co_ci_u32_e64 v41, null, s47, v7, vcc_lo
	v_add_co_u32 v42, vcc_lo, s46, v14
	v_add_co_ci_u32_e64 v43, null, s47, v15, vcc_lo
	v_cndmask_b32_e64 v40, v42, v40, s0
	v_cndmask_b32_e64 v41, v43, v41, s0
	global_load_dword v44, v[40:41], off offset:128
	v_add_co_u32 v40, vcc_lo, v28, s8
	v_add_co_ci_u32_e64 v41, null, s9, v29, vcc_lo
	v_add_co_u32 v42, vcc_lo, v30, s8
	v_add_co_ci_u32_e64 v43, null, s9, v31, vcc_lo
	global_store_dword v[40:41], v38, off offset:128
	s_waitcnt vmcnt(0)
	global_store_dword v[42:43], v44, off offset:128
	s_or_b32 exec_lo, exec_lo, s10
	s_and_saveexec_b32 s10, s36
	s_cbranch_execz .LBB24_20
.LBB24_35:                              ;   in Loop: Header=BB24_13 Depth=1
	v_add_co_u32 v40, vcc_lo, s46, v6
	v_add_co_ci_u32_e64 v41, null, s47, v7, vcc_lo
	v_add_co_u32 v42, vcc_lo, s46, v16
	v_add_co_ci_u32_e64 v43, null, s47, v17, vcc_lo
	;; [unrolled: 2-line block ×4, first 2 shown]
	v_cndmask_b32_e64 v40, v42, v40, s0
	v_cndmask_b32_e64 v41, v43, v41, s0
	global_load_dword v44, v[40:41], off
	v_add_co_u32 v40, vcc_lo, v28, s8
	v_add_co_ci_u32_e64 v41, null, s9, v29, vcc_lo
	v_add_co_u32 v42, vcc_lo, v30, s8
	v_add_co_ci_u32_e64 v43, null, s9, v31, vcc_lo
	global_store_dword v[40:41], v36, off offset:256
	s_waitcnt vmcnt(0)
	global_store_dword v[42:43], v44, off offset:256
	s_or_b32 exec_lo, exec_lo, s10
	s_and_saveexec_b32 s10, s37
	s_cbranch_execz .LBB24_21
.LBB24_36:                              ;   in Loop: Header=BB24_13 Depth=1
	v_add_co_u32 v40, vcc_lo, s46, v6
	v_add_co_ci_u32_e64 v41, null, s47, v7, vcc_lo
	v_add_co_u32 v42, vcc_lo, s46, v18
	v_add_co_ci_u32_e64 v43, null, s47, v19, vcc_lo
	;; [unrolled: 2-line block ×4, first 2 shown]
	v_cndmask_b32_e64 v40, v42, v40, s0
	v_cndmask_b32_e64 v41, v43, v41, s0
	global_load_dword v44, v[40:41], off
	v_add_co_u32 v40, vcc_lo, v28, s8
	v_add_co_ci_u32_e64 v41, null, s9, v29, vcc_lo
	v_add_co_u32 v42, vcc_lo, v30, s8
	v_add_co_ci_u32_e64 v43, null, s9, v31, vcc_lo
	global_store_dword v[40:41], v37, off offset:384
	s_waitcnt vmcnt(0)
	global_store_dword v[42:43], v44, off offset:384
	s_or_b32 exec_lo, exec_lo, s10
	s_and_saveexec_b32 s10, s38
	s_cbranch_execz .LBB24_22
.LBB24_37:                              ;   in Loop: Header=BB24_13 Depth=1
	v_add_co_u32 v40, vcc_lo, s46, v12
	v_add_co_ci_u32_e64 v41, null, s47, v13, vcc_lo
	v_add_co_u32 v42, vcc_lo, s46, v8
	v_add_co_ci_u32_e64 v43, null, s47, v9, vcc_lo
	;; [unrolled: 2-line block ×3, first 2 shown]
	v_cndmask_b32_e64 v40, v40, v42, s0
	v_cndmask_b32_e64 v41, v41, v43, s0
	global_load_dword v44, v[40:41], off
	v_add_co_u32 v40, vcc_lo, v34, s8
	v_add_co_ci_u32_e64 v41, null, s9, v35, vcc_lo
	v_add_co_u32 v42, vcc_lo, v32, s8
	v_add_co_ci_u32_e64 v43, null, s9, v33, vcc_lo
	global_store_dword v[40:41], v39, off
	s_waitcnt vmcnt(0)
	global_store_dword v[42:43], v44, off
	s_or_b32 exec_lo, exec_lo, s10
	s_and_saveexec_b32 s10, s39
	s_cbranch_execz .LBB24_23
.LBB24_38:                              ;   in Loop: Header=BB24_13 Depth=1
	v_add_co_u32 v40, vcc_lo, s46, v8
	v_add_co_ci_u32_e64 v41, null, s47, v9, vcc_lo
	v_add_co_u32 v42, vcc_lo, s46, v14
	v_add_co_ci_u32_e64 v43, null, s47, v15, vcc_lo
	;; [unrolled: 2-line block ×4, first 2 shown]
	v_cndmask_b32_e64 v40, v42, v40, s0
	v_cndmask_b32_e64 v41, v43, v41, s0
	global_load_dword v44, v[40:41], off
	v_add_co_u32 v40, vcc_lo, v34, s8
	v_add_co_ci_u32_e64 v41, null, s9, v35, vcc_lo
	v_add_co_u32 v42, vcc_lo, v32, s8
	v_add_co_ci_u32_e64 v43, null, s9, v33, vcc_lo
	global_store_dword v[40:41], v38, off offset:128
	s_waitcnt vmcnt(0)
	global_store_dword v[42:43], v44, off offset:128
	s_or_b32 exec_lo, exec_lo, s10
	s_and_saveexec_b32 s10, s40
	s_cbranch_execz .LBB24_24
.LBB24_39:                              ;   in Loop: Header=BB24_13 Depth=1
	v_add_co_u32 v40, vcc_lo, s46, v8
	v_add_co_ci_u32_e64 v41, null, s47, v9, vcc_lo
	v_add_co_u32 v42, vcc_lo, s46, v16
	v_add_co_ci_u32_e64 v43, null, s47, v17, vcc_lo
	v_cndmask_b32_e64 v40, v42, v40, s0
	v_cndmask_b32_e64 v41, v43, v41, s0
	global_load_dword v44, v[40:41], off offset:256
	v_add_co_u32 v40, vcc_lo, v34, s8
	v_add_co_ci_u32_e64 v41, null, s9, v35, vcc_lo
	v_add_co_u32 v42, vcc_lo, v32, s8
	v_add_co_ci_u32_e64 v43, null, s9, v33, vcc_lo
	global_store_dword v[40:41], v36, off offset:256
	s_waitcnt vmcnt(0)
	global_store_dword v[42:43], v44, off offset:256
	s_or_b32 exec_lo, exec_lo, s10
	s_and_saveexec_b32 s10, s41
	s_cbranch_execz .LBB24_25
.LBB24_40:                              ;   in Loop: Header=BB24_13 Depth=1
	v_add_co_u32 v40, vcc_lo, s46, v8
	v_add_co_ci_u32_e64 v41, null, s47, v9, vcc_lo
	v_add_co_u32 v42, vcc_lo, s46, v18
	v_add_co_ci_u32_e64 v43, null, s47, v19, vcc_lo
	;; [unrolled: 2-line block ×4, first 2 shown]
	v_cndmask_b32_e64 v40, v42, v40, s0
	v_cndmask_b32_e64 v41, v43, v41, s0
	global_load_dword v44, v[40:41], off
	v_add_co_u32 v40, vcc_lo, v34, s8
	v_add_co_ci_u32_e64 v41, null, s9, v35, vcc_lo
	v_add_co_u32 v42, vcc_lo, v32, s8
	v_add_co_ci_u32_e64 v43, null, s9, v33, vcc_lo
	global_store_dword v[40:41], v37, off offset:384
	s_waitcnt vmcnt(0)
	global_store_dword v[42:43], v44, off offset:384
	s_or_b32 exec_lo, exec_lo, s10
	s_and_saveexec_b32 s10, s42
	s_cbranch_execz .LBB24_26
.LBB24_41:                              ;   in Loop: Header=BB24_13 Depth=1
	v_add_co_u32 v40, vcc_lo, s46, v12
	v_add_co_ci_u32_e64 v41, null, s47, v13, vcc_lo
	v_add_co_u32 v42, vcc_lo, s46, v10
	v_add_co_ci_u32_e64 v43, null, s47, v11, vcc_lo
	;; [unrolled: 2-line block ×3, first 2 shown]
	v_cndmask_b32_e64 v40, v40, v42, s0
	v_cndmask_b32_e64 v41, v41, v43, s0
	global_load_dword v44, v[40:41], off
	v_add_co_u32 v40, vcc_lo, v26, s8
	v_add_co_ci_u32_e64 v41, null, s9, v27, vcc_lo
	v_add_co_u32 v42, vcc_lo, v24, s8
	v_add_co_ci_u32_e64 v43, null, s9, v25, vcc_lo
	global_store_dword v[40:41], v39, off
	s_waitcnt vmcnt(0)
	global_store_dword v[42:43], v44, off
	s_or_b32 exec_lo, exec_lo, s10
	s_and_saveexec_b32 s10, s43
	s_cbranch_execz .LBB24_27
.LBB24_42:                              ;   in Loop: Header=BB24_13 Depth=1
	v_add_co_u32 v39, vcc_lo, s46, v10
	v_add_co_ci_u32_e64 v40, null, s47, v11, vcc_lo
	v_add_co_u32 v41, vcc_lo, s46, v14
	v_add_co_ci_u32_e64 v42, null, s47, v15, vcc_lo
	;; [unrolled: 2-line block ×4, first 2 shown]
	v_cndmask_b32_e64 v39, v41, v39, s0
	v_cndmask_b32_e64 v40, v42, v40, s0
	global_load_dword v43, v[39:40], off
	v_add_co_u32 v39, vcc_lo, v26, s8
	v_add_co_ci_u32_e64 v40, null, s9, v27, vcc_lo
	v_add_co_u32 v41, vcc_lo, v24, s8
	v_add_co_ci_u32_e64 v42, null, s9, v25, vcc_lo
	global_store_dword v[39:40], v38, off offset:128
	s_waitcnt vmcnt(0)
	global_store_dword v[41:42], v43, off offset:128
	s_or_b32 exec_lo, exec_lo, s10
	s_and_saveexec_b32 s10, s44
	s_cbranch_execz .LBB24_28
.LBB24_43:                              ;   in Loop: Header=BB24_13 Depth=1
	v_add_co_u32 v38, vcc_lo, s46, v10
	v_add_co_ci_u32_e64 v39, null, s47, v11, vcc_lo
	v_add_co_u32 v40, vcc_lo, s46, v16
	v_add_co_ci_u32_e64 v41, null, s47, v17, vcc_lo
	;; [unrolled: 2-line block ×4, first 2 shown]
	v_cndmask_b32_e64 v38, v40, v38, s0
	v_cndmask_b32_e64 v39, v41, v39, s0
	global_load_dword v42, v[38:39], off
	v_add_co_u32 v38, vcc_lo, v26, s8
	v_add_co_ci_u32_e64 v39, null, s9, v27, vcc_lo
	v_add_co_u32 v40, vcc_lo, v24, s8
	v_add_co_ci_u32_e64 v41, null, s9, v25, vcc_lo
	global_store_dword v[38:39], v36, off offset:256
	s_waitcnt vmcnt(0)
	global_store_dword v[40:41], v42, off offset:256
	s_or_b32 exec_lo, exec_lo, s10
	s_and_saveexec_b32 s10, s45
	s_cbranch_execz .LBB24_12
.LBB24_44:                              ;   in Loop: Header=BB24_13 Depth=1
	v_add_co_u32 v36, vcc_lo, s46, v10
	v_add_co_ci_u32_e64 v38, null, s47, v11, vcc_lo
	v_add_co_u32 v40, vcc_lo, s46, v18
	v_add_co_ci_u32_e64 v39, null, s47, v19, vcc_lo
	v_cndmask_b32_e64 v39, v39, v38, s0
	v_cndmask_b32_e64 v38, v40, v36, s0
	global_load_dword v36, v[38:39], off offset:384
	v_add_co_u32 v38, vcc_lo, v26, s8
	v_add_co_ci_u32_e64 v39, null, s9, v27, vcc_lo
	v_add_co_u32 v40, vcc_lo, v24, s8
	v_add_co_ci_u32_e64 v41, null, s9, v25, vcc_lo
	global_store_dword v[38:39], v37, off offset:384
	s_waitcnt vmcnt(0)
	global_store_dword v[40:41], v36, off offset:384
	s_branch .LBB24_12
.LBB24_45:
	s_endpgm
	.section	.rodata,"a",@progbits
	.p2align	6, 0x0
	.amdhsa_kernel _ZN9rocsparseL35bsr2csr_block_per_row_33_256_kernelILj1024ELj128ELj32EiliEEv20rocsparse_direction_T4_S2_21rocsparse_index_base_PKT2_PKT3_PKS2_S2_S3_PS4_PS7_PS2_
		.amdhsa_group_segment_fixed_size 0
		.amdhsa_private_segment_fixed_size 0
		.amdhsa_kernarg_size 72
		.amdhsa_user_sgpr_count 6
		.amdhsa_user_sgpr_private_segment_buffer 1
		.amdhsa_user_sgpr_dispatch_ptr 0
		.amdhsa_user_sgpr_queue_ptr 0
		.amdhsa_user_sgpr_kernarg_segment_ptr 1
		.amdhsa_user_sgpr_dispatch_id 0
		.amdhsa_user_sgpr_flat_scratch_init 0
		.amdhsa_user_sgpr_private_segment_size 0
		.amdhsa_wavefront_size32 1
		.amdhsa_uses_dynamic_stack 0
		.amdhsa_system_sgpr_private_segment_wavefront_offset 0
		.amdhsa_system_sgpr_workgroup_id_x 1
		.amdhsa_system_sgpr_workgroup_id_y 0
		.amdhsa_system_sgpr_workgroup_id_z 0
		.amdhsa_system_sgpr_workgroup_info 0
		.amdhsa_system_vgpr_workitem_id 0
		.amdhsa_next_free_vgpr 45
		.amdhsa_next_free_sgpr 50
		.amdhsa_reserve_vcc 1
		.amdhsa_reserve_flat_scratch 0
		.amdhsa_float_round_mode_32 0
		.amdhsa_float_round_mode_16_64 0
		.amdhsa_float_denorm_mode_32 3
		.amdhsa_float_denorm_mode_16_64 3
		.amdhsa_dx10_clamp 1
		.amdhsa_ieee_mode 1
		.amdhsa_fp16_overflow 0
		.amdhsa_workgroup_processor_mode 1
		.amdhsa_memory_ordered 1
		.amdhsa_forward_progress 1
		.amdhsa_shared_vgpr_count 0
		.amdhsa_exception_fp_ieee_invalid_op 0
		.amdhsa_exception_fp_denorm_src 0
		.amdhsa_exception_fp_ieee_div_zero 0
		.amdhsa_exception_fp_ieee_overflow 0
		.amdhsa_exception_fp_ieee_underflow 0
		.amdhsa_exception_fp_ieee_inexact 0
		.amdhsa_exception_int_div_zero 0
	.end_amdhsa_kernel
	.section	.text._ZN9rocsparseL35bsr2csr_block_per_row_33_256_kernelILj1024ELj128ELj32EiliEEv20rocsparse_direction_T4_S2_21rocsparse_index_base_PKT2_PKT3_PKS2_S2_S3_PS4_PS7_PS2_,"axG",@progbits,_ZN9rocsparseL35bsr2csr_block_per_row_33_256_kernelILj1024ELj128ELj32EiliEEv20rocsparse_direction_T4_S2_21rocsparse_index_base_PKT2_PKT3_PKS2_S2_S3_PS4_PS7_PS2_,comdat
.Lfunc_end24:
	.size	_ZN9rocsparseL35bsr2csr_block_per_row_33_256_kernelILj1024ELj128ELj32EiliEEv20rocsparse_direction_T4_S2_21rocsparse_index_base_PKT2_PKT3_PKS2_S2_S3_PS4_PS7_PS2_, .Lfunc_end24-_ZN9rocsparseL35bsr2csr_block_per_row_33_256_kernelILj1024ELj128ELj32EiliEEv20rocsparse_direction_T4_S2_21rocsparse_index_base_PKT2_PKT3_PKS2_S2_S3_PS4_PS7_PS2_
                                        ; -- End function
	.set _ZN9rocsparseL35bsr2csr_block_per_row_33_256_kernelILj1024ELj128ELj32EiliEEv20rocsparse_direction_T4_S2_21rocsparse_index_base_PKT2_PKT3_PKS2_S2_S3_PS4_PS7_PS2_.num_vgpr, 45
	.set _ZN9rocsparseL35bsr2csr_block_per_row_33_256_kernelILj1024ELj128ELj32EiliEEv20rocsparse_direction_T4_S2_21rocsparse_index_base_PKT2_PKT3_PKS2_S2_S3_PS4_PS7_PS2_.num_agpr, 0
	.set _ZN9rocsparseL35bsr2csr_block_per_row_33_256_kernelILj1024ELj128ELj32EiliEEv20rocsparse_direction_T4_S2_21rocsparse_index_base_PKT2_PKT3_PKS2_S2_S3_PS4_PS7_PS2_.numbered_sgpr, 50
	.set _ZN9rocsparseL35bsr2csr_block_per_row_33_256_kernelILj1024ELj128ELj32EiliEEv20rocsparse_direction_T4_S2_21rocsparse_index_base_PKT2_PKT3_PKS2_S2_S3_PS4_PS7_PS2_.num_named_barrier, 0
	.set _ZN9rocsparseL35bsr2csr_block_per_row_33_256_kernelILj1024ELj128ELj32EiliEEv20rocsparse_direction_T4_S2_21rocsparse_index_base_PKT2_PKT3_PKS2_S2_S3_PS4_PS7_PS2_.private_seg_size, 0
	.set _ZN9rocsparseL35bsr2csr_block_per_row_33_256_kernelILj1024ELj128ELj32EiliEEv20rocsparse_direction_T4_S2_21rocsparse_index_base_PKT2_PKT3_PKS2_S2_S3_PS4_PS7_PS2_.uses_vcc, 1
	.set _ZN9rocsparseL35bsr2csr_block_per_row_33_256_kernelILj1024ELj128ELj32EiliEEv20rocsparse_direction_T4_S2_21rocsparse_index_base_PKT2_PKT3_PKS2_S2_S3_PS4_PS7_PS2_.uses_flat_scratch, 0
	.set _ZN9rocsparseL35bsr2csr_block_per_row_33_256_kernelILj1024ELj128ELj32EiliEEv20rocsparse_direction_T4_S2_21rocsparse_index_base_PKT2_PKT3_PKS2_S2_S3_PS4_PS7_PS2_.has_dyn_sized_stack, 0
	.set _ZN9rocsparseL35bsr2csr_block_per_row_33_256_kernelILj1024ELj128ELj32EiliEEv20rocsparse_direction_T4_S2_21rocsparse_index_base_PKT2_PKT3_PKS2_S2_S3_PS4_PS7_PS2_.has_recursion, 0
	.set _ZN9rocsparseL35bsr2csr_block_per_row_33_256_kernelILj1024ELj128ELj32EiliEEv20rocsparse_direction_T4_S2_21rocsparse_index_base_PKT2_PKT3_PKS2_S2_S3_PS4_PS7_PS2_.has_indirect_call, 0
	.section	.AMDGPU.csdata,"",@progbits
; Kernel info:
; codeLenInByte = 4052
; TotalNumSgprs: 52
; NumVgprs: 45
; ScratchSize: 0
; MemoryBound: 0
; FloatMode: 240
; IeeeMode: 1
; LDSByteSize: 0 bytes/workgroup (compile time only)
; SGPRBlocks: 0
; VGPRBlocks: 5
; NumSGPRsForWavesPerEU: 52
; NumVGPRsForWavesPerEU: 45
; Occupancy: 16
; WaveLimiterHint : 1
; COMPUTE_PGM_RSRC2:SCRATCH_EN: 0
; COMPUTE_PGM_RSRC2:USER_SGPR: 6
; COMPUTE_PGM_RSRC2:TRAP_HANDLER: 0
; COMPUTE_PGM_RSRC2:TGID_X_EN: 1
; COMPUTE_PGM_RSRC2:TGID_Y_EN: 0
; COMPUTE_PGM_RSRC2:TGID_Z_EN: 0
; COMPUTE_PGM_RSRC2:TIDIG_COMP_CNT: 0
	.section	.text._ZN9rocsparseL35bsr2csr_block_per_row_33_256_kernelILj1024ELj256ELj32EiliEEv20rocsparse_direction_T4_S2_21rocsparse_index_base_PKT2_PKT3_PKS2_S2_S3_PS4_PS7_PS2_,"axG",@progbits,_ZN9rocsparseL35bsr2csr_block_per_row_33_256_kernelILj1024ELj256ELj32EiliEEv20rocsparse_direction_T4_S2_21rocsparse_index_base_PKT2_PKT3_PKS2_S2_S3_PS4_PS7_PS2_,comdat
	.globl	_ZN9rocsparseL35bsr2csr_block_per_row_33_256_kernelILj1024ELj256ELj32EiliEEv20rocsparse_direction_T4_S2_21rocsparse_index_base_PKT2_PKT3_PKS2_S2_S3_PS4_PS7_PS2_ ; -- Begin function _ZN9rocsparseL35bsr2csr_block_per_row_33_256_kernelILj1024ELj256ELj32EiliEEv20rocsparse_direction_T4_S2_21rocsparse_index_base_PKT2_PKT3_PKS2_S2_S3_PS4_PS7_PS2_
	.p2align	8
	.type	_ZN9rocsparseL35bsr2csr_block_per_row_33_256_kernelILj1024ELj256ELj32EiliEEv20rocsparse_direction_T4_S2_21rocsparse_index_base_PKT2_PKT3_PKS2_S2_S3_PS4_PS7_PS2_,@function
_ZN9rocsparseL35bsr2csr_block_per_row_33_256_kernelILj1024ELj256ELj32EiliEEv20rocsparse_direction_T4_S2_21rocsparse_index_base_PKT2_PKT3_PKS2_S2_S3_PS4_PS7_PS2_: ; @_ZN9rocsparseL35bsr2csr_block_per_row_33_256_kernelILj1024ELj256ELj32EiliEEv20rocsparse_direction_T4_S2_21rocsparse_index_base_PKT2_PKT3_PKS2_S2_S3_PS4_PS7_PS2_
; %bb.0:
	s_load_dwordx2 s[0:1], s[4:5], 0x18
	s_ashr_i32 s7, s6, 31
	s_clause 0x1
	s_load_dwordx2 s[16:17], s[4:5], 0x28
	s_load_dwordx2 s[24:25], s[4:5], 0x38
	s_lshl_b64 s[2:3], s[6:7], 3
	v_or_b32_e32 v1, s6, v0
	s_waitcnt lgkmcnt(0)
	s_add_u32 s0, s0, s2
	s_addc_u32 s1, s1, s3
	s_mov_b32 s2, exec_lo
	s_load_dwordx4 s[12:15], s[0:1], 0x0
	s_mov_b32 s1, 0
	v_cmpx_eq_u32_e32 0, v1
	s_cbranch_execz .LBB25_2
; %bb.1:
	s_mov_b32 s0, s17
	v_mov_b32_e32 v2, s1
	v_mov_b32_e32 v3, 0
	v_mov_b32_e32 v1, s0
	global_store_dwordx2 v3, v[1:2], s[24:25]
.LBB25_2:
	s_or_b32 exec_lo, exec_lo, s2
	s_load_dword s33, s[4:5], 0xc
	s_mul_i32 s34, s16, s16
	v_lshrrev_b32_e32 v43, 5, v0
	s_mul_i32 s11, s16, s6
	v_cmp_gt_i32_e64 s2, s16, v43
	s_waitcnt lgkmcnt(0)
	s_sub_u32 s18, s12, s33
	s_subb_u32 s19, s13, 0
	s_mul_hi_u32 s0, s18, s34
	s_mul_i32 s1, s19, s34
	s_sub_u32 s20, s14, s33
	s_subb_u32 s21, s15, 0
	s_add_i32 s23, s0, s1
	s_sub_u32 s58, s20, s18
	s_subb_u32 s64, s21, s19
	s_mul_hi_u32 s0, s58, s16
	s_mul_i32 s1, s64, s16
	s_mul_i32 s22, s18, s34
	s_add_i32 s0, s0, s1
	s_mul_i32 s28, s58, s16
	s_add_u32 s1, s22, s17
	s_addc_u32 s3, s23, 0
	s_add_u32 s26, s1, s28
	s_addc_u32 s27, s3, s0
	s_and_saveexec_b32 s1, s2
	s_cbranch_execz .LBB25_4
; %bb.3:
	v_add_nc_u32_e32 v3, s11, v43
	v_mad_u64_u32 v[1:2], null, s28, v43, s[26:27]
	v_ashrrev_i32_e32 v4, 31, v3
	v_mad_u64_u32 v[5:6], null, s0, v43, v[2:3]
	v_lshlrev_b64 v[3:4], 3, v[3:4]
	v_add_co_u32 v3, vcc_lo, s24, v3
	v_mov_b32_e32 v2, v5
	v_add_co_ci_u32_e64 v4, null, s25, v4, vcc_lo
	global_store_dwordx2 v[3:4], v[1:2], off offset:8
.LBB25_4:
	s_or_b32 exec_lo, exec_lo, s1
	v_or_b32_e32 v4, 32, v43
	v_cmp_gt_i32_e64 s8, s16, v4
	s_and_saveexec_b32 s1, s8
	s_cbranch_execz .LBB25_6
; %bb.5:
	s_ashr_i32 s3, s11, 31
	v_add_co_u32 v5, s6, v43, s11
	v_add_co_ci_u32_e64 v6, null, 0, s3, s6
	v_mad_u64_u32 v[1:2], null, s28, v4, s[26:27]
	v_lshlrev_b64 v[5:6], 3, v[5:6]
	v_mad_u64_u32 v[2:3], null, s0, v4, v[2:3]
	v_add_co_u32 v5, vcc_lo, s24, v5
	v_add_co_ci_u32_e64 v6, null, s25, v6, vcc_lo
	global_store_dwordx2 v[5:6], v[1:2], off offset:264
.LBB25_6:
	s_or_b32 exec_lo, exec_lo, s1
	v_or_b32_e32 v5, 64, v43
	v_cmp_gt_i32_e64 s6, s16, v5
	s_and_saveexec_b32 s1, s6
	s_cbranch_execz .LBB25_8
; %bb.7:
	s_ashr_i32 s3, s11, 31
	v_add_co_u32 v6, s7, v43, s11
	v_add_co_ci_u32_e64 v7, null, 0, s3, s7
	v_mad_u64_u32 v[1:2], null, s28, v5, s[26:27]
	v_lshlrev_b64 v[6:7], 3, v[6:7]
	v_mad_u64_u32 v[2:3], null, s0, v5, v[2:3]
	v_add_co_u32 v6, vcc_lo, s24, v6
	v_add_co_ci_u32_e64 v7, null, s25, v7, vcc_lo
	global_store_dwordx2 v[6:7], v[1:2], off offset:520
.LBB25_8:
	;; [unrolled: 16-line block ×6, first 2 shown]
	s_or_b32 exec_lo, exec_lo, s9
	v_or_b32_e32 v14, 0xe0, v43
	v_cmp_gt_i32_e64 s9, s16, v14
	s_and_saveexec_b32 s29, s9
	s_cbranch_execz .LBB25_18
; %bb.17:
	v_mad_u64_u32 v[1:2], null, s28, v14, s[26:27]
	s_ashr_i32 s26, s11, 31
	v_add_co_u32 v7, s11, v43, s11
	v_add_co_ci_u32_e64 v8, null, 0, s26, s11
	v_mad_u64_u32 v[2:3], null, s0, v14, v[2:3]
	v_lshlrev_b64 v[7:8], 3, v[7:8]
	v_add_co_u32 v7, vcc_lo, s24, v7
	v_add_co_ci_u32_e64 v8, null, s25, v8, vcc_lo
	global_store_dwordx2 v[7:8], v[1:2], off offset:1800
.LBB25_18:
	s_or_b32 exec_lo, exec_lo, s29
	v_cmp_lt_i64_e64 s0, s[12:13], s[14:15]
	s_and_b32 vcc_lo, exec_lo, s0
	s_cbranch_vccz .LBB25_149
; %bb.19:
	v_and_b32_e32 v46, 31, v0
	v_mad_u64_u32 v[0:1], null, s58, v43, 0
	v_mad_u64_u32 v[2:3], null, s58, v4, 0
	s_clause 0x4
	s_load_dword s0, s[4:5], 0x0
	s_load_dwordx2 s[24:25], s[4:5], 0x20
	s_load_dwordx2 s[26:27], s[4:5], 0x30
	;; [unrolled: 1-line block ×4, first 2 shown]
	v_mul_lo_u32 v15, v43, s16
	v_mul_lo_u32 v27, v46, s16
	v_mad_u64_u32 v[9:10], null, s58, v13, 0
	v_mov_b32_e32 v28, 0
	v_mad_u64_u32 v[7:8], null, s64, v43, v[1:2]
	v_or_b32_e32 v47, 32, v46
	v_or_b32_e32 v48, 64, v46
	;; [unrolled: 1-line block ×6, first 2 shown]
	v_mov_b32_e32 v1, v7
	v_mad_u64_u32 v[7:8], null, s64, v4, v[3:4]
	v_mad_u64_u32 v[3:4], null, s58, v5, 0
	s_waitcnt lgkmcnt(0)
	s_cmp_eq_u32 s0, 0
	v_or_b32_e32 v53, 0xe0, v46
	s_cselect_b32 s0, -1, 0
	s_lshl_b32 s86, s16, 5
	v_mov_b32_e32 v54, v7
	v_add_nc_u32_e32 v29, s86, v27
	v_mad_u64_u32 v[7:8], null, s64, v5, v[4:5]
	v_mad_u64_u32 v[4:5], null, s58, v6, 0
	v_add_nc_u32_e32 v17, s86, v15
	v_add_nc_u32_e32 v31, s86, v29
	v_mov_b32_e32 v30, v28
	v_mov_b32_e32 v32, v28
	;; [unrolled: 1-line block ×3, first 2 shown]
	v_mad_u64_u32 v[7:8], null, s58, v12, 0
	v_mad_u64_u32 v[21:22], null, s64, v6, v[5:6]
	;; [unrolled: 1-line block ×3, first 2 shown]
	v_add_nc_u32_e32 v19, s86, v17
	v_add_nc_u32_e32 v33, s86, v31
	v_mov_b32_e32 v34, v28
	v_mov_b32_e32 v36, v28
	;; [unrolled: 1-line block ×3, first 2 shown]
	v_add_nc_u32_e32 v21, s86, v19
	v_mad_u64_u32 v[23:24], null, s64, v11, v[6:7]
	v_mov_b32_e32 v6, v10
	v_add_nc_u32_e32 v35, s86, v33
	v_mad_u64_u32 v[24:25], null, s64, v12, v[8:9]
	v_mad_u64_u32 v[10:11], null, s58, v14, 0
	;; [unrolled: 1-line block ×3, first 2 shown]
	v_mov_b32_e32 v6, v23
	v_add_nc_u32_e32 v23, s86, v21
	v_add_nc_u32_e32 v37, s86, v35
	v_mov_b32_e32 v38, v28
	v_mov_b32_e32 v40, v28
	;; [unrolled: 1-line block ×3, first 2 shown]
	v_add_nc_u32_e32 v25, s86, v23
	v_add_nc_u32_e32 v39, s86, v37
	v_mov_b32_e32 v57, v12
	v_mad_u64_u32 v[11:12], null, s64, v14, v[11:12]
	v_add_nc_u32_e32 v44, s86, v25
	v_mov_b32_e32 v16, v28
	v_add_nc_u32_e32 v41, s86, v39
	v_mov_b32_e32 v18, v28
	v_mov_b32_e32 v20, v28
	;; [unrolled: 1-line block ×7, first 2 shown]
	v_add_nc_u32_e32 v59, s86, v44
	v_mov_b32_e32 v60, v28
	v_cmp_gt_i32_e32 vcc_lo, s16, v46
	v_cmp_gt_i32_e64 s11, s16, v47
	v_cmp_gt_i32_e64 s12, s16, v48
	;; [unrolled: 1-line block ×7, first 2 shown]
	v_mov_b32_e32 v58, v11
	v_lshlrev_b64 v[11:12], 2, v[15:16]
	v_lshlrev_b64 v[13:14], 2, v[17:18]
	;; [unrolled: 1-line block ×16, first 2 shown]
	v_lshlrev_b32_e32 v59, 2, v43
	s_and_b32 s35, s2, vcc_lo
	s_and_b32 s36, s2, s11
	s_and_b32 s37, s2, s12
	s_and_b32 s38, s2, s13
	s_and_b32 s39, s2, s14
	s_and_b32 s40, s2, s15
	s_and_b32 s41, s2, s4
	s_and_b32 s42, s2, s5
	s_and_b32 s43, s8, vcc_lo
	s_and_b32 s44, s8, s11
	s_and_b32 s45, s8, s12
	s_and_b32 s46, s8, s13
	s_and_b32 s47, s8, s14
	s_and_b32 s48, s8, s15
	s_and_b32 s49, s8, s4
	s_and_b32 s8, s8, s5
	;; [unrolled: 8-line block ×8, first 2 shown]
	s_mov_b64 s[2:3], s[18:19]
	s_branch .LBB25_21
.LBB25_20:                              ;   in Loop: Header=BB25_21 Depth=1
	s_or_b32 exec_lo, exec_lo, s9
	s_add_u32 s2, s2, 1
	s_addc_u32 s3, s3, 0
	v_cmp_ge_i64_e64 s9, s[2:3], s[20:21]
	s_and_b32 vcc_lo, exec_lo, s9
	s_cbranch_vccnz .LBB25_149
.LBB25_21:                              ; =>This Inner Loop Header: Depth=1
	s_lshl_b64 s[88:89], s[2:3], 2
	s_mul_hi_u32 s90, s2, s34
	s_add_u32 s88, s24, s88
	s_addc_u32 s89, s25, s89
	v_lshlrev_b32_e32 v62, 2, v46
	s_load_dword s9, s[88:89], 0x0
	s_mul_i32 s89, s3, s34
	s_mul_i32 s88, s2, s34
	s_waitcnt lgkmcnt(0)
	s_sub_i32 s91, s9, s33
	s_sub_u32 s9, s2, s18
	s_subb_u32 s87, s3, s19
	v_add_co_u32 v43, vcc_lo, v0, s9
	s_add_i32 s89, s90, s89
	v_add_co_ci_u32_e64 v45, null, s87, v1, vcc_lo
	v_mad_u64_u32 v[43:44], null, v43, s16, s[22:23]
	s_mul_i32 s90, s91, s16
	s_lshl_b64 s[88:89], s[88:89], 2
	s_add_i32 s90, s90, s17
	s_add_u32 s88, s28, s88
	s_addc_u32 s89, s29, s89
	v_add_co_u32 v60, s91, s88, v59
	v_mad_u64_u32 v[44:45], null, v45, s16, v[44:45]
	v_add_co_u32 v45, vcc_lo, s88, v11
	v_add_nc_u32_e32 v68, s90, v46
	v_add_co_ci_u32_e64 v61, null, s89, 0, s91
	v_add_co_ci_u32_e64 v71, null, s89, v12, vcc_lo
	s_and_saveexec_b32 s91, s35
	s_cbranch_execnz .LBB25_92
; %bb.22:                               ;   in Loop: Header=BB25_21 Depth=1
	s_or_b32 exec_lo, exec_lo, s91
	v_add_nc_u32_e32 v70, s90, v47
	s_and_saveexec_b32 s91, s36
	s_cbranch_execnz .LBB25_93
.LBB25_23:                              ;   in Loop: Header=BB25_21 Depth=1
	s_or_b32 exec_lo, exec_lo, s91
	v_add_nc_u32_e32 v69, s90, v48
	s_and_saveexec_b32 s91, s37
	s_cbranch_execnz .LBB25_94
.LBB25_24:                              ;   in Loop: Header=BB25_21 Depth=1
	s_or_b32 exec_lo, exec_lo, s91
	v_add_nc_u32_e32 v67, s90, v49
	s_and_saveexec_b32 s91, s38
	s_cbranch_execnz .LBB25_95
.LBB25_25:                              ;   in Loop: Header=BB25_21 Depth=1
	s_or_b32 exec_lo, exec_lo, s91
	v_add_nc_u32_e32 v66, s90, v50
	s_and_saveexec_b32 s91, s39
	s_cbranch_execnz .LBB25_96
.LBB25_26:                              ;   in Loop: Header=BB25_21 Depth=1
	s_or_b32 exec_lo, exec_lo, s91
	v_add_nc_u32_e32 v64, s90, v51
	s_and_saveexec_b32 s91, s40
	s_cbranch_execnz .LBB25_97
.LBB25_27:                              ;   in Loop: Header=BB25_21 Depth=1
	s_or_b32 exec_lo, exec_lo, s91
	v_add_nc_u32_e32 v63, s90, v52
	s_and_saveexec_b32 s91, s41
	s_cbranch_execnz .LBB25_98
.LBB25_28:                              ;   in Loop: Header=BB25_21 Depth=1
	s_or_b32 exec_lo, exec_lo, s91
	v_add_nc_u32_e32 v65, s90, v53
	s_and_saveexec_b32 s90, s42
	s_cbranch_execz .LBB25_30
.LBB25_29:                              ;   in Loop: Header=BB25_21 Depth=1
	v_add_co_u32 v45, vcc_lo, v45, v62
	v_add_co_ci_u32_e64 v71, null, 0, v71, vcc_lo
	v_add_co_u32 v45, vcc_lo, 0x380, v45
	v_add_co_ci_u32_e64 v71, null, 0, v71, vcc_lo
	;; [unrolled: 2-line block ×4, first 2 shown]
	v_cndmask_b32_e64 v72, v72, v71, s0
	v_cndmask_b32_e64 v71, v73, v45, s0
	v_lshlrev_b64 v[43:44], 2, v[43:44]
	global_load_dword v45, v[71:72], off
	v_add_co_u32 v71, vcc_lo, s30, v43
	v_add_co_ci_u32_e64 v72, null, s31, v44, vcc_lo
	v_add_co_u32 v43, vcc_lo, s26, v43
	v_add_co_ci_u32_e64 v44, null, s27, v44, vcc_lo
	global_store_dword v[71:72], v65, off offset:896
	s_waitcnt vmcnt(0)
	global_store_dword v[43:44], v45, off offset:896
.LBB25_30:                              ;   in Loop: Header=BB25_21 Depth=1
	s_or_b32 exec_lo, exec_lo, s90
	v_add_co_u32 v43, vcc_lo, v2, s9
	v_add_co_ci_u32_e64 v45, null, s87, v54, vcc_lo
	v_mad_u64_u32 v[43:44], null, v43, s16, s[22:23]
	v_mad_u64_u32 v[44:45], null, v45, s16, v[44:45]
	v_add_co_u32 v45, vcc_lo, s88, v13
	v_add_co_ci_u32_e64 v71, null, s89, v14, vcc_lo
	s_and_saveexec_b32 s90, s43
	s_cbranch_execnz .LBB25_99
; %bb.31:                               ;   in Loop: Header=BB25_21 Depth=1
	s_or_b32 exec_lo, exec_lo, s90
	s_and_saveexec_b32 s90, s44
	s_cbranch_execnz .LBB25_100
.LBB25_32:                              ;   in Loop: Header=BB25_21 Depth=1
	s_or_b32 exec_lo, exec_lo, s90
	s_and_saveexec_b32 s90, s45
	s_cbranch_execnz .LBB25_101
.LBB25_33:                              ;   in Loop: Header=BB25_21 Depth=1
	s_or_b32 exec_lo, exec_lo, s90
	s_and_saveexec_b32 s90, s46
	s_cbranch_execnz .LBB25_102
.LBB25_34:                              ;   in Loop: Header=BB25_21 Depth=1
	s_or_b32 exec_lo, exec_lo, s90
	s_and_saveexec_b32 s90, s47
	s_cbranch_execnz .LBB25_103
.LBB25_35:                              ;   in Loop: Header=BB25_21 Depth=1
	s_or_b32 exec_lo, exec_lo, s90
	s_and_saveexec_b32 s90, s48
	s_cbranch_execnz .LBB25_104
.LBB25_36:                              ;   in Loop: Header=BB25_21 Depth=1
	s_or_b32 exec_lo, exec_lo, s90
	s_and_saveexec_b32 s90, s49
	s_cbranch_execnz .LBB25_105
.LBB25_37:                              ;   in Loop: Header=BB25_21 Depth=1
	s_or_b32 exec_lo, exec_lo, s90
	s_and_saveexec_b32 s90, s8
	s_cbranch_execz .LBB25_39
.LBB25_38:                              ;   in Loop: Header=BB25_21 Depth=1
	v_add_co_u32 v45, vcc_lo, v45, v62
	v_add_co_ci_u32_e64 v71, null, 0, v71, vcc_lo
	v_add_co_u32 v72, vcc_lo, v60, v41
	v_add_co_ci_u32_e64 v73, null, v61, v42, vcc_lo
	;; [unrolled: 2-line block ×5, first 2 shown]
	v_cndmask_b32_e64 v72, v72, v71, s0
	v_cndmask_b32_e64 v71, v74, v45, s0
	v_lshlrev_b64 v[43:44], 2, v[43:44]
	global_load_dword v45, v[71:72], off
	v_add_co_u32 v71, vcc_lo, s30, v43
	v_add_co_ci_u32_e64 v72, null, s31, v44, vcc_lo
	v_add_co_u32 v43, vcc_lo, s26, v43
	v_add_co_ci_u32_e64 v44, null, s27, v44, vcc_lo
	global_store_dword v[71:72], v65, off offset:896
	s_waitcnt vmcnt(0)
	global_store_dword v[43:44], v45, off offset:896
.LBB25_39:                              ;   in Loop: Header=BB25_21 Depth=1
	s_or_b32 exec_lo, exec_lo, s90
	v_add_co_u32 v43, vcc_lo, v3, s9
	v_add_co_ci_u32_e64 v45, null, s87, v55, vcc_lo
	v_mad_u64_u32 v[43:44], null, v43, s16, s[22:23]
	v_mad_u64_u32 v[44:45], null, v45, s16, v[44:45]
	v_add_co_u32 v45, vcc_lo, s88, v15
	v_add_co_ci_u32_e64 v71, null, s89, v16, vcc_lo
	s_and_saveexec_b32 s90, s50
	s_cbranch_execnz .LBB25_106
; %bb.40:                               ;   in Loop: Header=BB25_21 Depth=1
	s_or_b32 exec_lo, exec_lo, s90
	s_and_saveexec_b32 s90, s51
	s_cbranch_execnz .LBB25_107
.LBB25_41:                              ;   in Loop: Header=BB25_21 Depth=1
	s_or_b32 exec_lo, exec_lo, s90
	s_and_saveexec_b32 s90, s52
	s_cbranch_execnz .LBB25_108
.LBB25_42:                              ;   in Loop: Header=BB25_21 Depth=1
	s_or_b32 exec_lo, exec_lo, s90
	s_and_saveexec_b32 s90, s53
	s_cbranch_execnz .LBB25_109
.LBB25_43:                              ;   in Loop: Header=BB25_21 Depth=1
	s_or_b32 exec_lo, exec_lo, s90
	s_and_saveexec_b32 s90, s54
	s_cbranch_execnz .LBB25_110
.LBB25_44:                              ;   in Loop: Header=BB25_21 Depth=1
	s_or_b32 exec_lo, exec_lo, s90
	s_and_saveexec_b32 s90, s55
	s_cbranch_execnz .LBB25_111
.LBB25_45:                              ;   in Loop: Header=BB25_21 Depth=1
	s_or_b32 exec_lo, exec_lo, s90
	s_and_saveexec_b32 s90, s56
	s_cbranch_execnz .LBB25_112
.LBB25_46:                              ;   in Loop: Header=BB25_21 Depth=1
	s_or_b32 exec_lo, exec_lo, s90
	s_and_saveexec_b32 s90, s6
	s_cbranch_execz .LBB25_48
.LBB25_47:                              ;   in Loop: Header=BB25_21 Depth=1
	v_add_co_u32 v45, vcc_lo, v45, v62
	v_add_co_ci_u32_e64 v71, null, 0, v71, vcc_lo
	v_add_co_u32 v72, vcc_lo, v60, v41
	v_add_co_ci_u32_e64 v73, null, v61, v42, vcc_lo
	;; [unrolled: 2-line block ×5, first 2 shown]
	v_cndmask_b32_e64 v72, v72, v71, s0
	v_cndmask_b32_e64 v71, v74, v45, s0
	v_lshlrev_b64 v[43:44], 2, v[43:44]
	global_load_dword v45, v[71:72], off
	v_add_co_u32 v71, vcc_lo, s30, v43
	v_add_co_ci_u32_e64 v72, null, s31, v44, vcc_lo
	v_add_co_u32 v43, vcc_lo, s26, v43
	v_add_co_ci_u32_e64 v44, null, s27, v44, vcc_lo
	global_store_dword v[71:72], v65, off offset:896
	s_waitcnt vmcnt(0)
	global_store_dword v[43:44], v45, off offset:896
.LBB25_48:                              ;   in Loop: Header=BB25_21 Depth=1
	s_or_b32 exec_lo, exec_lo, s90
	v_add_co_u32 v43, vcc_lo, v4, s9
	v_add_co_ci_u32_e64 v45, null, s87, v56, vcc_lo
	v_mad_u64_u32 v[43:44], null, v43, s16, s[22:23]
	v_mad_u64_u32 v[44:45], null, v45, s16, v[44:45]
	v_add_co_u32 v45, vcc_lo, s88, v17
	v_add_co_ci_u32_e64 v71, null, s89, v18, vcc_lo
	s_and_saveexec_b32 s90, s57
	s_cbranch_execnz .LBB25_113
; %bb.49:                               ;   in Loop: Header=BB25_21 Depth=1
	s_or_b32 exec_lo, exec_lo, s90
	s_and_saveexec_b32 s90, s58
	s_cbranch_execnz .LBB25_114
.LBB25_50:                              ;   in Loop: Header=BB25_21 Depth=1
	s_or_b32 exec_lo, exec_lo, s90
	s_and_saveexec_b32 s90, s59
	s_cbranch_execnz .LBB25_115
.LBB25_51:                              ;   in Loop: Header=BB25_21 Depth=1
	s_or_b32 exec_lo, exec_lo, s90
	s_and_saveexec_b32 s90, s60
	s_cbranch_execnz .LBB25_116
.LBB25_52:                              ;   in Loop: Header=BB25_21 Depth=1
	s_or_b32 exec_lo, exec_lo, s90
	s_and_saveexec_b32 s90, s61
	s_cbranch_execnz .LBB25_117
.LBB25_53:                              ;   in Loop: Header=BB25_21 Depth=1
	s_or_b32 exec_lo, exec_lo, s90
	s_and_saveexec_b32 s90, s62
	s_cbranch_execnz .LBB25_118
.LBB25_54:                              ;   in Loop: Header=BB25_21 Depth=1
	s_or_b32 exec_lo, exec_lo, s90
	s_and_saveexec_b32 s90, s63
	s_cbranch_execnz .LBB25_119
.LBB25_55:                              ;   in Loop: Header=BB25_21 Depth=1
	s_or_b32 exec_lo, exec_lo, s90
	s_and_saveexec_b32 s90, s1
	s_cbranch_execz .LBB25_57
.LBB25_56:                              ;   in Loop: Header=BB25_21 Depth=1
	v_add_co_u32 v45, vcc_lo, v45, v62
	v_add_co_ci_u32_e64 v71, null, 0, v71, vcc_lo
	v_add_co_u32 v72, vcc_lo, v60, v41
	v_add_co_ci_u32_e64 v73, null, v61, v42, vcc_lo
	;; [unrolled: 2-line block ×5, first 2 shown]
	v_cndmask_b32_e64 v72, v72, v71, s0
	v_cndmask_b32_e64 v71, v74, v45, s0
	v_lshlrev_b64 v[43:44], 2, v[43:44]
	global_load_dword v45, v[71:72], off
	v_add_co_u32 v71, vcc_lo, s30, v43
	v_add_co_ci_u32_e64 v72, null, s31, v44, vcc_lo
	v_add_co_u32 v43, vcc_lo, s26, v43
	v_add_co_ci_u32_e64 v44, null, s27, v44, vcc_lo
	global_store_dword v[71:72], v65, off offset:896
	s_waitcnt vmcnt(0)
	global_store_dword v[43:44], v45, off offset:896
.LBB25_57:                              ;   in Loop: Header=BB25_21 Depth=1
	s_or_b32 exec_lo, exec_lo, s90
	v_add_co_u32 v43, vcc_lo, v5, s9
	v_add_co_ci_u32_e64 v45, null, s87, v6, vcc_lo
	v_mad_u64_u32 v[43:44], null, v43, s16, s[22:23]
	v_mad_u64_u32 v[44:45], null, v45, s16, v[44:45]
	v_add_co_u32 v45, vcc_lo, s88, v19
	v_add_co_ci_u32_e64 v71, null, s89, v20, vcc_lo
	s_and_saveexec_b32 s90, s64
	s_cbranch_execnz .LBB25_120
; %bb.58:                               ;   in Loop: Header=BB25_21 Depth=1
	s_or_b32 exec_lo, exec_lo, s90
	s_and_saveexec_b32 s90, s65
	s_cbranch_execnz .LBB25_121
.LBB25_59:                              ;   in Loop: Header=BB25_21 Depth=1
	s_or_b32 exec_lo, exec_lo, s90
	s_and_saveexec_b32 s90, s66
	s_cbranch_execnz .LBB25_122
.LBB25_60:                              ;   in Loop: Header=BB25_21 Depth=1
	s_or_b32 exec_lo, exec_lo, s90
	s_and_saveexec_b32 s90, s67
	s_cbranch_execnz .LBB25_123
.LBB25_61:                              ;   in Loop: Header=BB25_21 Depth=1
	s_or_b32 exec_lo, exec_lo, s90
	s_and_saveexec_b32 s90, s68
	s_cbranch_execnz .LBB25_124
.LBB25_62:                              ;   in Loop: Header=BB25_21 Depth=1
	s_or_b32 exec_lo, exec_lo, s90
	s_and_saveexec_b32 s90, s69
	s_cbranch_execnz .LBB25_125
.LBB25_63:                              ;   in Loop: Header=BB25_21 Depth=1
	s_or_b32 exec_lo, exec_lo, s90
	s_and_saveexec_b32 s90, s70
	s_cbranch_execnz .LBB25_126
.LBB25_64:                              ;   in Loop: Header=BB25_21 Depth=1
	s_or_b32 exec_lo, exec_lo, s90
	s_and_saveexec_b32 s90, s71
	s_cbranch_execz .LBB25_66
.LBB25_65:                              ;   in Loop: Header=BB25_21 Depth=1
	v_add_co_u32 v45, vcc_lo, v45, v62
	v_add_co_ci_u32_e64 v71, null, 0, v71, vcc_lo
	v_add_co_u32 v72, vcc_lo, v60, v41
	v_add_co_ci_u32_e64 v73, null, v61, v42, vcc_lo
	;; [unrolled: 2-line block ×5, first 2 shown]
	v_cndmask_b32_e64 v72, v72, v71, s0
	v_cndmask_b32_e64 v71, v74, v45, s0
	v_lshlrev_b64 v[43:44], 2, v[43:44]
	global_load_dword v45, v[71:72], off
	v_add_co_u32 v71, vcc_lo, s30, v43
	v_add_co_ci_u32_e64 v72, null, s31, v44, vcc_lo
	v_add_co_u32 v43, vcc_lo, s26, v43
	v_add_co_ci_u32_e64 v44, null, s27, v44, vcc_lo
	global_store_dword v[71:72], v65, off offset:896
	s_waitcnt vmcnt(0)
	global_store_dword v[43:44], v45, off offset:896
.LBB25_66:                              ;   in Loop: Header=BB25_21 Depth=1
	s_or_b32 exec_lo, exec_lo, s90
	v_add_co_u32 v43, vcc_lo, v7, s9
	v_add_co_ci_u32_e64 v45, null, s87, v8, vcc_lo
	v_mad_u64_u32 v[43:44], null, v43, s16, s[22:23]
	v_mad_u64_u32 v[44:45], null, v45, s16, v[44:45]
	v_add_co_u32 v45, vcc_lo, s88, v21
	v_add_co_ci_u32_e64 v71, null, s89, v22, vcc_lo
	s_and_saveexec_b32 s90, s72
	s_cbranch_execnz .LBB25_127
; %bb.67:                               ;   in Loop: Header=BB25_21 Depth=1
	s_or_b32 exec_lo, exec_lo, s90
	s_and_saveexec_b32 s90, s73
	s_cbranch_execnz .LBB25_128
.LBB25_68:                              ;   in Loop: Header=BB25_21 Depth=1
	s_or_b32 exec_lo, exec_lo, s90
	s_and_saveexec_b32 s90, s74
	s_cbranch_execnz .LBB25_129
.LBB25_69:                              ;   in Loop: Header=BB25_21 Depth=1
	s_or_b32 exec_lo, exec_lo, s90
	s_and_saveexec_b32 s90, s75
	s_cbranch_execnz .LBB25_130
.LBB25_70:                              ;   in Loop: Header=BB25_21 Depth=1
	s_or_b32 exec_lo, exec_lo, s90
	s_and_saveexec_b32 s90, s76
	s_cbranch_execnz .LBB25_131
.LBB25_71:                              ;   in Loop: Header=BB25_21 Depth=1
	s_or_b32 exec_lo, exec_lo, s90
	s_and_saveexec_b32 s90, s77
	s_cbranch_execnz .LBB25_132
.LBB25_72:                              ;   in Loop: Header=BB25_21 Depth=1
	s_or_b32 exec_lo, exec_lo, s90
	s_and_saveexec_b32 s90, s78
	s_cbranch_execnz .LBB25_133
.LBB25_73:                              ;   in Loop: Header=BB25_21 Depth=1
	s_or_b32 exec_lo, exec_lo, s90
	s_and_saveexec_b32 s90, s7
	s_cbranch_execz .LBB25_75
.LBB25_74:                              ;   in Loop: Header=BB25_21 Depth=1
	v_add_co_u32 v45, vcc_lo, v45, v62
	v_add_co_ci_u32_e64 v71, null, 0, v71, vcc_lo
	v_add_co_u32 v72, vcc_lo, v60, v41
	v_add_co_ci_u32_e64 v73, null, v61, v42, vcc_lo
	;; [unrolled: 2-line block ×5, first 2 shown]
	v_cndmask_b32_e64 v72, v72, v71, s0
	v_cndmask_b32_e64 v71, v74, v45, s0
	v_lshlrev_b64 v[43:44], 2, v[43:44]
	global_load_dword v45, v[71:72], off
	v_add_co_u32 v71, vcc_lo, s30, v43
	v_add_co_ci_u32_e64 v72, null, s31, v44, vcc_lo
	v_add_co_u32 v43, vcc_lo, s26, v43
	v_add_co_ci_u32_e64 v44, null, s27, v44, vcc_lo
	global_store_dword v[71:72], v65, off offset:896
	s_waitcnt vmcnt(0)
	global_store_dword v[43:44], v45, off offset:896
.LBB25_75:                              ;   in Loop: Header=BB25_21 Depth=1
	s_or_b32 exec_lo, exec_lo, s90
	v_add_co_u32 v43, vcc_lo, v9, s9
	v_add_co_ci_u32_e64 v45, null, s87, v57, vcc_lo
	v_mad_u64_u32 v[43:44], null, v43, s16, s[22:23]
	v_mad_u64_u32 v[44:45], null, v45, s16, v[44:45]
	v_add_co_u32 v45, vcc_lo, s88, v23
	v_add_co_ci_u32_e64 v71, null, s89, v24, vcc_lo
	s_and_saveexec_b32 s90, s79
	s_cbranch_execnz .LBB25_134
; %bb.76:                               ;   in Loop: Header=BB25_21 Depth=1
	s_or_b32 exec_lo, exec_lo, s90
	s_and_saveexec_b32 s90, s80
	s_cbranch_execnz .LBB25_135
.LBB25_77:                              ;   in Loop: Header=BB25_21 Depth=1
	s_or_b32 exec_lo, exec_lo, s90
	s_and_saveexec_b32 s90, s81
	s_cbranch_execnz .LBB25_136
.LBB25_78:                              ;   in Loop: Header=BB25_21 Depth=1
	s_or_b32 exec_lo, exec_lo, s90
	s_and_saveexec_b32 s90, s82
	s_cbranch_execnz .LBB25_137
.LBB25_79:                              ;   in Loop: Header=BB25_21 Depth=1
	s_or_b32 exec_lo, exec_lo, s90
	s_and_saveexec_b32 s90, s83
	s_cbranch_execnz .LBB25_138
.LBB25_80:                              ;   in Loop: Header=BB25_21 Depth=1
	s_or_b32 exec_lo, exec_lo, s90
	s_and_saveexec_b32 s90, s84
	s_cbranch_execnz .LBB25_139
.LBB25_81:                              ;   in Loop: Header=BB25_21 Depth=1
	s_or_b32 exec_lo, exec_lo, s90
	s_and_saveexec_b32 s90, s85
	s_cbranch_execnz .LBB25_140
.LBB25_82:                              ;   in Loop: Header=BB25_21 Depth=1
	s_or_b32 exec_lo, exec_lo, s90
	s_and_saveexec_b32 s90, s10
	s_cbranch_execz .LBB25_84
.LBB25_83:                              ;   in Loop: Header=BB25_21 Depth=1
	v_add_co_u32 v45, vcc_lo, v45, v62
	v_add_co_ci_u32_e64 v71, null, 0, v71, vcc_lo
	v_add_co_u32 v72, vcc_lo, v60, v41
	v_add_co_ci_u32_e64 v73, null, v61, v42, vcc_lo
	;; [unrolled: 2-line block ×5, first 2 shown]
	v_cndmask_b32_e64 v72, v72, v71, s0
	v_cndmask_b32_e64 v71, v74, v45, s0
	v_lshlrev_b64 v[43:44], 2, v[43:44]
	global_load_dword v45, v[71:72], off
	v_add_co_u32 v71, vcc_lo, s30, v43
	v_add_co_ci_u32_e64 v72, null, s31, v44, vcc_lo
	v_add_co_u32 v43, vcc_lo, s26, v43
	v_add_co_ci_u32_e64 v44, null, s27, v44, vcc_lo
	global_store_dword v[71:72], v65, off offset:896
	s_waitcnt vmcnt(0)
	global_store_dword v[43:44], v45, off offset:896
.LBB25_84:                              ;   in Loop: Header=BB25_21 Depth=1
	s_or_b32 exec_lo, exec_lo, s90
	v_add_co_u32 v43, vcc_lo, v10, s9
	v_add_co_ci_u32_e64 v45, null, s87, v58, vcc_lo
	v_mad_u64_u32 v[43:44], null, v43, s16, s[22:23]
	v_mad_u64_u32 v[44:45], null, v45, s16, v[44:45]
	v_add_co_u32 v45, vcc_lo, s88, v25
	v_add_co_ci_u32_e64 v71, null, s89, v26, vcc_lo
	s_and_saveexec_b32 s9, s86
	s_cbranch_execnz .LBB25_141
; %bb.85:                               ;   in Loop: Header=BB25_21 Depth=1
	s_or_b32 exec_lo, exec_lo, s9
	s_and_saveexec_b32 s9, s11
	s_cbranch_execnz .LBB25_142
.LBB25_86:                              ;   in Loop: Header=BB25_21 Depth=1
	s_or_b32 exec_lo, exec_lo, s9
	s_and_saveexec_b32 s9, s12
	s_cbranch_execnz .LBB25_143
.LBB25_87:                              ;   in Loop: Header=BB25_21 Depth=1
	s_or_b32 exec_lo, exec_lo, s9
	s_and_saveexec_b32 s9, s13
	s_cbranch_execnz .LBB25_144
.LBB25_88:                              ;   in Loop: Header=BB25_21 Depth=1
	s_or_b32 exec_lo, exec_lo, s9
	s_and_saveexec_b32 s9, s14
	s_cbranch_execnz .LBB25_145
.LBB25_89:                              ;   in Loop: Header=BB25_21 Depth=1
	s_or_b32 exec_lo, exec_lo, s9
	s_and_saveexec_b32 s9, s15
	s_cbranch_execnz .LBB25_146
.LBB25_90:                              ;   in Loop: Header=BB25_21 Depth=1
	s_or_b32 exec_lo, exec_lo, s9
	s_and_saveexec_b32 s9, s4
	s_cbranch_execnz .LBB25_147
.LBB25_91:                              ;   in Loop: Header=BB25_21 Depth=1
	s_or_b32 exec_lo, exec_lo, s9
	s_and_saveexec_b32 s9, s5
	s_cbranch_execz .LBB25_20
	s_branch .LBB25_148
.LBB25_92:                              ;   in Loop: Header=BB25_21 Depth=1
	v_add_co_u32 v63, vcc_lo, v45, v62
	v_add_co_ci_u32_e64 v64, null, 0, v71, vcc_lo
	v_add_co_u32 v65, vcc_lo, v60, v27
	v_add_co_ci_u32_e64 v66, null, v61, v28, vcc_lo
	v_cndmask_b32_e64 v63, v65, v63, s0
	v_cndmask_b32_e64 v64, v66, v64, s0
	global_load_dword v67, v[63:64], off
	v_add_co_u32 v63, vcc_lo, v43, v46
	v_add_co_ci_u32_e64 v64, null, 0, v44, vcc_lo
	v_lshlrev_b64 v[63:64], 2, v[63:64]
	v_add_co_u32 v65, vcc_lo, s30, v63
	v_add_co_ci_u32_e64 v66, null, s31, v64, vcc_lo
	v_add_co_u32 v63, vcc_lo, s26, v63
	v_add_co_ci_u32_e64 v64, null, s27, v64, vcc_lo
	global_store_dword v[65:66], v68, off
	s_waitcnt vmcnt(0)
	global_store_dword v[63:64], v67, off
	s_or_b32 exec_lo, exec_lo, s91
	v_add_nc_u32_e32 v70, s90, v47
	s_and_saveexec_b32 s91, s36
	s_cbranch_execz .LBB25_23
.LBB25_93:                              ;   in Loop: Header=BB25_21 Depth=1
	v_add_co_u32 v63, vcc_lo, v45, v62
	v_add_co_ci_u32_e64 v64, null, 0, v71, vcc_lo
	v_add_co_u32 v63, vcc_lo, 0x80, v63
	v_add_co_ci_u32_e64 v64, null, 0, v64, vcc_lo
	;; [unrolled: 2-line block ×3, first 2 shown]
	v_cndmask_b32_e64 v63, v65, v63, s0
	v_cndmask_b32_e64 v64, v66, v64, s0
	global_load_dword v67, v[63:64], off
	v_add_co_u32 v63, vcc_lo, v43, v46
	v_add_co_ci_u32_e64 v64, null, 0, v44, vcc_lo
	v_lshlrev_b64 v[63:64], 2, v[63:64]
	v_add_co_u32 v65, vcc_lo, s30, v63
	v_add_co_ci_u32_e64 v66, null, s31, v64, vcc_lo
	v_add_co_u32 v63, vcc_lo, s26, v63
	v_add_co_ci_u32_e64 v64, null, s27, v64, vcc_lo
	global_store_dword v[65:66], v70, off offset:128
	s_waitcnt vmcnt(0)
	global_store_dword v[63:64], v67, off offset:128
	s_or_b32 exec_lo, exec_lo, s91
	v_add_nc_u32_e32 v69, s90, v48
	s_and_saveexec_b32 s91, s37
	s_cbranch_execz .LBB25_24
.LBB25_94:                              ;   in Loop: Header=BB25_21 Depth=1
	v_add_co_u32 v63, vcc_lo, v45, v62
	v_add_co_ci_u32_e64 v64, null, 0, v71, vcc_lo
	v_add_co_u32 v63, vcc_lo, 0x100, v63
	v_add_co_ci_u32_e64 v64, null, 0, v64, vcc_lo
	v_add_co_u32 v65, vcc_lo, v60, v31
	v_add_co_ci_u32_e64 v66, null, v61, v32, vcc_lo
	v_cndmask_b32_e64 v63, v65, v63, s0
	v_cndmask_b32_e64 v64, v66, v64, s0
	global_load_dword v67, v[63:64], off
	v_add_co_u32 v63, vcc_lo, v43, v46
	v_add_co_ci_u32_e64 v64, null, 0, v44, vcc_lo
	v_lshlrev_b64 v[63:64], 2, v[63:64]
	v_add_co_u32 v65, vcc_lo, s30, v63
	v_add_co_ci_u32_e64 v66, null, s31, v64, vcc_lo
	v_add_co_u32 v63, vcc_lo, s26, v63
	v_add_co_ci_u32_e64 v64, null, s27, v64, vcc_lo
	global_store_dword v[65:66], v69, off offset:256
	s_waitcnt vmcnt(0)
	global_store_dword v[63:64], v67, off offset:256
	s_or_b32 exec_lo, exec_lo, s91
	v_add_nc_u32_e32 v67, s90, v49
	s_and_saveexec_b32 s91, s38
	s_cbranch_execz .LBB25_25
.LBB25_95:                              ;   in Loop: Header=BB25_21 Depth=1
	v_add_co_u32 v63, vcc_lo, v45, v62
	v_add_co_ci_u32_e64 v64, null, 0, v71, vcc_lo
	v_add_co_u32 v63, vcc_lo, 0x180, v63
	v_add_co_ci_u32_e64 v64, null, 0, v64, vcc_lo
	;; [unrolled: 2-line block ×3, first 2 shown]
	v_cndmask_b32_e64 v63, v65, v63, s0
	v_cndmask_b32_e64 v64, v66, v64, s0
	global_load_dword v72, v[63:64], off
	v_add_co_u32 v63, vcc_lo, v43, v46
	v_add_co_ci_u32_e64 v64, null, 0, v44, vcc_lo
	v_lshlrev_b64 v[63:64], 2, v[63:64]
	v_add_co_u32 v65, vcc_lo, s30, v63
	v_add_co_ci_u32_e64 v66, null, s31, v64, vcc_lo
	v_add_co_u32 v63, vcc_lo, s26, v63
	v_add_co_ci_u32_e64 v64, null, s27, v64, vcc_lo
	global_store_dword v[65:66], v67, off offset:384
	s_waitcnt vmcnt(0)
	global_store_dword v[63:64], v72, off offset:384
	s_or_b32 exec_lo, exec_lo, s91
	v_add_nc_u32_e32 v66, s90, v50
	s_and_saveexec_b32 s91, s39
	s_cbranch_execz .LBB25_26
.LBB25_96:                              ;   in Loop: Header=BB25_21 Depth=1
	v_add_co_u32 v63, vcc_lo, v45, v62
	v_add_co_ci_u32_e64 v64, null, 0, v71, vcc_lo
	v_add_co_u32 v63, vcc_lo, 0x200, v63
	v_add_co_ci_u32_e64 v64, null, 0, v64, vcc_lo
	v_add_co_u32 v65, vcc_lo, v60, v35
	v_add_co_ci_u32_e64 v72, null, v61, v36, vcc_lo
	v_cndmask_b32_e64 v63, v65, v63, s0
	v_cndmask_b32_e64 v64, v72, v64, s0
	global_load_dword v65, v[63:64], off
	v_add_co_u32 v63, vcc_lo, v43, v46
	v_add_co_ci_u32_e64 v64, null, 0, v44, vcc_lo
	v_lshlrev_b64 v[63:64], 2, v[63:64]
	v_add_co_u32 v72, vcc_lo, s30, v63
	v_add_co_ci_u32_e64 v73, null, s31, v64, vcc_lo
	v_add_co_u32 v63, vcc_lo, s26, v63
	v_add_co_ci_u32_e64 v64, null, s27, v64, vcc_lo
	global_store_dword v[72:73], v66, off offset:512
	s_waitcnt vmcnt(0)
	global_store_dword v[63:64], v65, off offset:512
	s_or_b32 exec_lo, exec_lo, s91
	v_add_nc_u32_e32 v64, s90, v51
	s_and_saveexec_b32 s91, s40
	s_cbranch_execz .LBB25_27
.LBB25_97:                              ;   in Loop: Header=BB25_21 Depth=1
	v_add_co_u32 v63, vcc_lo, v45, v62
	v_add_co_ci_u32_e64 v65, null, 0, v71, vcc_lo
	v_add_co_u32 v63, vcc_lo, 0x280, v63
	v_add_co_ci_u32_e64 v65, null, 0, v65, vcc_lo
	;; [unrolled: 2-line block ×3, first 2 shown]
	v_cndmask_b32_e64 v72, v72, v63, s0
	v_cndmask_b32_e64 v73, v73, v65, s0
	global_load_dword v63, v[72:73], off
	v_add_co_u32 v72, vcc_lo, v43, v46
	v_add_co_ci_u32_e64 v73, null, 0, v44, vcc_lo
	v_lshlrev_b64 v[72:73], 2, v[72:73]
	v_add_co_u32 v74, vcc_lo, s30, v72
	v_add_co_ci_u32_e64 v75, null, s31, v73, vcc_lo
	v_add_co_u32 v72, vcc_lo, s26, v72
	v_add_co_ci_u32_e64 v73, null, s27, v73, vcc_lo
	global_store_dword v[74:75], v64, off offset:640
	s_waitcnt vmcnt(0)
	global_store_dword v[72:73], v63, off offset:640
	s_or_b32 exec_lo, exec_lo, s91
	v_add_nc_u32_e32 v63, s90, v52
	s_and_saveexec_b32 s91, s41
	s_cbranch_execz .LBB25_28
.LBB25_98:                              ;   in Loop: Header=BB25_21 Depth=1
	v_add_co_u32 v65, vcc_lo, v45, v62
	v_add_co_ci_u32_e64 v72, null, 0, v71, vcc_lo
	v_add_co_u32 v65, vcc_lo, 0x300, v65
	v_add_co_ci_u32_e64 v72, null, 0, v72, vcc_lo
	;; [unrolled: 2-line block ×3, first 2 shown]
	v_cndmask_b32_e64 v73, v73, v72, s0
	v_cndmask_b32_e64 v72, v74, v65, s0
	global_load_dword v65, v[72:73], off
	v_add_co_u32 v72, vcc_lo, v43, v46
	v_add_co_ci_u32_e64 v73, null, 0, v44, vcc_lo
	v_lshlrev_b64 v[72:73], 2, v[72:73]
	v_add_co_u32 v74, vcc_lo, s30, v72
	v_add_co_ci_u32_e64 v75, null, s31, v73, vcc_lo
	v_add_co_u32 v72, vcc_lo, s26, v72
	v_add_co_ci_u32_e64 v73, null, s27, v73, vcc_lo
	global_store_dword v[74:75], v63, off offset:768
	s_waitcnt vmcnt(0)
	global_store_dword v[72:73], v65, off offset:768
	s_or_b32 exec_lo, exec_lo, s91
	v_add_nc_u32_e32 v65, s90, v53
	s_and_saveexec_b32 s90, s42
	s_cbranch_execnz .LBB25_29
	s_branch .LBB25_30
.LBB25_99:                              ;   in Loop: Header=BB25_21 Depth=1
	v_add_co_u32 v72, vcc_lo, v60, v27
	v_add_co_ci_u32_e64 v73, null, v61, v28, vcc_lo
	v_add_co_u32 v74, vcc_lo, v45, v62
	v_add_co_ci_u32_e64 v75, null, 0, v71, vcc_lo
	v_add_co_u32 v72, vcc_lo, 0x80, v72
	v_add_co_ci_u32_e64 v73, null, 0, v73, vcc_lo
	v_cndmask_b32_e64 v72, v72, v74, s0
	v_cndmask_b32_e64 v73, v73, v75, s0
	global_load_dword v76, v[72:73], off
	v_add_co_u32 v72, vcc_lo, v43, v46
	v_add_co_ci_u32_e64 v73, null, 0, v44, vcc_lo
	v_lshlrev_b64 v[72:73], 2, v[72:73]
	v_add_co_u32 v74, vcc_lo, s30, v72
	v_add_co_ci_u32_e64 v75, null, s31, v73, vcc_lo
	v_add_co_u32 v72, vcc_lo, s26, v72
	v_add_co_ci_u32_e64 v73, null, s27, v73, vcc_lo
	global_store_dword v[74:75], v68, off
	s_waitcnt vmcnt(0)
	global_store_dword v[72:73], v76, off
	s_or_b32 exec_lo, exec_lo, s90
	s_and_saveexec_b32 s90, s44
	s_cbranch_execz .LBB25_32
.LBB25_100:                             ;   in Loop: Header=BB25_21 Depth=1
	v_add_co_u32 v72, vcc_lo, v45, v62
	v_add_co_ci_u32_e64 v73, null, 0, v71, vcc_lo
	v_add_co_u32 v74, vcc_lo, v60, v29
	v_add_co_ci_u32_e64 v75, null, v61, v30, vcc_lo
	v_cndmask_b32_e64 v72, v74, v72, s0
	v_cndmask_b32_e64 v73, v75, v73, s0
	global_load_dword v76, v[72:73], off offset:128
	v_add_co_u32 v72, vcc_lo, v43, v46
	v_add_co_ci_u32_e64 v73, null, 0, v44, vcc_lo
	v_lshlrev_b64 v[72:73], 2, v[72:73]
	v_add_co_u32 v74, vcc_lo, s30, v72
	v_add_co_ci_u32_e64 v75, null, s31, v73, vcc_lo
	v_add_co_u32 v72, vcc_lo, s26, v72
	v_add_co_ci_u32_e64 v73, null, s27, v73, vcc_lo
	global_store_dword v[74:75], v70, off offset:128
	s_waitcnt vmcnt(0)
	global_store_dword v[72:73], v76, off offset:128
	s_or_b32 exec_lo, exec_lo, s90
	s_and_saveexec_b32 s90, s45
	s_cbranch_execz .LBB25_33
.LBB25_101:                             ;   in Loop: Header=BB25_21 Depth=1
	v_add_co_u32 v72, vcc_lo, v45, v62
	v_add_co_ci_u32_e64 v73, null, 0, v71, vcc_lo
	v_add_co_u32 v74, vcc_lo, v60, v31
	v_add_co_ci_u32_e64 v75, null, v61, v32, vcc_lo
	;; [unrolled: 2-line block ×4, first 2 shown]
	v_cndmask_b32_e64 v72, v74, v72, s0
	v_cndmask_b32_e64 v73, v75, v73, s0
	global_load_dword v76, v[72:73], off
	v_add_co_u32 v72, vcc_lo, v43, v46
	v_add_co_ci_u32_e64 v73, null, 0, v44, vcc_lo
	v_lshlrev_b64 v[72:73], 2, v[72:73]
	v_add_co_u32 v74, vcc_lo, s30, v72
	v_add_co_ci_u32_e64 v75, null, s31, v73, vcc_lo
	v_add_co_u32 v72, vcc_lo, s26, v72
	v_add_co_ci_u32_e64 v73, null, s27, v73, vcc_lo
	global_store_dword v[74:75], v69, off offset:256
	s_waitcnt vmcnt(0)
	global_store_dword v[72:73], v76, off offset:256
	s_or_b32 exec_lo, exec_lo, s90
	s_and_saveexec_b32 s90, s46
	s_cbranch_execz .LBB25_34
.LBB25_102:                             ;   in Loop: Header=BB25_21 Depth=1
	v_add_co_u32 v72, vcc_lo, v45, v62
	v_add_co_ci_u32_e64 v73, null, 0, v71, vcc_lo
	v_add_co_u32 v74, vcc_lo, v60, v33
	v_add_co_ci_u32_e64 v75, null, v61, v34, vcc_lo
	;; [unrolled: 2-line block ×4, first 2 shown]
	v_cndmask_b32_e64 v72, v74, v72, s0
	v_cndmask_b32_e64 v73, v75, v73, s0
	global_load_dword v76, v[72:73], off
	v_add_co_u32 v72, vcc_lo, v43, v46
	v_add_co_ci_u32_e64 v73, null, 0, v44, vcc_lo
	v_lshlrev_b64 v[72:73], 2, v[72:73]
	v_add_co_u32 v74, vcc_lo, s30, v72
	v_add_co_ci_u32_e64 v75, null, s31, v73, vcc_lo
	v_add_co_u32 v72, vcc_lo, s26, v72
	v_add_co_ci_u32_e64 v73, null, s27, v73, vcc_lo
	global_store_dword v[74:75], v67, off offset:384
	s_waitcnt vmcnt(0)
	global_store_dword v[72:73], v76, off offset:384
	s_or_b32 exec_lo, exec_lo, s90
	s_and_saveexec_b32 s90, s47
	s_cbranch_execz .LBB25_35
.LBB25_103:                             ;   in Loop: Header=BB25_21 Depth=1
	v_add_co_u32 v72, vcc_lo, v45, v62
	v_add_co_ci_u32_e64 v73, null, 0, v71, vcc_lo
	v_add_co_u32 v74, vcc_lo, v60, v35
	v_add_co_ci_u32_e64 v75, null, v61, v36, vcc_lo
	;; [unrolled: 2-line block ×4, first 2 shown]
	v_cndmask_b32_e64 v72, v74, v72, s0
	v_cndmask_b32_e64 v73, v75, v73, s0
	global_load_dword v76, v[72:73], off
	v_add_co_u32 v72, vcc_lo, v43, v46
	v_add_co_ci_u32_e64 v73, null, 0, v44, vcc_lo
	v_lshlrev_b64 v[72:73], 2, v[72:73]
	v_add_co_u32 v74, vcc_lo, s30, v72
	v_add_co_ci_u32_e64 v75, null, s31, v73, vcc_lo
	v_add_co_u32 v72, vcc_lo, s26, v72
	v_add_co_ci_u32_e64 v73, null, s27, v73, vcc_lo
	global_store_dword v[74:75], v66, off offset:512
	s_waitcnt vmcnt(0)
	global_store_dword v[72:73], v76, off offset:512
	s_or_b32 exec_lo, exec_lo, s90
	s_and_saveexec_b32 s90, s48
	s_cbranch_execz .LBB25_36
.LBB25_104:                             ;   in Loop: Header=BB25_21 Depth=1
	v_add_co_u32 v72, vcc_lo, v45, v62
	v_add_co_ci_u32_e64 v73, null, 0, v71, vcc_lo
	v_add_co_u32 v74, vcc_lo, v60, v37
	v_add_co_ci_u32_e64 v75, null, v61, v38, vcc_lo
	;; [unrolled: 2-line block ×4, first 2 shown]
	v_cndmask_b32_e64 v72, v74, v72, s0
	v_cndmask_b32_e64 v73, v75, v73, s0
	global_load_dword v76, v[72:73], off
	v_add_co_u32 v72, vcc_lo, v43, v46
	v_add_co_ci_u32_e64 v73, null, 0, v44, vcc_lo
	v_lshlrev_b64 v[72:73], 2, v[72:73]
	v_add_co_u32 v74, vcc_lo, s30, v72
	v_add_co_ci_u32_e64 v75, null, s31, v73, vcc_lo
	v_add_co_u32 v72, vcc_lo, s26, v72
	v_add_co_ci_u32_e64 v73, null, s27, v73, vcc_lo
	global_store_dword v[74:75], v64, off offset:640
	s_waitcnt vmcnt(0)
	global_store_dword v[72:73], v76, off offset:640
	s_or_b32 exec_lo, exec_lo, s90
	s_and_saveexec_b32 s90, s49
	s_cbranch_execz .LBB25_37
.LBB25_105:                             ;   in Loop: Header=BB25_21 Depth=1
	v_add_co_u32 v72, vcc_lo, v45, v62
	v_add_co_ci_u32_e64 v73, null, 0, v71, vcc_lo
	v_add_co_u32 v74, vcc_lo, v60, v39
	v_add_co_ci_u32_e64 v75, null, v61, v40, vcc_lo
	;; [unrolled: 2-line block ×4, first 2 shown]
	v_cndmask_b32_e64 v72, v74, v72, s0
	v_cndmask_b32_e64 v73, v75, v73, s0
	global_load_dword v76, v[72:73], off
	v_add_co_u32 v72, vcc_lo, v43, v46
	v_add_co_ci_u32_e64 v73, null, 0, v44, vcc_lo
	v_lshlrev_b64 v[72:73], 2, v[72:73]
	v_add_co_u32 v74, vcc_lo, s30, v72
	v_add_co_ci_u32_e64 v75, null, s31, v73, vcc_lo
	v_add_co_u32 v72, vcc_lo, s26, v72
	v_add_co_ci_u32_e64 v73, null, s27, v73, vcc_lo
	global_store_dword v[74:75], v63, off offset:768
	s_waitcnt vmcnt(0)
	global_store_dword v[72:73], v76, off offset:768
	s_or_b32 exec_lo, exec_lo, s90
	s_and_saveexec_b32 s90, s8
	s_cbranch_execnz .LBB25_38
	s_branch .LBB25_39
.LBB25_106:                             ;   in Loop: Header=BB25_21 Depth=1
	v_add_co_u32 v72, vcc_lo, v60, v27
	v_add_co_ci_u32_e64 v73, null, v61, v28, vcc_lo
	v_add_co_u32 v74, vcc_lo, v45, v62
	v_add_co_ci_u32_e64 v75, null, 0, v71, vcc_lo
	;; [unrolled: 2-line block ×3, first 2 shown]
	v_cndmask_b32_e64 v72, v72, v74, s0
	v_cndmask_b32_e64 v73, v73, v75, s0
	global_load_dword v76, v[72:73], off
	v_add_co_u32 v72, vcc_lo, v43, v46
	v_add_co_ci_u32_e64 v73, null, 0, v44, vcc_lo
	v_lshlrev_b64 v[72:73], 2, v[72:73]
	v_add_co_u32 v74, vcc_lo, s30, v72
	v_add_co_ci_u32_e64 v75, null, s31, v73, vcc_lo
	v_add_co_u32 v72, vcc_lo, s26, v72
	v_add_co_ci_u32_e64 v73, null, s27, v73, vcc_lo
	global_store_dword v[74:75], v68, off
	s_waitcnt vmcnt(0)
	global_store_dword v[72:73], v76, off
	s_or_b32 exec_lo, exec_lo, s90
	s_and_saveexec_b32 s90, s51
	s_cbranch_execz .LBB25_41
.LBB25_107:                             ;   in Loop: Header=BB25_21 Depth=1
	v_add_co_u32 v72, vcc_lo, v45, v62
	v_add_co_ci_u32_e64 v73, null, 0, v71, vcc_lo
	v_add_co_u32 v74, vcc_lo, v60, v29
	v_add_co_ci_u32_e64 v75, null, v61, v30, vcc_lo
	;; [unrolled: 2-line block ×4, first 2 shown]
	v_cndmask_b32_e64 v72, v74, v72, s0
	v_cndmask_b32_e64 v73, v75, v73, s0
	global_load_dword v76, v[72:73], off
	v_add_co_u32 v72, vcc_lo, v43, v46
	v_add_co_ci_u32_e64 v73, null, 0, v44, vcc_lo
	v_lshlrev_b64 v[72:73], 2, v[72:73]
	v_add_co_u32 v74, vcc_lo, s30, v72
	v_add_co_ci_u32_e64 v75, null, s31, v73, vcc_lo
	v_add_co_u32 v72, vcc_lo, s26, v72
	v_add_co_ci_u32_e64 v73, null, s27, v73, vcc_lo
	global_store_dword v[74:75], v70, off offset:128
	s_waitcnt vmcnt(0)
	global_store_dword v[72:73], v76, off offset:128
	s_or_b32 exec_lo, exec_lo, s90
	s_and_saveexec_b32 s90, s52
	s_cbranch_execz .LBB25_42
.LBB25_108:                             ;   in Loop: Header=BB25_21 Depth=1
	v_add_co_u32 v72, vcc_lo, v45, v62
	v_add_co_ci_u32_e64 v73, null, 0, v71, vcc_lo
	v_add_co_u32 v74, vcc_lo, v60, v31
	v_add_co_ci_u32_e64 v75, null, v61, v32, vcc_lo
	v_cndmask_b32_e64 v72, v74, v72, s0
	v_cndmask_b32_e64 v73, v75, v73, s0
	global_load_dword v76, v[72:73], off offset:256
	v_add_co_u32 v72, vcc_lo, v43, v46
	v_add_co_ci_u32_e64 v73, null, 0, v44, vcc_lo
	v_lshlrev_b64 v[72:73], 2, v[72:73]
	v_add_co_u32 v74, vcc_lo, s30, v72
	v_add_co_ci_u32_e64 v75, null, s31, v73, vcc_lo
	v_add_co_u32 v72, vcc_lo, s26, v72
	v_add_co_ci_u32_e64 v73, null, s27, v73, vcc_lo
	global_store_dword v[74:75], v69, off offset:256
	s_waitcnt vmcnt(0)
	global_store_dword v[72:73], v76, off offset:256
	s_or_b32 exec_lo, exec_lo, s90
	s_and_saveexec_b32 s90, s53
	s_cbranch_execz .LBB25_43
.LBB25_109:                             ;   in Loop: Header=BB25_21 Depth=1
	v_add_co_u32 v72, vcc_lo, v45, v62
	v_add_co_ci_u32_e64 v73, null, 0, v71, vcc_lo
	v_add_co_u32 v74, vcc_lo, v60, v33
	v_add_co_ci_u32_e64 v75, null, v61, v34, vcc_lo
	;; [unrolled: 2-line block ×4, first 2 shown]
	v_cndmask_b32_e64 v72, v74, v72, s0
	v_cndmask_b32_e64 v73, v75, v73, s0
	global_load_dword v76, v[72:73], off
	v_add_co_u32 v72, vcc_lo, v43, v46
	v_add_co_ci_u32_e64 v73, null, 0, v44, vcc_lo
	v_lshlrev_b64 v[72:73], 2, v[72:73]
	v_add_co_u32 v74, vcc_lo, s30, v72
	v_add_co_ci_u32_e64 v75, null, s31, v73, vcc_lo
	v_add_co_u32 v72, vcc_lo, s26, v72
	v_add_co_ci_u32_e64 v73, null, s27, v73, vcc_lo
	global_store_dword v[74:75], v67, off offset:384
	s_waitcnt vmcnt(0)
	global_store_dword v[72:73], v76, off offset:384
	s_or_b32 exec_lo, exec_lo, s90
	s_and_saveexec_b32 s90, s54
	s_cbranch_execz .LBB25_44
.LBB25_110:                             ;   in Loop: Header=BB25_21 Depth=1
	v_add_co_u32 v72, vcc_lo, v45, v62
	v_add_co_ci_u32_e64 v73, null, 0, v71, vcc_lo
	v_add_co_u32 v74, vcc_lo, v60, v35
	v_add_co_ci_u32_e64 v75, null, v61, v36, vcc_lo
	;; [unrolled: 2-line block ×4, first 2 shown]
	v_cndmask_b32_e64 v72, v74, v72, s0
	v_cndmask_b32_e64 v73, v75, v73, s0
	global_load_dword v76, v[72:73], off
	v_add_co_u32 v72, vcc_lo, v43, v46
	v_add_co_ci_u32_e64 v73, null, 0, v44, vcc_lo
	v_lshlrev_b64 v[72:73], 2, v[72:73]
	v_add_co_u32 v74, vcc_lo, s30, v72
	v_add_co_ci_u32_e64 v75, null, s31, v73, vcc_lo
	v_add_co_u32 v72, vcc_lo, s26, v72
	v_add_co_ci_u32_e64 v73, null, s27, v73, vcc_lo
	global_store_dword v[74:75], v66, off offset:512
	s_waitcnt vmcnt(0)
	global_store_dword v[72:73], v76, off offset:512
	s_or_b32 exec_lo, exec_lo, s90
	s_and_saveexec_b32 s90, s55
	s_cbranch_execz .LBB25_45
.LBB25_111:                             ;   in Loop: Header=BB25_21 Depth=1
	v_add_co_u32 v72, vcc_lo, v45, v62
	v_add_co_ci_u32_e64 v73, null, 0, v71, vcc_lo
	v_add_co_u32 v74, vcc_lo, v60, v37
	v_add_co_ci_u32_e64 v75, null, v61, v38, vcc_lo
	;; [unrolled: 2-line block ×4, first 2 shown]
	v_cndmask_b32_e64 v72, v74, v72, s0
	v_cndmask_b32_e64 v73, v75, v73, s0
	global_load_dword v76, v[72:73], off
	v_add_co_u32 v72, vcc_lo, v43, v46
	v_add_co_ci_u32_e64 v73, null, 0, v44, vcc_lo
	v_lshlrev_b64 v[72:73], 2, v[72:73]
	v_add_co_u32 v74, vcc_lo, s30, v72
	v_add_co_ci_u32_e64 v75, null, s31, v73, vcc_lo
	v_add_co_u32 v72, vcc_lo, s26, v72
	v_add_co_ci_u32_e64 v73, null, s27, v73, vcc_lo
	global_store_dword v[74:75], v64, off offset:640
	s_waitcnt vmcnt(0)
	global_store_dword v[72:73], v76, off offset:640
	s_or_b32 exec_lo, exec_lo, s90
	s_and_saveexec_b32 s90, s56
	s_cbranch_execz .LBB25_46
.LBB25_112:                             ;   in Loop: Header=BB25_21 Depth=1
	v_add_co_u32 v72, vcc_lo, v45, v62
	v_add_co_ci_u32_e64 v73, null, 0, v71, vcc_lo
	v_add_co_u32 v74, vcc_lo, v60, v39
	v_add_co_ci_u32_e64 v75, null, v61, v40, vcc_lo
	;; [unrolled: 2-line block ×4, first 2 shown]
	v_cndmask_b32_e64 v72, v74, v72, s0
	v_cndmask_b32_e64 v73, v75, v73, s0
	global_load_dword v76, v[72:73], off
	v_add_co_u32 v72, vcc_lo, v43, v46
	v_add_co_ci_u32_e64 v73, null, 0, v44, vcc_lo
	v_lshlrev_b64 v[72:73], 2, v[72:73]
	v_add_co_u32 v74, vcc_lo, s30, v72
	v_add_co_ci_u32_e64 v75, null, s31, v73, vcc_lo
	v_add_co_u32 v72, vcc_lo, s26, v72
	v_add_co_ci_u32_e64 v73, null, s27, v73, vcc_lo
	global_store_dword v[74:75], v63, off offset:768
	s_waitcnt vmcnt(0)
	global_store_dword v[72:73], v76, off offset:768
	s_or_b32 exec_lo, exec_lo, s90
	s_and_saveexec_b32 s90, s6
	s_cbranch_execnz .LBB25_47
	s_branch .LBB25_48
.LBB25_113:                             ;   in Loop: Header=BB25_21 Depth=1
	v_add_co_u32 v72, vcc_lo, v60, v27
	v_add_co_ci_u32_e64 v73, null, v61, v28, vcc_lo
	v_add_co_u32 v74, vcc_lo, v45, v62
	v_add_co_ci_u32_e64 v75, null, 0, v71, vcc_lo
	;; [unrolled: 2-line block ×3, first 2 shown]
	v_cndmask_b32_e64 v72, v72, v74, s0
	v_cndmask_b32_e64 v73, v73, v75, s0
	global_load_dword v76, v[72:73], off
	v_add_co_u32 v72, vcc_lo, v43, v46
	v_add_co_ci_u32_e64 v73, null, 0, v44, vcc_lo
	v_lshlrev_b64 v[72:73], 2, v[72:73]
	v_add_co_u32 v74, vcc_lo, s30, v72
	v_add_co_ci_u32_e64 v75, null, s31, v73, vcc_lo
	v_add_co_u32 v72, vcc_lo, s26, v72
	v_add_co_ci_u32_e64 v73, null, s27, v73, vcc_lo
	global_store_dword v[74:75], v68, off
	s_waitcnt vmcnt(0)
	global_store_dword v[72:73], v76, off
	s_or_b32 exec_lo, exec_lo, s90
	s_and_saveexec_b32 s90, s58
	s_cbranch_execz .LBB25_50
.LBB25_114:                             ;   in Loop: Header=BB25_21 Depth=1
	v_add_co_u32 v72, vcc_lo, v45, v62
	v_add_co_ci_u32_e64 v73, null, 0, v71, vcc_lo
	v_add_co_u32 v74, vcc_lo, v60, v29
	v_add_co_ci_u32_e64 v75, null, v61, v30, vcc_lo
	;; [unrolled: 2-line block ×4, first 2 shown]
	v_cndmask_b32_e64 v72, v74, v72, s0
	v_cndmask_b32_e64 v73, v75, v73, s0
	global_load_dword v76, v[72:73], off
	v_add_co_u32 v72, vcc_lo, v43, v46
	v_add_co_ci_u32_e64 v73, null, 0, v44, vcc_lo
	v_lshlrev_b64 v[72:73], 2, v[72:73]
	v_add_co_u32 v74, vcc_lo, s30, v72
	v_add_co_ci_u32_e64 v75, null, s31, v73, vcc_lo
	v_add_co_u32 v72, vcc_lo, s26, v72
	v_add_co_ci_u32_e64 v73, null, s27, v73, vcc_lo
	global_store_dword v[74:75], v70, off offset:128
	s_waitcnt vmcnt(0)
	global_store_dword v[72:73], v76, off offset:128
	s_or_b32 exec_lo, exec_lo, s90
	s_and_saveexec_b32 s90, s59
	s_cbranch_execz .LBB25_51
.LBB25_115:                             ;   in Loop: Header=BB25_21 Depth=1
	v_add_co_u32 v72, vcc_lo, v45, v62
	v_add_co_ci_u32_e64 v73, null, 0, v71, vcc_lo
	v_add_co_u32 v74, vcc_lo, v60, v31
	v_add_co_ci_u32_e64 v75, null, v61, v32, vcc_lo
	;; [unrolled: 2-line block ×4, first 2 shown]
	v_cndmask_b32_e64 v72, v74, v72, s0
	v_cndmask_b32_e64 v73, v75, v73, s0
	global_load_dword v76, v[72:73], off
	v_add_co_u32 v72, vcc_lo, v43, v46
	v_add_co_ci_u32_e64 v73, null, 0, v44, vcc_lo
	v_lshlrev_b64 v[72:73], 2, v[72:73]
	v_add_co_u32 v74, vcc_lo, s30, v72
	v_add_co_ci_u32_e64 v75, null, s31, v73, vcc_lo
	v_add_co_u32 v72, vcc_lo, s26, v72
	v_add_co_ci_u32_e64 v73, null, s27, v73, vcc_lo
	global_store_dword v[74:75], v69, off offset:256
	s_waitcnt vmcnt(0)
	global_store_dword v[72:73], v76, off offset:256
	s_or_b32 exec_lo, exec_lo, s90
	s_and_saveexec_b32 s90, s60
	s_cbranch_execz .LBB25_52
.LBB25_116:                             ;   in Loop: Header=BB25_21 Depth=1
	v_add_co_u32 v72, vcc_lo, v45, v62
	v_add_co_ci_u32_e64 v73, null, 0, v71, vcc_lo
	v_add_co_u32 v74, vcc_lo, v60, v33
	v_add_co_ci_u32_e64 v75, null, v61, v34, vcc_lo
	v_cndmask_b32_e64 v72, v74, v72, s0
	v_cndmask_b32_e64 v73, v75, v73, s0
	global_load_dword v76, v[72:73], off offset:384
	v_add_co_u32 v72, vcc_lo, v43, v46
	v_add_co_ci_u32_e64 v73, null, 0, v44, vcc_lo
	v_lshlrev_b64 v[72:73], 2, v[72:73]
	v_add_co_u32 v74, vcc_lo, s30, v72
	v_add_co_ci_u32_e64 v75, null, s31, v73, vcc_lo
	v_add_co_u32 v72, vcc_lo, s26, v72
	v_add_co_ci_u32_e64 v73, null, s27, v73, vcc_lo
	global_store_dword v[74:75], v67, off offset:384
	s_waitcnt vmcnt(0)
	global_store_dword v[72:73], v76, off offset:384
	s_or_b32 exec_lo, exec_lo, s90
	s_and_saveexec_b32 s90, s61
	s_cbranch_execz .LBB25_53
.LBB25_117:                             ;   in Loop: Header=BB25_21 Depth=1
	v_add_co_u32 v72, vcc_lo, v45, v62
	v_add_co_ci_u32_e64 v73, null, 0, v71, vcc_lo
	v_add_co_u32 v74, vcc_lo, v60, v35
	v_add_co_ci_u32_e64 v75, null, v61, v36, vcc_lo
	v_add_co_u32 v72, vcc_lo, 0x200, v72
	v_add_co_ci_u32_e64 v73, null, 0, v73, vcc_lo
	v_add_co_u32 v74, vcc_lo, 0x180, v74
	v_add_co_ci_u32_e64 v75, null, 0, v75, vcc_lo
	v_cndmask_b32_e64 v72, v74, v72, s0
	v_cndmask_b32_e64 v73, v75, v73, s0
	global_load_dword v76, v[72:73], off
	v_add_co_u32 v72, vcc_lo, v43, v46
	v_add_co_ci_u32_e64 v73, null, 0, v44, vcc_lo
	v_lshlrev_b64 v[72:73], 2, v[72:73]
	v_add_co_u32 v74, vcc_lo, s30, v72
	v_add_co_ci_u32_e64 v75, null, s31, v73, vcc_lo
	v_add_co_u32 v72, vcc_lo, s26, v72
	v_add_co_ci_u32_e64 v73, null, s27, v73, vcc_lo
	global_store_dword v[74:75], v66, off offset:512
	s_waitcnt vmcnt(0)
	global_store_dword v[72:73], v76, off offset:512
	s_or_b32 exec_lo, exec_lo, s90
	s_and_saveexec_b32 s90, s62
	s_cbranch_execz .LBB25_54
.LBB25_118:                             ;   in Loop: Header=BB25_21 Depth=1
	v_add_co_u32 v72, vcc_lo, v45, v62
	v_add_co_ci_u32_e64 v73, null, 0, v71, vcc_lo
	v_add_co_u32 v74, vcc_lo, v60, v37
	v_add_co_ci_u32_e64 v75, null, v61, v38, vcc_lo
	;; [unrolled: 2-line block ×4, first 2 shown]
	v_cndmask_b32_e64 v72, v74, v72, s0
	v_cndmask_b32_e64 v73, v75, v73, s0
	global_load_dword v76, v[72:73], off
	v_add_co_u32 v72, vcc_lo, v43, v46
	v_add_co_ci_u32_e64 v73, null, 0, v44, vcc_lo
	v_lshlrev_b64 v[72:73], 2, v[72:73]
	v_add_co_u32 v74, vcc_lo, s30, v72
	v_add_co_ci_u32_e64 v75, null, s31, v73, vcc_lo
	v_add_co_u32 v72, vcc_lo, s26, v72
	v_add_co_ci_u32_e64 v73, null, s27, v73, vcc_lo
	global_store_dword v[74:75], v64, off offset:640
	s_waitcnt vmcnt(0)
	global_store_dword v[72:73], v76, off offset:640
	s_or_b32 exec_lo, exec_lo, s90
	s_and_saveexec_b32 s90, s63
	s_cbranch_execz .LBB25_55
.LBB25_119:                             ;   in Loop: Header=BB25_21 Depth=1
	v_add_co_u32 v72, vcc_lo, v45, v62
	v_add_co_ci_u32_e64 v73, null, 0, v71, vcc_lo
	v_add_co_u32 v74, vcc_lo, v60, v39
	v_add_co_ci_u32_e64 v75, null, v61, v40, vcc_lo
	;; [unrolled: 2-line block ×4, first 2 shown]
	v_cndmask_b32_e64 v72, v74, v72, s0
	v_cndmask_b32_e64 v73, v75, v73, s0
	global_load_dword v76, v[72:73], off
	v_add_co_u32 v72, vcc_lo, v43, v46
	v_add_co_ci_u32_e64 v73, null, 0, v44, vcc_lo
	v_lshlrev_b64 v[72:73], 2, v[72:73]
	v_add_co_u32 v74, vcc_lo, s30, v72
	v_add_co_ci_u32_e64 v75, null, s31, v73, vcc_lo
	v_add_co_u32 v72, vcc_lo, s26, v72
	v_add_co_ci_u32_e64 v73, null, s27, v73, vcc_lo
	global_store_dword v[74:75], v63, off offset:768
	s_waitcnt vmcnt(0)
	global_store_dword v[72:73], v76, off offset:768
	s_or_b32 exec_lo, exec_lo, s90
	s_and_saveexec_b32 s90, s1
	s_cbranch_execnz .LBB25_56
	s_branch .LBB25_57
.LBB25_120:                             ;   in Loop: Header=BB25_21 Depth=1
	v_add_co_u32 v72, vcc_lo, v60, v27
	v_add_co_ci_u32_e64 v73, null, v61, v28, vcc_lo
	v_add_co_u32 v74, vcc_lo, v45, v62
	v_add_co_ci_u32_e64 v75, null, 0, v71, vcc_lo
	;; [unrolled: 2-line block ×3, first 2 shown]
	v_cndmask_b32_e64 v72, v72, v74, s0
	v_cndmask_b32_e64 v73, v73, v75, s0
	global_load_dword v76, v[72:73], off
	v_add_co_u32 v72, vcc_lo, v43, v46
	v_add_co_ci_u32_e64 v73, null, 0, v44, vcc_lo
	v_lshlrev_b64 v[72:73], 2, v[72:73]
	v_add_co_u32 v74, vcc_lo, s30, v72
	v_add_co_ci_u32_e64 v75, null, s31, v73, vcc_lo
	v_add_co_u32 v72, vcc_lo, s26, v72
	v_add_co_ci_u32_e64 v73, null, s27, v73, vcc_lo
	global_store_dword v[74:75], v68, off
	s_waitcnt vmcnt(0)
	global_store_dword v[72:73], v76, off
	s_or_b32 exec_lo, exec_lo, s90
	s_and_saveexec_b32 s90, s65
	s_cbranch_execz .LBB25_59
.LBB25_121:                             ;   in Loop: Header=BB25_21 Depth=1
	v_add_co_u32 v72, vcc_lo, v45, v62
	v_add_co_ci_u32_e64 v73, null, 0, v71, vcc_lo
	v_add_co_u32 v74, vcc_lo, v60, v29
	v_add_co_ci_u32_e64 v75, null, v61, v30, vcc_lo
	;; [unrolled: 2-line block ×4, first 2 shown]
	v_cndmask_b32_e64 v72, v74, v72, s0
	v_cndmask_b32_e64 v73, v75, v73, s0
	global_load_dword v76, v[72:73], off
	v_add_co_u32 v72, vcc_lo, v43, v46
	v_add_co_ci_u32_e64 v73, null, 0, v44, vcc_lo
	v_lshlrev_b64 v[72:73], 2, v[72:73]
	v_add_co_u32 v74, vcc_lo, s30, v72
	v_add_co_ci_u32_e64 v75, null, s31, v73, vcc_lo
	v_add_co_u32 v72, vcc_lo, s26, v72
	v_add_co_ci_u32_e64 v73, null, s27, v73, vcc_lo
	global_store_dword v[74:75], v70, off offset:128
	s_waitcnt vmcnt(0)
	global_store_dword v[72:73], v76, off offset:128
	s_or_b32 exec_lo, exec_lo, s90
	s_and_saveexec_b32 s90, s66
	s_cbranch_execz .LBB25_60
.LBB25_122:                             ;   in Loop: Header=BB25_21 Depth=1
	v_add_co_u32 v72, vcc_lo, v45, v62
	v_add_co_ci_u32_e64 v73, null, 0, v71, vcc_lo
	v_add_co_u32 v74, vcc_lo, v60, v31
	v_add_co_ci_u32_e64 v75, null, v61, v32, vcc_lo
	;; [unrolled: 2-line block ×4, first 2 shown]
	v_cndmask_b32_e64 v72, v74, v72, s0
	v_cndmask_b32_e64 v73, v75, v73, s0
	global_load_dword v76, v[72:73], off
	v_add_co_u32 v72, vcc_lo, v43, v46
	v_add_co_ci_u32_e64 v73, null, 0, v44, vcc_lo
	v_lshlrev_b64 v[72:73], 2, v[72:73]
	v_add_co_u32 v74, vcc_lo, s30, v72
	v_add_co_ci_u32_e64 v75, null, s31, v73, vcc_lo
	v_add_co_u32 v72, vcc_lo, s26, v72
	v_add_co_ci_u32_e64 v73, null, s27, v73, vcc_lo
	global_store_dword v[74:75], v69, off offset:256
	s_waitcnt vmcnt(0)
	global_store_dword v[72:73], v76, off offset:256
	s_or_b32 exec_lo, exec_lo, s90
	s_and_saveexec_b32 s90, s67
	s_cbranch_execz .LBB25_61
.LBB25_123:                             ;   in Loop: Header=BB25_21 Depth=1
	v_add_co_u32 v72, vcc_lo, v45, v62
	v_add_co_ci_u32_e64 v73, null, 0, v71, vcc_lo
	v_add_co_u32 v74, vcc_lo, v60, v33
	v_add_co_ci_u32_e64 v75, null, v61, v34, vcc_lo
	v_add_co_u32 v72, vcc_lo, 0x180, v72
	v_add_co_ci_u32_e64 v73, null, 0, v73, vcc_lo
	v_add_co_u32 v74, vcc_lo, 0x200, v74
	v_add_co_ci_u32_e64 v75, null, 0, v75, vcc_lo
	v_cndmask_b32_e64 v72, v74, v72, s0
	v_cndmask_b32_e64 v73, v75, v73, s0
	global_load_dword v76, v[72:73], off
	v_add_co_u32 v72, vcc_lo, v43, v46
	v_add_co_ci_u32_e64 v73, null, 0, v44, vcc_lo
	v_lshlrev_b64 v[72:73], 2, v[72:73]
	v_add_co_u32 v74, vcc_lo, s30, v72
	v_add_co_ci_u32_e64 v75, null, s31, v73, vcc_lo
	v_add_co_u32 v72, vcc_lo, s26, v72
	v_add_co_ci_u32_e64 v73, null, s27, v73, vcc_lo
	global_store_dword v[74:75], v67, off offset:384
	s_waitcnt vmcnt(0)
	global_store_dword v[72:73], v76, off offset:384
	s_or_b32 exec_lo, exec_lo, s90
	s_and_saveexec_b32 s90, s68
	s_cbranch_execz .LBB25_62
.LBB25_124:                             ;   in Loop: Header=BB25_21 Depth=1
	v_add_co_u32 v72, vcc_lo, v45, v62
	v_add_co_ci_u32_e64 v73, null, 0, v71, vcc_lo
	v_add_co_u32 v74, vcc_lo, v60, v35
	v_add_co_ci_u32_e64 v75, null, v61, v36, vcc_lo
	v_cndmask_b32_e64 v72, v74, v72, s0
	v_cndmask_b32_e64 v73, v75, v73, s0
	global_load_dword v76, v[72:73], off offset:512
	v_add_co_u32 v72, vcc_lo, v43, v46
	v_add_co_ci_u32_e64 v73, null, 0, v44, vcc_lo
	v_lshlrev_b64 v[72:73], 2, v[72:73]
	v_add_co_u32 v74, vcc_lo, s30, v72
	v_add_co_ci_u32_e64 v75, null, s31, v73, vcc_lo
	v_add_co_u32 v72, vcc_lo, s26, v72
	v_add_co_ci_u32_e64 v73, null, s27, v73, vcc_lo
	global_store_dword v[74:75], v66, off offset:512
	s_waitcnt vmcnt(0)
	global_store_dword v[72:73], v76, off offset:512
	s_or_b32 exec_lo, exec_lo, s90
	s_and_saveexec_b32 s90, s69
	s_cbranch_execz .LBB25_63
.LBB25_125:                             ;   in Loop: Header=BB25_21 Depth=1
	v_add_co_u32 v72, vcc_lo, v45, v62
	v_add_co_ci_u32_e64 v73, null, 0, v71, vcc_lo
	v_add_co_u32 v74, vcc_lo, v60, v37
	v_add_co_ci_u32_e64 v75, null, v61, v38, vcc_lo
	;; [unrolled: 2-line block ×4, first 2 shown]
	v_cndmask_b32_e64 v72, v74, v72, s0
	v_cndmask_b32_e64 v73, v75, v73, s0
	global_load_dword v76, v[72:73], off
	v_add_co_u32 v72, vcc_lo, v43, v46
	v_add_co_ci_u32_e64 v73, null, 0, v44, vcc_lo
	v_lshlrev_b64 v[72:73], 2, v[72:73]
	v_add_co_u32 v74, vcc_lo, s30, v72
	v_add_co_ci_u32_e64 v75, null, s31, v73, vcc_lo
	v_add_co_u32 v72, vcc_lo, s26, v72
	v_add_co_ci_u32_e64 v73, null, s27, v73, vcc_lo
	global_store_dword v[74:75], v64, off offset:640
	s_waitcnt vmcnt(0)
	global_store_dword v[72:73], v76, off offset:640
	s_or_b32 exec_lo, exec_lo, s90
	s_and_saveexec_b32 s90, s70
	s_cbranch_execz .LBB25_64
.LBB25_126:                             ;   in Loop: Header=BB25_21 Depth=1
	v_add_co_u32 v72, vcc_lo, v45, v62
	v_add_co_ci_u32_e64 v73, null, 0, v71, vcc_lo
	v_add_co_u32 v74, vcc_lo, v60, v39
	v_add_co_ci_u32_e64 v75, null, v61, v40, vcc_lo
	;; [unrolled: 2-line block ×4, first 2 shown]
	v_cndmask_b32_e64 v72, v74, v72, s0
	v_cndmask_b32_e64 v73, v75, v73, s0
	global_load_dword v76, v[72:73], off
	v_add_co_u32 v72, vcc_lo, v43, v46
	v_add_co_ci_u32_e64 v73, null, 0, v44, vcc_lo
	v_lshlrev_b64 v[72:73], 2, v[72:73]
	v_add_co_u32 v74, vcc_lo, s30, v72
	v_add_co_ci_u32_e64 v75, null, s31, v73, vcc_lo
	v_add_co_u32 v72, vcc_lo, s26, v72
	v_add_co_ci_u32_e64 v73, null, s27, v73, vcc_lo
	global_store_dword v[74:75], v63, off offset:768
	s_waitcnt vmcnt(0)
	global_store_dword v[72:73], v76, off offset:768
	s_or_b32 exec_lo, exec_lo, s90
	s_and_saveexec_b32 s90, s71
	s_cbranch_execnz .LBB25_65
	s_branch .LBB25_66
.LBB25_127:                             ;   in Loop: Header=BB25_21 Depth=1
	v_add_co_u32 v72, vcc_lo, v60, v27
	v_add_co_ci_u32_e64 v73, null, v61, v28, vcc_lo
	v_add_co_u32 v74, vcc_lo, v45, v62
	v_add_co_ci_u32_e64 v75, null, 0, v71, vcc_lo
	;; [unrolled: 2-line block ×3, first 2 shown]
	v_cndmask_b32_e64 v72, v72, v74, s0
	v_cndmask_b32_e64 v73, v73, v75, s0
	global_load_dword v76, v[72:73], off
	v_add_co_u32 v72, vcc_lo, v43, v46
	v_add_co_ci_u32_e64 v73, null, 0, v44, vcc_lo
	v_lshlrev_b64 v[72:73], 2, v[72:73]
	v_add_co_u32 v74, vcc_lo, s30, v72
	v_add_co_ci_u32_e64 v75, null, s31, v73, vcc_lo
	v_add_co_u32 v72, vcc_lo, s26, v72
	v_add_co_ci_u32_e64 v73, null, s27, v73, vcc_lo
	global_store_dword v[74:75], v68, off
	s_waitcnt vmcnt(0)
	global_store_dword v[72:73], v76, off
	s_or_b32 exec_lo, exec_lo, s90
	s_and_saveexec_b32 s90, s73
	s_cbranch_execz .LBB25_68
.LBB25_128:                             ;   in Loop: Header=BB25_21 Depth=1
	v_add_co_u32 v72, vcc_lo, v45, v62
	v_add_co_ci_u32_e64 v73, null, 0, v71, vcc_lo
	v_add_co_u32 v74, vcc_lo, v60, v29
	v_add_co_ci_u32_e64 v75, null, v61, v30, vcc_lo
	;; [unrolled: 2-line block ×4, first 2 shown]
	v_cndmask_b32_e64 v72, v74, v72, s0
	v_cndmask_b32_e64 v73, v75, v73, s0
	global_load_dword v76, v[72:73], off
	v_add_co_u32 v72, vcc_lo, v43, v46
	v_add_co_ci_u32_e64 v73, null, 0, v44, vcc_lo
	v_lshlrev_b64 v[72:73], 2, v[72:73]
	v_add_co_u32 v74, vcc_lo, s30, v72
	v_add_co_ci_u32_e64 v75, null, s31, v73, vcc_lo
	v_add_co_u32 v72, vcc_lo, s26, v72
	v_add_co_ci_u32_e64 v73, null, s27, v73, vcc_lo
	global_store_dword v[74:75], v70, off offset:128
	s_waitcnt vmcnt(0)
	global_store_dword v[72:73], v76, off offset:128
	s_or_b32 exec_lo, exec_lo, s90
	s_and_saveexec_b32 s90, s74
	s_cbranch_execz .LBB25_69
.LBB25_129:                             ;   in Loop: Header=BB25_21 Depth=1
	v_add_co_u32 v72, vcc_lo, v45, v62
	v_add_co_ci_u32_e64 v73, null, 0, v71, vcc_lo
	v_add_co_u32 v74, vcc_lo, v60, v31
	v_add_co_ci_u32_e64 v75, null, v61, v32, vcc_lo
	;; [unrolled: 2-line block ×4, first 2 shown]
	v_cndmask_b32_e64 v72, v74, v72, s0
	v_cndmask_b32_e64 v73, v75, v73, s0
	global_load_dword v76, v[72:73], off
	v_add_co_u32 v72, vcc_lo, v43, v46
	v_add_co_ci_u32_e64 v73, null, 0, v44, vcc_lo
	v_lshlrev_b64 v[72:73], 2, v[72:73]
	v_add_co_u32 v74, vcc_lo, s30, v72
	v_add_co_ci_u32_e64 v75, null, s31, v73, vcc_lo
	v_add_co_u32 v72, vcc_lo, s26, v72
	v_add_co_ci_u32_e64 v73, null, s27, v73, vcc_lo
	global_store_dword v[74:75], v69, off offset:256
	s_waitcnt vmcnt(0)
	global_store_dword v[72:73], v76, off offset:256
	s_or_b32 exec_lo, exec_lo, s90
	s_and_saveexec_b32 s90, s75
	s_cbranch_execz .LBB25_70
.LBB25_130:                             ;   in Loop: Header=BB25_21 Depth=1
	v_add_co_u32 v72, vcc_lo, v45, v62
	v_add_co_ci_u32_e64 v73, null, 0, v71, vcc_lo
	v_add_co_u32 v74, vcc_lo, v60, v33
	v_add_co_ci_u32_e64 v75, null, v61, v34, vcc_lo
	;; [unrolled: 2-line block ×4, first 2 shown]
	v_cndmask_b32_e64 v72, v74, v72, s0
	v_cndmask_b32_e64 v73, v75, v73, s0
	global_load_dword v76, v[72:73], off
	v_add_co_u32 v72, vcc_lo, v43, v46
	v_add_co_ci_u32_e64 v73, null, 0, v44, vcc_lo
	v_lshlrev_b64 v[72:73], 2, v[72:73]
	v_add_co_u32 v74, vcc_lo, s30, v72
	v_add_co_ci_u32_e64 v75, null, s31, v73, vcc_lo
	v_add_co_u32 v72, vcc_lo, s26, v72
	v_add_co_ci_u32_e64 v73, null, s27, v73, vcc_lo
	global_store_dword v[74:75], v67, off offset:384
	s_waitcnt vmcnt(0)
	global_store_dword v[72:73], v76, off offset:384
	s_or_b32 exec_lo, exec_lo, s90
	s_and_saveexec_b32 s90, s76
	s_cbranch_execz .LBB25_71
.LBB25_131:                             ;   in Loop: Header=BB25_21 Depth=1
	v_add_co_u32 v72, vcc_lo, v45, v62
	v_add_co_ci_u32_e64 v73, null, 0, v71, vcc_lo
	v_add_co_u32 v74, vcc_lo, v60, v35
	v_add_co_ci_u32_e64 v75, null, v61, v36, vcc_lo
	;; [unrolled: 2-line block ×4, first 2 shown]
	v_cndmask_b32_e64 v72, v74, v72, s0
	v_cndmask_b32_e64 v73, v75, v73, s0
	global_load_dword v76, v[72:73], off
	v_add_co_u32 v72, vcc_lo, v43, v46
	v_add_co_ci_u32_e64 v73, null, 0, v44, vcc_lo
	v_lshlrev_b64 v[72:73], 2, v[72:73]
	v_add_co_u32 v74, vcc_lo, s30, v72
	v_add_co_ci_u32_e64 v75, null, s31, v73, vcc_lo
	v_add_co_u32 v72, vcc_lo, s26, v72
	v_add_co_ci_u32_e64 v73, null, s27, v73, vcc_lo
	global_store_dword v[74:75], v66, off offset:512
	s_waitcnt vmcnt(0)
	global_store_dword v[72:73], v76, off offset:512
	s_or_b32 exec_lo, exec_lo, s90
	s_and_saveexec_b32 s90, s77
	s_cbranch_execz .LBB25_72
.LBB25_132:                             ;   in Loop: Header=BB25_21 Depth=1
	v_add_co_u32 v72, vcc_lo, v45, v62
	v_add_co_ci_u32_e64 v73, null, 0, v71, vcc_lo
	v_add_co_u32 v74, vcc_lo, v60, v37
	v_add_co_ci_u32_e64 v75, null, v61, v38, vcc_lo
	v_cndmask_b32_e64 v72, v74, v72, s0
	v_cndmask_b32_e64 v73, v75, v73, s0
	global_load_dword v76, v[72:73], off offset:640
	v_add_co_u32 v72, vcc_lo, v43, v46
	v_add_co_ci_u32_e64 v73, null, 0, v44, vcc_lo
	v_lshlrev_b64 v[72:73], 2, v[72:73]
	v_add_co_u32 v74, vcc_lo, s30, v72
	v_add_co_ci_u32_e64 v75, null, s31, v73, vcc_lo
	v_add_co_u32 v72, vcc_lo, s26, v72
	v_add_co_ci_u32_e64 v73, null, s27, v73, vcc_lo
	global_store_dword v[74:75], v64, off offset:640
	s_waitcnt vmcnt(0)
	global_store_dword v[72:73], v76, off offset:640
	s_or_b32 exec_lo, exec_lo, s90
	s_and_saveexec_b32 s90, s78
	s_cbranch_execz .LBB25_73
.LBB25_133:                             ;   in Loop: Header=BB25_21 Depth=1
	v_add_co_u32 v72, vcc_lo, v45, v62
	v_add_co_ci_u32_e64 v73, null, 0, v71, vcc_lo
	v_add_co_u32 v74, vcc_lo, v60, v39
	v_add_co_ci_u32_e64 v75, null, v61, v40, vcc_lo
	;; [unrolled: 2-line block ×4, first 2 shown]
	v_cndmask_b32_e64 v72, v74, v72, s0
	v_cndmask_b32_e64 v73, v75, v73, s0
	global_load_dword v76, v[72:73], off
	v_add_co_u32 v72, vcc_lo, v43, v46
	v_add_co_ci_u32_e64 v73, null, 0, v44, vcc_lo
	v_lshlrev_b64 v[72:73], 2, v[72:73]
	v_add_co_u32 v74, vcc_lo, s30, v72
	v_add_co_ci_u32_e64 v75, null, s31, v73, vcc_lo
	v_add_co_u32 v72, vcc_lo, s26, v72
	v_add_co_ci_u32_e64 v73, null, s27, v73, vcc_lo
	global_store_dword v[74:75], v63, off offset:768
	s_waitcnt vmcnt(0)
	global_store_dword v[72:73], v76, off offset:768
	s_or_b32 exec_lo, exec_lo, s90
	s_and_saveexec_b32 s90, s7
	s_cbranch_execnz .LBB25_74
	s_branch .LBB25_75
.LBB25_134:                             ;   in Loop: Header=BB25_21 Depth=1
	v_add_co_u32 v72, vcc_lo, v60, v27
	v_add_co_ci_u32_e64 v73, null, v61, v28, vcc_lo
	v_add_co_u32 v74, vcc_lo, v45, v62
	v_add_co_ci_u32_e64 v75, null, 0, v71, vcc_lo
	;; [unrolled: 2-line block ×3, first 2 shown]
	v_cndmask_b32_e64 v72, v72, v74, s0
	v_cndmask_b32_e64 v73, v73, v75, s0
	global_load_dword v76, v[72:73], off
	v_add_co_u32 v72, vcc_lo, v43, v46
	v_add_co_ci_u32_e64 v73, null, 0, v44, vcc_lo
	v_lshlrev_b64 v[72:73], 2, v[72:73]
	v_add_co_u32 v74, vcc_lo, s30, v72
	v_add_co_ci_u32_e64 v75, null, s31, v73, vcc_lo
	v_add_co_u32 v72, vcc_lo, s26, v72
	v_add_co_ci_u32_e64 v73, null, s27, v73, vcc_lo
	global_store_dword v[74:75], v68, off
	s_waitcnt vmcnt(0)
	global_store_dword v[72:73], v76, off
	s_or_b32 exec_lo, exec_lo, s90
	s_and_saveexec_b32 s90, s80
	s_cbranch_execz .LBB25_77
.LBB25_135:                             ;   in Loop: Header=BB25_21 Depth=1
	v_add_co_u32 v72, vcc_lo, v45, v62
	v_add_co_ci_u32_e64 v73, null, 0, v71, vcc_lo
	v_add_co_u32 v74, vcc_lo, v60, v29
	v_add_co_ci_u32_e64 v75, null, v61, v30, vcc_lo
	;; [unrolled: 2-line block ×4, first 2 shown]
	v_cndmask_b32_e64 v72, v74, v72, s0
	v_cndmask_b32_e64 v73, v75, v73, s0
	global_load_dword v76, v[72:73], off
	v_add_co_u32 v72, vcc_lo, v43, v46
	v_add_co_ci_u32_e64 v73, null, 0, v44, vcc_lo
	v_lshlrev_b64 v[72:73], 2, v[72:73]
	v_add_co_u32 v74, vcc_lo, s30, v72
	v_add_co_ci_u32_e64 v75, null, s31, v73, vcc_lo
	v_add_co_u32 v72, vcc_lo, s26, v72
	v_add_co_ci_u32_e64 v73, null, s27, v73, vcc_lo
	global_store_dword v[74:75], v70, off offset:128
	s_waitcnt vmcnt(0)
	global_store_dword v[72:73], v76, off offset:128
	s_or_b32 exec_lo, exec_lo, s90
	s_and_saveexec_b32 s90, s81
	s_cbranch_execz .LBB25_78
.LBB25_136:                             ;   in Loop: Header=BB25_21 Depth=1
	v_add_co_u32 v72, vcc_lo, v45, v62
	v_add_co_ci_u32_e64 v73, null, 0, v71, vcc_lo
	v_add_co_u32 v74, vcc_lo, v60, v31
	v_add_co_ci_u32_e64 v75, null, v61, v32, vcc_lo
	v_add_co_u32 v72, vcc_lo, 0x100, v72
	v_add_co_ci_u32_e64 v73, null, 0, v73, vcc_lo
	v_add_co_u32 v74, vcc_lo, 0x300, v74
	v_add_co_ci_u32_e64 v75, null, 0, v75, vcc_lo
	v_cndmask_b32_e64 v72, v74, v72, s0
	v_cndmask_b32_e64 v73, v75, v73, s0
	global_load_dword v76, v[72:73], off
	v_add_co_u32 v72, vcc_lo, v43, v46
	v_add_co_ci_u32_e64 v73, null, 0, v44, vcc_lo
	v_lshlrev_b64 v[72:73], 2, v[72:73]
	v_add_co_u32 v74, vcc_lo, s30, v72
	v_add_co_ci_u32_e64 v75, null, s31, v73, vcc_lo
	v_add_co_u32 v72, vcc_lo, s26, v72
	v_add_co_ci_u32_e64 v73, null, s27, v73, vcc_lo
	global_store_dword v[74:75], v69, off offset:256
	s_waitcnt vmcnt(0)
	global_store_dword v[72:73], v76, off offset:256
	s_or_b32 exec_lo, exec_lo, s90
	s_and_saveexec_b32 s90, s82
	s_cbranch_execz .LBB25_79
.LBB25_137:                             ;   in Loop: Header=BB25_21 Depth=1
	v_add_co_u32 v72, vcc_lo, v45, v62
	v_add_co_ci_u32_e64 v73, null, 0, v71, vcc_lo
	v_add_co_u32 v74, vcc_lo, v60, v33
	v_add_co_ci_u32_e64 v75, null, v61, v34, vcc_lo
	;; [unrolled: 2-line block ×4, first 2 shown]
	v_cndmask_b32_e64 v72, v74, v72, s0
	v_cndmask_b32_e64 v73, v75, v73, s0
	global_load_dword v76, v[72:73], off
	v_add_co_u32 v72, vcc_lo, v43, v46
	v_add_co_ci_u32_e64 v73, null, 0, v44, vcc_lo
	v_lshlrev_b64 v[72:73], 2, v[72:73]
	v_add_co_u32 v74, vcc_lo, s30, v72
	v_add_co_ci_u32_e64 v75, null, s31, v73, vcc_lo
	v_add_co_u32 v72, vcc_lo, s26, v72
	v_add_co_ci_u32_e64 v73, null, s27, v73, vcc_lo
	global_store_dword v[74:75], v67, off offset:384
	s_waitcnt vmcnt(0)
	global_store_dword v[72:73], v76, off offset:384
	s_or_b32 exec_lo, exec_lo, s90
	s_and_saveexec_b32 s90, s83
	s_cbranch_execz .LBB25_80
.LBB25_138:                             ;   in Loop: Header=BB25_21 Depth=1
	v_add_co_u32 v72, vcc_lo, v45, v62
	v_add_co_ci_u32_e64 v73, null, 0, v71, vcc_lo
	v_add_co_u32 v74, vcc_lo, v60, v35
	v_add_co_ci_u32_e64 v75, null, v61, v36, vcc_lo
	;; [unrolled: 2-line block ×4, first 2 shown]
	v_cndmask_b32_e64 v72, v74, v72, s0
	v_cndmask_b32_e64 v73, v75, v73, s0
	global_load_dword v76, v[72:73], off
	v_add_co_u32 v72, vcc_lo, v43, v46
	v_add_co_ci_u32_e64 v73, null, 0, v44, vcc_lo
	v_lshlrev_b64 v[72:73], 2, v[72:73]
	v_add_co_u32 v74, vcc_lo, s30, v72
	v_add_co_ci_u32_e64 v75, null, s31, v73, vcc_lo
	v_add_co_u32 v72, vcc_lo, s26, v72
	v_add_co_ci_u32_e64 v73, null, s27, v73, vcc_lo
	global_store_dword v[74:75], v66, off offset:512
	s_waitcnt vmcnt(0)
	global_store_dword v[72:73], v76, off offset:512
	s_or_b32 exec_lo, exec_lo, s90
	s_and_saveexec_b32 s90, s84
	s_cbranch_execz .LBB25_81
.LBB25_139:                             ;   in Loop: Header=BB25_21 Depth=1
	v_add_co_u32 v72, vcc_lo, v45, v62
	v_add_co_ci_u32_e64 v73, null, 0, v71, vcc_lo
	v_add_co_u32 v74, vcc_lo, v60, v37
	v_add_co_ci_u32_e64 v75, null, v61, v38, vcc_lo
	;; [unrolled: 2-line block ×4, first 2 shown]
	v_cndmask_b32_e64 v72, v74, v72, s0
	v_cndmask_b32_e64 v73, v75, v73, s0
	global_load_dword v76, v[72:73], off
	v_add_co_u32 v72, vcc_lo, v43, v46
	v_add_co_ci_u32_e64 v73, null, 0, v44, vcc_lo
	v_lshlrev_b64 v[72:73], 2, v[72:73]
	v_add_co_u32 v74, vcc_lo, s30, v72
	v_add_co_ci_u32_e64 v75, null, s31, v73, vcc_lo
	v_add_co_u32 v72, vcc_lo, s26, v72
	v_add_co_ci_u32_e64 v73, null, s27, v73, vcc_lo
	global_store_dword v[74:75], v64, off offset:640
	s_waitcnt vmcnt(0)
	global_store_dword v[72:73], v76, off offset:640
	s_or_b32 exec_lo, exec_lo, s90
	s_and_saveexec_b32 s90, s85
	s_cbranch_execz .LBB25_82
.LBB25_140:                             ;   in Loop: Header=BB25_21 Depth=1
	v_add_co_u32 v72, vcc_lo, v45, v62
	v_add_co_ci_u32_e64 v73, null, 0, v71, vcc_lo
	v_add_co_u32 v74, vcc_lo, v60, v39
	v_add_co_ci_u32_e64 v75, null, v61, v40, vcc_lo
	v_cndmask_b32_e64 v72, v74, v72, s0
	v_cndmask_b32_e64 v73, v75, v73, s0
	global_load_dword v76, v[72:73], off offset:768
	v_add_co_u32 v72, vcc_lo, v43, v46
	v_add_co_ci_u32_e64 v73, null, 0, v44, vcc_lo
	v_lshlrev_b64 v[72:73], 2, v[72:73]
	v_add_co_u32 v74, vcc_lo, s30, v72
	v_add_co_ci_u32_e64 v75, null, s31, v73, vcc_lo
	v_add_co_u32 v72, vcc_lo, s26, v72
	v_add_co_ci_u32_e64 v73, null, s27, v73, vcc_lo
	global_store_dword v[74:75], v63, off offset:768
	s_waitcnt vmcnt(0)
	global_store_dword v[72:73], v76, off offset:768
	s_or_b32 exec_lo, exec_lo, s90
	s_and_saveexec_b32 s90, s10
	s_cbranch_execnz .LBB25_83
	s_branch .LBB25_84
.LBB25_141:                             ;   in Loop: Header=BB25_21 Depth=1
	v_add_co_u32 v72, vcc_lo, v60, v27
	v_add_co_ci_u32_e64 v73, null, v61, v28, vcc_lo
	v_add_co_u32 v74, vcc_lo, v45, v62
	v_add_co_ci_u32_e64 v75, null, 0, v71, vcc_lo
	;; [unrolled: 2-line block ×3, first 2 shown]
	v_cndmask_b32_e64 v72, v72, v74, s0
	v_cndmask_b32_e64 v73, v73, v75, s0
	global_load_dword v76, v[72:73], off
	v_add_co_u32 v72, vcc_lo, v43, v46
	v_add_co_ci_u32_e64 v73, null, 0, v44, vcc_lo
	v_lshlrev_b64 v[72:73], 2, v[72:73]
	v_add_co_u32 v74, vcc_lo, s30, v72
	v_add_co_ci_u32_e64 v75, null, s31, v73, vcc_lo
	v_add_co_u32 v72, vcc_lo, s26, v72
	v_add_co_ci_u32_e64 v73, null, s27, v73, vcc_lo
	global_store_dword v[74:75], v68, off
	s_waitcnt vmcnt(0)
	global_store_dword v[72:73], v76, off
	s_or_b32 exec_lo, exec_lo, s9
	s_and_saveexec_b32 s9, s11
	s_cbranch_execz .LBB25_86
.LBB25_142:                             ;   in Loop: Header=BB25_21 Depth=1
	v_add_co_u32 v68, vcc_lo, v45, v62
	v_add_co_ci_u32_e64 v72, null, 0, v71, vcc_lo
	v_add_co_u32 v73, vcc_lo, v60, v29
	v_add_co_ci_u32_e64 v74, null, v61, v30, vcc_lo
	v_add_co_u32 v68, vcc_lo, 0x80, v68
	v_add_co_ci_u32_e64 v72, null, 0, v72, vcc_lo
	v_add_co_u32 v75, vcc_lo, 0x380, v73
	v_add_co_ci_u32_e64 v73, null, 0, v74, vcc_lo
	v_cndmask_b32_e64 v73, v73, v72, s0
	v_cndmask_b32_e64 v72, v75, v68, s0
	global_load_dword v68, v[72:73], off
	v_add_co_u32 v72, vcc_lo, v43, v46
	v_add_co_ci_u32_e64 v73, null, 0, v44, vcc_lo
	v_lshlrev_b64 v[72:73], 2, v[72:73]
	v_add_co_u32 v74, vcc_lo, s30, v72
	v_add_co_ci_u32_e64 v75, null, s31, v73, vcc_lo
	v_add_co_u32 v72, vcc_lo, s26, v72
	v_add_co_ci_u32_e64 v73, null, s27, v73, vcc_lo
	global_store_dword v[74:75], v70, off offset:128
	s_waitcnt vmcnt(0)
	global_store_dword v[72:73], v68, off offset:128
	s_or_b32 exec_lo, exec_lo, s9
	s_and_saveexec_b32 s9, s12
	s_cbranch_execz .LBB25_87
.LBB25_143:                             ;   in Loop: Header=BB25_21 Depth=1
	v_add_co_u32 v68, vcc_lo, v45, v62
	v_add_co_ci_u32_e64 v70, null, 0, v71, vcc_lo
	v_add_co_u32 v72, vcc_lo, v60, v31
	v_add_co_ci_u32_e64 v73, null, v61, v32, vcc_lo
	v_add_co_u32 v68, vcc_lo, 0x100, v68
	v_add_co_ci_u32_e64 v70, null, 0, v70, vcc_lo
	v_add_co_u32 v72, vcc_lo, 0x380, v72
	v_add_co_ci_u32_e64 v73, null, 0, v73, vcc_lo
	v_cndmask_b32_e64 v72, v72, v68, s0
	v_cndmask_b32_e64 v73, v73, v70, s0
	global_load_dword v68, v[72:73], off
	v_add_co_u32 v72, vcc_lo, v43, v46
	v_add_co_ci_u32_e64 v73, null, 0, v44, vcc_lo
	v_lshlrev_b64 v[72:73], 2, v[72:73]
	v_add_co_u32 v74, vcc_lo, s30, v72
	v_add_co_ci_u32_e64 v75, null, s31, v73, vcc_lo
	v_add_co_u32 v72, vcc_lo, s26, v72
	v_add_co_ci_u32_e64 v73, null, s27, v73, vcc_lo
	global_store_dword v[74:75], v69, off offset:256
	s_waitcnt vmcnt(0)
	global_store_dword v[72:73], v68, off offset:256
	s_or_b32 exec_lo, exec_lo, s9
	s_and_saveexec_b32 s9, s13
	s_cbranch_execz .LBB25_88
.LBB25_144:                             ;   in Loop: Header=BB25_21 Depth=1
	v_add_co_u32 v68, vcc_lo, v45, v62
	v_add_co_ci_u32_e64 v69, null, 0, v71, vcc_lo
	v_add_co_u32 v70, vcc_lo, v60, v33
	v_add_co_ci_u32_e64 v72, null, v61, v34, vcc_lo
	;; [unrolled: 2-line block ×4, first 2 shown]
	v_cndmask_b32_e64 v68, v70, v68, s0
	v_cndmask_b32_e64 v69, v72, v69, s0
	global_load_dword v70, v[68:69], off
	v_add_co_u32 v68, vcc_lo, v43, v46
	v_add_co_ci_u32_e64 v69, null, 0, v44, vcc_lo
	v_lshlrev_b64 v[68:69], 2, v[68:69]
	v_add_co_u32 v72, vcc_lo, s30, v68
	v_add_co_ci_u32_e64 v73, null, s31, v69, vcc_lo
	v_add_co_u32 v68, vcc_lo, s26, v68
	v_add_co_ci_u32_e64 v69, null, s27, v69, vcc_lo
	global_store_dword v[72:73], v67, off offset:384
	s_waitcnt vmcnt(0)
	global_store_dword v[68:69], v70, off offset:384
	s_or_b32 exec_lo, exec_lo, s9
	s_and_saveexec_b32 s9, s14
	s_cbranch_execz .LBB25_89
.LBB25_145:                             ;   in Loop: Header=BB25_21 Depth=1
	v_add_co_u32 v67, vcc_lo, v45, v62
	v_add_co_ci_u32_e64 v68, null, 0, v71, vcc_lo
	v_add_co_u32 v69, vcc_lo, v60, v35
	v_add_co_ci_u32_e64 v70, null, v61, v36, vcc_lo
	;; [unrolled: 2-line block ×4, first 2 shown]
	v_cndmask_b32_e64 v67, v69, v67, s0
	v_cndmask_b32_e64 v68, v70, v68, s0
	global_load_dword v72, v[67:68], off
	v_add_co_u32 v67, vcc_lo, v43, v46
	v_add_co_ci_u32_e64 v68, null, 0, v44, vcc_lo
	v_lshlrev_b64 v[67:68], 2, v[67:68]
	v_add_co_u32 v69, vcc_lo, s30, v67
	v_add_co_ci_u32_e64 v70, null, s31, v68, vcc_lo
	v_add_co_u32 v67, vcc_lo, s26, v67
	v_add_co_ci_u32_e64 v68, null, s27, v68, vcc_lo
	global_store_dword v[69:70], v66, off offset:512
	s_waitcnt vmcnt(0)
	global_store_dword v[67:68], v72, off offset:512
	s_or_b32 exec_lo, exec_lo, s9
	s_and_saveexec_b32 s9, s15
	s_cbranch_execz .LBB25_90
.LBB25_146:                             ;   in Loop: Header=BB25_21 Depth=1
	v_add_co_u32 v66, vcc_lo, v45, v62
	v_add_co_ci_u32_e64 v67, null, 0, v71, vcc_lo
	v_add_co_u32 v68, vcc_lo, v60, v37
	v_add_co_ci_u32_e64 v69, null, v61, v38, vcc_lo
	;; [unrolled: 2-line block ×4, first 2 shown]
	v_cndmask_b32_e64 v66, v68, v66, s0
	v_cndmask_b32_e64 v67, v69, v67, s0
	global_load_dword v70, v[66:67], off
	v_add_co_u32 v66, vcc_lo, v43, v46
	v_add_co_ci_u32_e64 v67, null, 0, v44, vcc_lo
	v_lshlrev_b64 v[66:67], 2, v[66:67]
	v_add_co_u32 v68, vcc_lo, s30, v66
	v_add_co_ci_u32_e64 v69, null, s31, v67, vcc_lo
	v_add_co_u32 v66, vcc_lo, s26, v66
	v_add_co_ci_u32_e64 v67, null, s27, v67, vcc_lo
	global_store_dword v[68:69], v64, off offset:640
	s_waitcnt vmcnt(0)
	global_store_dword v[66:67], v70, off offset:640
	s_or_b32 exec_lo, exec_lo, s9
	s_and_saveexec_b32 s9, s4
	s_cbranch_execz .LBB25_91
.LBB25_147:                             ;   in Loop: Header=BB25_21 Depth=1
	v_add_co_u32 v64, vcc_lo, v45, v62
	v_add_co_ci_u32_e64 v66, null, 0, v71, vcc_lo
	v_add_co_u32 v67, vcc_lo, v60, v39
	v_add_co_ci_u32_e64 v68, null, v61, v40, vcc_lo
	;; [unrolled: 2-line block ×4, first 2 shown]
	v_cndmask_b32_e64 v67, v67, v66, s0
	v_cndmask_b32_e64 v66, v69, v64, s0
	global_load_dword v64, v[66:67], off
	v_add_co_u32 v66, vcc_lo, v43, v46
	v_add_co_ci_u32_e64 v67, null, 0, v44, vcc_lo
	v_lshlrev_b64 v[66:67], 2, v[66:67]
	v_add_co_u32 v68, vcc_lo, s30, v66
	v_add_co_ci_u32_e64 v69, null, s31, v67, vcc_lo
	v_add_co_u32 v66, vcc_lo, s26, v66
	v_add_co_ci_u32_e64 v67, null, s27, v67, vcc_lo
	global_store_dword v[68:69], v63, off offset:768
	s_waitcnt vmcnt(0)
	global_store_dword v[66:67], v64, off offset:768
	s_or_b32 exec_lo, exec_lo, s9
	s_and_saveexec_b32 s9, s5
	s_cbranch_execz .LBB25_20
.LBB25_148:                             ;   in Loop: Header=BB25_21 Depth=1
	v_add_co_u32 v45, vcc_lo, v45, v62
	v_add_co_ci_u32_e64 v62, null, 0, v71, vcc_lo
	v_add_co_u32 v60, vcc_lo, v60, v41
	v_add_co_ci_u32_e64 v61, null, v61, v42, vcc_lo
	v_add_co_u32 v43, vcc_lo, v43, v46
	v_cndmask_b32_e64 v60, v60, v45, s0
	v_cndmask_b32_e64 v61, v61, v62, s0
	v_add_co_ci_u32_e64 v44, null, 0, v44, vcc_lo
	global_load_dword v45, v[60:61], off offset:896
	v_lshlrev_b64 v[43:44], 2, v[43:44]
	v_add_co_u32 v60, vcc_lo, s30, v43
	v_add_co_ci_u32_e64 v61, null, s31, v44, vcc_lo
	v_add_co_u32 v43, vcc_lo, s26, v43
	v_add_co_ci_u32_e64 v44, null, s27, v44, vcc_lo
	global_store_dword v[60:61], v65, off offset:896
	s_waitcnt vmcnt(0)
	global_store_dword v[43:44], v45, off offset:896
	s_branch .LBB25_20
.LBB25_149:
	s_endpgm
	.section	.rodata,"a",@progbits
	.p2align	6, 0x0
	.amdhsa_kernel _ZN9rocsparseL35bsr2csr_block_per_row_33_256_kernelILj1024ELj256ELj32EiliEEv20rocsparse_direction_T4_S2_21rocsparse_index_base_PKT2_PKT3_PKS2_S2_S3_PS4_PS7_PS2_
		.amdhsa_group_segment_fixed_size 0
		.amdhsa_private_segment_fixed_size 0
		.amdhsa_kernarg_size 72
		.amdhsa_user_sgpr_count 6
		.amdhsa_user_sgpr_private_segment_buffer 1
		.amdhsa_user_sgpr_dispatch_ptr 0
		.amdhsa_user_sgpr_queue_ptr 0
		.amdhsa_user_sgpr_kernarg_segment_ptr 1
		.amdhsa_user_sgpr_dispatch_id 0
		.amdhsa_user_sgpr_flat_scratch_init 0
		.amdhsa_user_sgpr_private_segment_size 0
		.amdhsa_wavefront_size32 1
		.amdhsa_uses_dynamic_stack 0
		.amdhsa_system_sgpr_private_segment_wavefront_offset 0
		.amdhsa_system_sgpr_workgroup_id_x 1
		.amdhsa_system_sgpr_workgroup_id_y 0
		.amdhsa_system_sgpr_workgroup_id_z 0
		.amdhsa_system_sgpr_workgroup_info 0
		.amdhsa_system_vgpr_workitem_id 0
		.amdhsa_next_free_vgpr 77
		.amdhsa_next_free_sgpr 92
		.amdhsa_reserve_vcc 1
		.amdhsa_reserve_flat_scratch 0
		.amdhsa_float_round_mode_32 0
		.amdhsa_float_round_mode_16_64 0
		.amdhsa_float_denorm_mode_32 3
		.amdhsa_float_denorm_mode_16_64 3
		.amdhsa_dx10_clamp 1
		.amdhsa_ieee_mode 1
		.amdhsa_fp16_overflow 0
		.amdhsa_workgroup_processor_mode 1
		.amdhsa_memory_ordered 1
		.amdhsa_forward_progress 1
		.amdhsa_shared_vgpr_count 0
		.amdhsa_exception_fp_ieee_invalid_op 0
		.amdhsa_exception_fp_denorm_src 0
		.amdhsa_exception_fp_ieee_div_zero 0
		.amdhsa_exception_fp_ieee_overflow 0
		.amdhsa_exception_fp_ieee_underflow 0
		.amdhsa_exception_fp_ieee_inexact 0
		.amdhsa_exception_int_div_zero 0
	.end_amdhsa_kernel
	.section	.text._ZN9rocsparseL35bsr2csr_block_per_row_33_256_kernelILj1024ELj256ELj32EiliEEv20rocsparse_direction_T4_S2_21rocsparse_index_base_PKT2_PKT3_PKS2_S2_S3_PS4_PS7_PS2_,"axG",@progbits,_ZN9rocsparseL35bsr2csr_block_per_row_33_256_kernelILj1024ELj256ELj32EiliEEv20rocsparse_direction_T4_S2_21rocsparse_index_base_PKT2_PKT3_PKS2_S2_S3_PS4_PS7_PS2_,comdat
.Lfunc_end25:
	.size	_ZN9rocsparseL35bsr2csr_block_per_row_33_256_kernelILj1024ELj256ELj32EiliEEv20rocsparse_direction_T4_S2_21rocsparse_index_base_PKT2_PKT3_PKS2_S2_S3_PS4_PS7_PS2_, .Lfunc_end25-_ZN9rocsparseL35bsr2csr_block_per_row_33_256_kernelILj1024ELj256ELj32EiliEEv20rocsparse_direction_T4_S2_21rocsparse_index_base_PKT2_PKT3_PKS2_S2_S3_PS4_PS7_PS2_
                                        ; -- End function
	.set _ZN9rocsparseL35bsr2csr_block_per_row_33_256_kernelILj1024ELj256ELj32EiliEEv20rocsparse_direction_T4_S2_21rocsparse_index_base_PKT2_PKT3_PKS2_S2_S3_PS4_PS7_PS2_.num_vgpr, 77
	.set _ZN9rocsparseL35bsr2csr_block_per_row_33_256_kernelILj1024ELj256ELj32EiliEEv20rocsparse_direction_T4_S2_21rocsparse_index_base_PKT2_PKT3_PKS2_S2_S3_PS4_PS7_PS2_.num_agpr, 0
	.set _ZN9rocsparseL35bsr2csr_block_per_row_33_256_kernelILj1024ELj256ELj32EiliEEv20rocsparse_direction_T4_S2_21rocsparse_index_base_PKT2_PKT3_PKS2_S2_S3_PS4_PS7_PS2_.numbered_sgpr, 92
	.set _ZN9rocsparseL35bsr2csr_block_per_row_33_256_kernelILj1024ELj256ELj32EiliEEv20rocsparse_direction_T4_S2_21rocsparse_index_base_PKT2_PKT3_PKS2_S2_S3_PS4_PS7_PS2_.num_named_barrier, 0
	.set _ZN9rocsparseL35bsr2csr_block_per_row_33_256_kernelILj1024ELj256ELj32EiliEEv20rocsparse_direction_T4_S2_21rocsparse_index_base_PKT2_PKT3_PKS2_S2_S3_PS4_PS7_PS2_.private_seg_size, 0
	.set _ZN9rocsparseL35bsr2csr_block_per_row_33_256_kernelILj1024ELj256ELj32EiliEEv20rocsparse_direction_T4_S2_21rocsparse_index_base_PKT2_PKT3_PKS2_S2_S3_PS4_PS7_PS2_.uses_vcc, 1
	.set _ZN9rocsparseL35bsr2csr_block_per_row_33_256_kernelILj1024ELj256ELj32EiliEEv20rocsparse_direction_T4_S2_21rocsparse_index_base_PKT2_PKT3_PKS2_S2_S3_PS4_PS7_PS2_.uses_flat_scratch, 0
	.set _ZN9rocsparseL35bsr2csr_block_per_row_33_256_kernelILj1024ELj256ELj32EiliEEv20rocsparse_direction_T4_S2_21rocsparse_index_base_PKT2_PKT3_PKS2_S2_S3_PS4_PS7_PS2_.has_dyn_sized_stack, 0
	.set _ZN9rocsparseL35bsr2csr_block_per_row_33_256_kernelILj1024ELj256ELj32EiliEEv20rocsparse_direction_T4_S2_21rocsparse_index_base_PKT2_PKT3_PKS2_S2_S3_PS4_PS7_PS2_.has_recursion, 0
	.set _ZN9rocsparseL35bsr2csr_block_per_row_33_256_kernelILj1024ELj256ELj32EiliEEv20rocsparse_direction_T4_S2_21rocsparse_index_base_PKT2_PKT3_PKS2_S2_S3_PS4_PS7_PS2_.has_indirect_call, 0
	.section	.AMDGPU.csdata,"",@progbits
; Kernel info:
; codeLenInByte = 14276
; TotalNumSgprs: 94
; NumVgprs: 77
; ScratchSize: 0
; MemoryBound: 0
; FloatMode: 240
; IeeeMode: 1
; LDSByteSize: 0 bytes/workgroup (compile time only)
; SGPRBlocks: 0
; VGPRBlocks: 9
; NumSGPRsForWavesPerEU: 94
; NumVGPRsForWavesPerEU: 77
; Occupancy: 12
; WaveLimiterHint : 1
; COMPUTE_PGM_RSRC2:SCRATCH_EN: 0
; COMPUTE_PGM_RSRC2:USER_SGPR: 6
; COMPUTE_PGM_RSRC2:TRAP_HANDLER: 0
; COMPUTE_PGM_RSRC2:TGID_X_EN: 1
; COMPUTE_PGM_RSRC2:TGID_Y_EN: 0
; COMPUTE_PGM_RSRC2:TGID_Z_EN: 0
; COMPUTE_PGM_RSRC2:TIDIG_COMP_CNT: 0
	.section	.text._ZN9rocsparseL35bsr2csr_block_dim_equals_one_kernelILj1024EiilEEvT2_S1_21rocsparse_index_base_PKT0_PKT1_PKS1_S2_PS3_PS6_PS1_,"axG",@progbits,_ZN9rocsparseL35bsr2csr_block_dim_equals_one_kernelILj1024EiilEEvT2_S1_21rocsparse_index_base_PKT0_PKT1_PKS1_S2_PS3_PS6_PS1_,comdat
	.globl	_ZN9rocsparseL35bsr2csr_block_dim_equals_one_kernelILj1024EiilEEvT2_S1_21rocsparse_index_base_PKT0_PKT1_PKS1_S2_PS3_PS6_PS1_ ; -- Begin function _ZN9rocsparseL35bsr2csr_block_dim_equals_one_kernelILj1024EiilEEvT2_S1_21rocsparse_index_base_PKT0_PKT1_PKS1_S2_PS3_PS6_PS1_
	.p2align	8
	.type	_ZN9rocsparseL35bsr2csr_block_dim_equals_one_kernelILj1024EiilEEvT2_S1_21rocsparse_index_base_PKT0_PKT1_PKS1_S2_PS3_PS6_PS1_,@function
_ZN9rocsparseL35bsr2csr_block_dim_equals_one_kernelILj1024EiilEEvT2_S1_21rocsparse_index_base_PKT0_PKT1_PKS1_S2_PS3_PS6_PS1_: ; @_ZN9rocsparseL35bsr2csr_block_dim_equals_one_kernelILj1024EiilEEvT2_S1_21rocsparse_index_base_PKT0_PKT1_PKS1_S2_PS3_PS6_PS1_
; %bb.0:
	s_clause 0x6
	s_load_dwordx2 s[0:1], s[4:5], 0x0
	s_load_dword s16, s[4:5], 0x10
	s_load_dwordx4 s[8:11], s[4:5], 0x18
	s_load_dwordx2 s[2:3], s[4:5], 0x28
	s_load_dwordx2 s[12:13], s[4:5], 0x48
	s_load_dword s17, s[4:5], 0x30
	s_load_dwordx2 s[14:15], s[4:5], 0x38
	v_lshl_or_b32 v0, s6, 10, v0
	v_mov_b32_e32 v1, 0
	s_mov_b32 s18, exec_lo
	s_waitcnt lgkmcnt(0)
	v_cmpx_gt_i64_e64 s[0:1], v[0:1]
	s_cbranch_execz .LBB26_6
; %bb.1:
	s_load_dwordx2 s[6:7], s[4:5], 0x40
	s_mov_b32 s19, exec_lo
                                        ; implicit-def: $sgpr20
	v_cmpx_ne_u32_e32 0, v0
	s_xor_b32 s19, exec_lo, s19
; %bb.2:
	s_sub_i32 s20, s17, s16
; %bb.3:
	s_or_saveexec_b32 s19, s19
	v_mov_b32_e32 v2, s20
	s_xor_b32 exec_lo, exec_lo, s19
	s_cbranch_execz .LBB26_5
; %bb.4:
	s_load_dword s20, s[10:11], 0x0
	s_sub_i32 s21, s17, s16
	v_mov_b32_e32 v3, 0
	v_mov_b32_e32 v2, s21
	s_waitcnt lgkmcnt(0)
	s_add_i32 s20, s21, s20
	v_mov_b32_e32 v4, s20
	global_store_dword v3, v4, s[6:7]
.LBB26_5:
	s_or_b32 exec_lo, exec_lo, s19
	v_lshlrev_b64 v[3:4], 2, v[0:1]
	v_add_co_u32 v5, vcc_lo, s10, v3
	v_add_co_ci_u32_e64 v6, null, s11, v4, vcc_lo
	global_load_dword v5, v[5:6], off offset:4
	s_waitcnt vmcnt(0)
	v_add_nc_u32_e32 v5, v2, v5
	s_waitcnt lgkmcnt(0)
	v_add_co_u32 v2, vcc_lo, s6, v3
	v_add_co_ci_u32_e64 v3, null, s7, v4, vcc_lo
	global_store_dword v[2:3], v5, off offset:4
.LBB26_6:
	s_or_b32 exec_lo, exec_lo, s18
	s_lshl_b64 s[0:1], s[0:1], 2
	s_add_u32 s0, s10, s0
	s_addc_u32 s1, s11, s1
	s_clause 0x1
	s_load_dword s0, s[0:1], 0x0
	s_load_dword s1, s[10:11], 0x0
	s_waitcnt lgkmcnt(0)
	s_sub_i32 s6, s0, s1
	s_mov_b32 s0, exec_lo
	s_ashr_i32 s7, s6, 31
	v_cmpx_gt_i64_e64 s[6:7], v[0:1]
	s_cbranch_execz .LBB26_9
; %bb.7:
	s_load_dword s0, s[4:5], 0x50
	v_lshlrev_b64 v[2:3], 2, v[0:1]
	v_lshlrev_b64 v[4:5], 3, v[0:1]
	s_sub_u32 s18, s17, s16
	s_mov_b32 s5, 0
	s_subb_u32 s19, 0, 0
	s_waitcnt lgkmcnt(0)
	s_lshl_b32 s4, s0, 10
	s_lshl_b64 s[10:11], s[4:5], 2
	s_lshl_b64 s[16:17], s[4:5], 3
	s_inst_prefetch 0x1
	.p2align	6
.LBB26_8:                               ; =>This Inner Loop Header: Depth=1
	v_add_co_u32 v6, vcc_lo, s2, v4
	v_add_co_ci_u32_e64 v7, null, s3, v5, vcc_lo
	v_add_co_u32 v8, vcc_lo, s8, v2
	v_add_co_ci_u32_e64 v9, null, s9, v3, vcc_lo
	global_load_dwordx2 v[6:7], v[6:7], off
	global_load_dword v12, v[8:9], off
	v_add_co_u32 v8, vcc_lo, s12, v4
	v_add_co_ci_u32_e64 v9, null, s13, v5, vcc_lo
	v_add_co_u32 v10, vcc_lo, s14, v2
	v_add_co_ci_u32_e64 v11, null, s15, v3, vcc_lo
	;; [unrolled: 2-line block ×4, first 2 shown]
	v_cmp_le_i64_e64 s0, s[6:7], v[0:1]
	v_add_co_u32 v4, vcc_lo, v4, s16
	v_add_co_ci_u32_e64 v5, null, s17, v5, vcc_lo
	s_or_b32 s5, s0, s5
	s_waitcnt vmcnt(1)
	v_add_co_u32 v6, s1, s18, v6
	v_add_co_ci_u32_e64 v7, null, s19, v7, s1
	s_waitcnt vmcnt(0)
	global_store_dword v[10:11], v12, off
	global_store_dwordx2 v[8:9], v[6:7], off
	s_andn2_b32 exec_lo, exec_lo, s5
	s_cbranch_execnz .LBB26_8
.LBB26_9:
	s_inst_prefetch 0x2
	s_endpgm
	.section	.rodata,"a",@progbits
	.p2align	6, 0x0
	.amdhsa_kernel _ZN9rocsparseL35bsr2csr_block_dim_equals_one_kernelILj1024EiilEEvT2_S1_21rocsparse_index_base_PKT0_PKT1_PKS1_S2_PS3_PS6_PS1_
		.amdhsa_group_segment_fixed_size 0
		.amdhsa_private_segment_fixed_size 0
		.amdhsa_kernarg_size 336
		.amdhsa_user_sgpr_count 6
		.amdhsa_user_sgpr_private_segment_buffer 1
		.amdhsa_user_sgpr_dispatch_ptr 0
		.amdhsa_user_sgpr_queue_ptr 0
		.amdhsa_user_sgpr_kernarg_segment_ptr 1
		.amdhsa_user_sgpr_dispatch_id 0
		.amdhsa_user_sgpr_flat_scratch_init 0
		.amdhsa_user_sgpr_private_segment_size 0
		.amdhsa_wavefront_size32 1
		.amdhsa_uses_dynamic_stack 0
		.amdhsa_system_sgpr_private_segment_wavefront_offset 0
		.amdhsa_system_sgpr_workgroup_id_x 1
		.amdhsa_system_sgpr_workgroup_id_y 0
		.amdhsa_system_sgpr_workgroup_id_z 0
		.amdhsa_system_sgpr_workgroup_info 0
		.amdhsa_system_vgpr_workitem_id 0
		.amdhsa_next_free_vgpr 13
		.amdhsa_next_free_sgpr 22
		.amdhsa_reserve_vcc 1
		.amdhsa_reserve_flat_scratch 0
		.amdhsa_float_round_mode_32 0
		.amdhsa_float_round_mode_16_64 0
		.amdhsa_float_denorm_mode_32 3
		.amdhsa_float_denorm_mode_16_64 3
		.amdhsa_dx10_clamp 1
		.amdhsa_ieee_mode 1
		.amdhsa_fp16_overflow 0
		.amdhsa_workgroup_processor_mode 1
		.amdhsa_memory_ordered 1
		.amdhsa_forward_progress 1
		.amdhsa_shared_vgpr_count 0
		.amdhsa_exception_fp_ieee_invalid_op 0
		.amdhsa_exception_fp_denorm_src 0
		.amdhsa_exception_fp_ieee_div_zero 0
		.amdhsa_exception_fp_ieee_overflow 0
		.amdhsa_exception_fp_ieee_underflow 0
		.amdhsa_exception_fp_ieee_inexact 0
		.amdhsa_exception_int_div_zero 0
	.end_amdhsa_kernel
	.section	.text._ZN9rocsparseL35bsr2csr_block_dim_equals_one_kernelILj1024EiilEEvT2_S1_21rocsparse_index_base_PKT0_PKT1_PKS1_S2_PS3_PS6_PS1_,"axG",@progbits,_ZN9rocsparseL35bsr2csr_block_dim_equals_one_kernelILj1024EiilEEvT2_S1_21rocsparse_index_base_PKT0_PKT1_PKS1_S2_PS3_PS6_PS1_,comdat
.Lfunc_end26:
	.size	_ZN9rocsparseL35bsr2csr_block_dim_equals_one_kernelILj1024EiilEEvT2_S1_21rocsparse_index_base_PKT0_PKT1_PKS1_S2_PS3_PS6_PS1_, .Lfunc_end26-_ZN9rocsparseL35bsr2csr_block_dim_equals_one_kernelILj1024EiilEEvT2_S1_21rocsparse_index_base_PKT0_PKT1_PKS1_S2_PS3_PS6_PS1_
                                        ; -- End function
	.set _ZN9rocsparseL35bsr2csr_block_dim_equals_one_kernelILj1024EiilEEvT2_S1_21rocsparse_index_base_PKT0_PKT1_PKS1_S2_PS3_PS6_PS1_.num_vgpr, 13
	.set _ZN9rocsparseL35bsr2csr_block_dim_equals_one_kernelILj1024EiilEEvT2_S1_21rocsparse_index_base_PKT0_PKT1_PKS1_S2_PS3_PS6_PS1_.num_agpr, 0
	.set _ZN9rocsparseL35bsr2csr_block_dim_equals_one_kernelILj1024EiilEEvT2_S1_21rocsparse_index_base_PKT0_PKT1_PKS1_S2_PS3_PS6_PS1_.numbered_sgpr, 22
	.set _ZN9rocsparseL35bsr2csr_block_dim_equals_one_kernelILj1024EiilEEvT2_S1_21rocsparse_index_base_PKT0_PKT1_PKS1_S2_PS3_PS6_PS1_.num_named_barrier, 0
	.set _ZN9rocsparseL35bsr2csr_block_dim_equals_one_kernelILj1024EiilEEvT2_S1_21rocsparse_index_base_PKT0_PKT1_PKS1_S2_PS3_PS6_PS1_.private_seg_size, 0
	.set _ZN9rocsparseL35bsr2csr_block_dim_equals_one_kernelILj1024EiilEEvT2_S1_21rocsparse_index_base_PKT0_PKT1_PKS1_S2_PS3_PS6_PS1_.uses_vcc, 1
	.set _ZN9rocsparseL35bsr2csr_block_dim_equals_one_kernelILj1024EiilEEvT2_S1_21rocsparse_index_base_PKT0_PKT1_PKS1_S2_PS3_PS6_PS1_.uses_flat_scratch, 0
	.set _ZN9rocsparseL35bsr2csr_block_dim_equals_one_kernelILj1024EiilEEvT2_S1_21rocsparse_index_base_PKT0_PKT1_PKS1_S2_PS3_PS6_PS1_.has_dyn_sized_stack, 0
	.set _ZN9rocsparseL35bsr2csr_block_dim_equals_one_kernelILj1024EiilEEvT2_S1_21rocsparse_index_base_PKT0_PKT1_PKS1_S2_PS3_PS6_PS1_.has_recursion, 0
	.set _ZN9rocsparseL35bsr2csr_block_dim_equals_one_kernelILj1024EiilEEvT2_S1_21rocsparse_index_base_PKT0_PKT1_PKS1_S2_PS3_PS6_PS1_.has_indirect_call, 0
	.section	.AMDGPU.csdata,"",@progbits
; Kernel info:
; codeLenInByte = 580
; TotalNumSgprs: 24
; NumVgprs: 13
; ScratchSize: 0
; MemoryBound: 0
; FloatMode: 240
; IeeeMode: 1
; LDSByteSize: 0 bytes/workgroup (compile time only)
; SGPRBlocks: 0
; VGPRBlocks: 1
; NumSGPRsForWavesPerEU: 24
; NumVGPRsForWavesPerEU: 13
; Occupancy: 16
; WaveLimiterHint : 0
; COMPUTE_PGM_RSRC2:SCRATCH_EN: 0
; COMPUTE_PGM_RSRC2:USER_SGPR: 6
; COMPUTE_PGM_RSRC2:TRAP_HANDLER: 0
; COMPUTE_PGM_RSRC2:TGID_X_EN: 1
; COMPUTE_PGM_RSRC2:TGID_Y_EN: 0
; COMPUTE_PGM_RSRC2:TGID_Z_EN: 0
; COMPUTE_PGM_RSRC2:TIDIG_COMP_CNT: 0
	.section	.text._ZN9rocsparseL32bsr2csr_block_per_row_2_7_kernelILj256ELj2EiilEEv20rocsparse_direction_T3_S2_21rocsparse_index_base_PKT1_PKT2_PKS2_S2_S3_PS4_PS7_PS2_,"axG",@progbits,_ZN9rocsparseL32bsr2csr_block_per_row_2_7_kernelILj256ELj2EiilEEv20rocsparse_direction_T3_S2_21rocsparse_index_base_PKT1_PKT2_PKS2_S2_S3_PS4_PS7_PS2_,comdat
	.globl	_ZN9rocsparseL32bsr2csr_block_per_row_2_7_kernelILj256ELj2EiilEEv20rocsparse_direction_T3_S2_21rocsparse_index_base_PKT1_PKT2_PKS2_S2_S3_PS4_PS7_PS2_ ; -- Begin function _ZN9rocsparseL32bsr2csr_block_per_row_2_7_kernelILj256ELj2EiilEEv20rocsparse_direction_T3_S2_21rocsparse_index_base_PKT1_PKT2_PKS2_S2_S3_PS4_PS7_PS2_
	.p2align	8
	.type	_ZN9rocsparseL32bsr2csr_block_per_row_2_7_kernelILj256ELj2EiilEEv20rocsparse_direction_T3_S2_21rocsparse_index_base_PKT1_PKT2_PKS2_S2_S3_PS4_PS7_PS2_,@function
_ZN9rocsparseL32bsr2csr_block_per_row_2_7_kernelILj256ELj2EiilEEv20rocsparse_direction_T3_S2_21rocsparse_index_base_PKT1_PKT2_PKS2_S2_S3_PS4_PS7_PS2_: ; @_ZN9rocsparseL32bsr2csr_block_per_row_2_7_kernelILj256ELj2EiilEEv20rocsparse_direction_T3_S2_21rocsparse_index_base_PKT1_PKT2_PKS2_S2_S3_PS4_PS7_PS2_
; %bb.0:
	s_load_dwordx2 s[0:1], s[4:5], 0x28
	s_mov_b32 s7, 0
	s_clause 0x1
	s_load_dword s12, s[4:5], 0x40
	s_load_dwordx2 s[2:3], s[4:5], 0x50
	s_lshl_b64 s[8:9], s[6:7], 2
	v_or_b32_e32 v1, s6, v0
	s_waitcnt lgkmcnt(0)
	s_add_u32 s0, s0, s8
	s_addc_u32 s1, s1, s9
	s_mov_b32 s8, exec_lo
	s_load_dwordx2 s[0:1], s[0:1], 0x0
	v_cmpx_eq_u32_e32 0, v1
	s_cbranch_execz .LBB27_2
; %bb.1:
	v_mov_b32_e32 v1, 0
	v_mov_b32_e32 v2, s12
	global_store_dword v1, v2, s[2:3]
.LBB27_2:
	s_or_b32 exec_lo, exec_lo, s8
	s_load_dword s13, s[4:5], 0x18
	v_and_b32_e32 v8, 1, v0
	v_lshrrev_b32_e32 v2, 1, v0
	s_lshl_b64 s[6:7], s[6:7], 3
	v_lshlrev_b32_e32 v4, 2, v8
	s_waitcnt lgkmcnt(0)
	s_sub_i32 s8, s0, s13
	s_sub_i32 s14, s1, s13
	s_lshl_b32 s9, s8, 2
	s_sub_i32 s1, s14, s8
	v_add_nc_u32_e32 v0, s8, v2
	s_lshl_b32 s1, s1, 1
	v_mul_lo_u32 v1, s1, v8
	s_add_i32 s1, s1, s12
	s_add_u32 s2, s2, s6
	s_addc_u32 s3, s3, s7
	v_add3_u32 v3, s1, s9, v1
	s_mov_b32 s1, exec_lo
	global_store_dword v4, v3, s[2:3] offset:4
	v_cmpx_gt_i32_e64 s14, v0
	s_cbranch_execz .LBB27_5
; %bb.3:
	s_clause 0x4
	s_load_dwordx2 s[6:7], s[4:5], 0x30
	s_load_dwordx2 s[8:9], s[4:5], 0x48
	s_load_dword s1, s[4:5], 0x0
	s_load_dwordx2 s[10:11], s[4:5], 0x20
	s_load_dwordx2 s[4:5], s[4:5], 0x58
	v_lshlrev_b32_e32 v2, 1, v2
	v_lshlrev_b32_e32 v4, 3, v8
	v_mov_b32_e32 v3, 0
	v_lshlrev_b32_e32 v6, 2, v0
	s_mov_b32 s3, 0
	s_waitcnt lgkmcnt(0)
	s_cmp_eq_u32 s1, 0
	s_cselect_b32 vcc_lo, -1, 0
	s_lshl_b32 s0, s0, 2
	s_lshl_b32 s1, s13, 2
	v_add3_u32 v1, v1, s0, v2
	v_add_co_u32 v9, s0, s10, v4
	v_add_co_ci_u32_e64 v10, null, s11, 0, s0
	v_subrev_nc_u32_e32 v4, s1, v1
.LBB27_4:                               ; =>This Inner Loop Header: Depth=1
	v_ashrrev_i32_e32 v1, 31, v0
	v_mov_b32_e32 v7, v3
	v_add_nc_u32_e32 v2, v8, v6
	v_lshlrev_b64 v[11:12], 3, v[0:1]
	v_lshlrev_b64 v[13:14], 2, v[6:7]
	;; [unrolled: 1-line block ×3, first 2 shown]
	v_add_nc_u32_e32 v0, 0x80, v0
	v_add_nc_u32_e32 v6, 0x200, v6
	v_add_co_u32 v11, s0, s6, v11
	v_add_co_ci_u32_e64 v12, null, s7, v12, s0
	v_add_co_u32 v5, s1, v9, v13
	v_add_co_u32 v1, s0, s10, v1
	global_load_dwordx2 v[11:12], v[11:12], off
	v_add_co_ci_u32_e64 v7, null, v10, v14, s1
	v_add_co_ci_u32_e64 v2, null, s11, v2, s0
	v_add_co_u32 v13, s0, v5, 4
	v_add_co_ci_u32_e64 v14, null, 0, v7, s0
	v_add_co_u32 v15, s0, v1, 8
	v_add_co_ci_u32_e64 v16, null, 0, v2, s0
	v_cndmask_b32_e32 v2, v2, v7, vcc_lo
	v_cndmask_b32_e32 v1, v1, v5, vcc_lo
	;; [unrolled: 1-line block ×4, first 2 shown]
	global_load_dword v1, v[1:2], off
	global_load_dword v2, v[13:14], off
	v_ashrrev_i32_e32 v5, 31, v4
	v_cmp_le_i32_e64 s0, s14, v0
	v_lshlrev_b64 v[13:14], 3, v[4:5]
	v_lshlrev_b64 v[15:16], 2, v[4:5]
	v_add_nc_u32_e32 v4, 0x100, v4
	s_or_b32 s3, s0, s3
	v_add_co_u32 v17, s1, s4, v13
	v_add_co_ci_u32_e64 v18, null, s5, v14, s1
	v_add_co_u32 v15, s1, s8, v15
	v_add_co_ci_u32_e64 v16, null, s9, v16, s1
	s_waitcnt vmcnt(2)
	v_sub_co_u32 v11, s2, v11, s13
	v_subrev_co_ci_u32_e64 v12, null, 0, v12, s2
	v_lshlrev_b64 v[11:12], 1, v[11:12]
	v_add_co_u32 v11, s2, v11, s12
	v_add_co_ci_u32_e64 v12, null, 0, v12, s2
	v_add_co_u32 v13, s1, v11, 1
	v_add_co_ci_u32_e64 v14, null, 0, v12, s1
	s_waitcnt vmcnt(0)
	global_store_dwordx2 v[15:16], v[1:2], off
	global_store_dwordx4 v[17:18], v[11:14], off
	s_andn2_b32 exec_lo, exec_lo, s3
	s_cbranch_execnz .LBB27_4
.LBB27_5:
	s_endpgm
	.section	.rodata,"a",@progbits
	.p2align	6, 0x0
	.amdhsa_kernel _ZN9rocsparseL32bsr2csr_block_per_row_2_7_kernelILj256ELj2EiilEEv20rocsparse_direction_T3_S2_21rocsparse_index_base_PKT1_PKT2_PKS2_S2_S3_PS4_PS7_PS2_
		.amdhsa_group_segment_fixed_size 0
		.amdhsa_private_segment_fixed_size 0
		.amdhsa_kernarg_size 96
		.amdhsa_user_sgpr_count 6
		.amdhsa_user_sgpr_private_segment_buffer 1
		.amdhsa_user_sgpr_dispatch_ptr 0
		.amdhsa_user_sgpr_queue_ptr 0
		.amdhsa_user_sgpr_kernarg_segment_ptr 1
		.amdhsa_user_sgpr_dispatch_id 0
		.amdhsa_user_sgpr_flat_scratch_init 0
		.amdhsa_user_sgpr_private_segment_size 0
		.amdhsa_wavefront_size32 1
		.amdhsa_uses_dynamic_stack 0
		.amdhsa_system_sgpr_private_segment_wavefront_offset 0
		.amdhsa_system_sgpr_workgroup_id_x 1
		.amdhsa_system_sgpr_workgroup_id_y 0
		.amdhsa_system_sgpr_workgroup_id_z 0
		.amdhsa_system_sgpr_workgroup_info 0
		.amdhsa_system_vgpr_workitem_id 0
		.amdhsa_next_free_vgpr 19
		.amdhsa_next_free_sgpr 15
		.amdhsa_reserve_vcc 1
		.amdhsa_reserve_flat_scratch 0
		.amdhsa_float_round_mode_32 0
		.amdhsa_float_round_mode_16_64 0
		.amdhsa_float_denorm_mode_32 3
		.amdhsa_float_denorm_mode_16_64 3
		.amdhsa_dx10_clamp 1
		.amdhsa_ieee_mode 1
		.amdhsa_fp16_overflow 0
		.amdhsa_workgroup_processor_mode 1
		.amdhsa_memory_ordered 1
		.amdhsa_forward_progress 1
		.amdhsa_shared_vgpr_count 0
		.amdhsa_exception_fp_ieee_invalid_op 0
		.amdhsa_exception_fp_denorm_src 0
		.amdhsa_exception_fp_ieee_div_zero 0
		.amdhsa_exception_fp_ieee_overflow 0
		.amdhsa_exception_fp_ieee_underflow 0
		.amdhsa_exception_fp_ieee_inexact 0
		.amdhsa_exception_int_div_zero 0
	.end_amdhsa_kernel
	.section	.text._ZN9rocsparseL32bsr2csr_block_per_row_2_7_kernelILj256ELj2EiilEEv20rocsparse_direction_T3_S2_21rocsparse_index_base_PKT1_PKT2_PKS2_S2_S3_PS4_PS7_PS2_,"axG",@progbits,_ZN9rocsparseL32bsr2csr_block_per_row_2_7_kernelILj256ELj2EiilEEv20rocsparse_direction_T3_S2_21rocsparse_index_base_PKT1_PKT2_PKS2_S2_S3_PS4_PS7_PS2_,comdat
.Lfunc_end27:
	.size	_ZN9rocsparseL32bsr2csr_block_per_row_2_7_kernelILj256ELj2EiilEEv20rocsparse_direction_T3_S2_21rocsparse_index_base_PKT1_PKT2_PKS2_S2_S3_PS4_PS7_PS2_, .Lfunc_end27-_ZN9rocsparseL32bsr2csr_block_per_row_2_7_kernelILj256ELj2EiilEEv20rocsparse_direction_T3_S2_21rocsparse_index_base_PKT1_PKT2_PKS2_S2_S3_PS4_PS7_PS2_
                                        ; -- End function
	.set _ZN9rocsparseL32bsr2csr_block_per_row_2_7_kernelILj256ELj2EiilEEv20rocsparse_direction_T3_S2_21rocsparse_index_base_PKT1_PKT2_PKS2_S2_S3_PS4_PS7_PS2_.num_vgpr, 19
	.set _ZN9rocsparseL32bsr2csr_block_per_row_2_7_kernelILj256ELj2EiilEEv20rocsparse_direction_T3_S2_21rocsparse_index_base_PKT1_PKT2_PKS2_S2_S3_PS4_PS7_PS2_.num_agpr, 0
	.set _ZN9rocsparseL32bsr2csr_block_per_row_2_7_kernelILj256ELj2EiilEEv20rocsparse_direction_T3_S2_21rocsparse_index_base_PKT1_PKT2_PKS2_S2_S3_PS4_PS7_PS2_.numbered_sgpr, 15
	.set _ZN9rocsparseL32bsr2csr_block_per_row_2_7_kernelILj256ELj2EiilEEv20rocsparse_direction_T3_S2_21rocsparse_index_base_PKT1_PKT2_PKS2_S2_S3_PS4_PS7_PS2_.num_named_barrier, 0
	.set _ZN9rocsparseL32bsr2csr_block_per_row_2_7_kernelILj256ELj2EiilEEv20rocsparse_direction_T3_S2_21rocsparse_index_base_PKT1_PKT2_PKS2_S2_S3_PS4_PS7_PS2_.private_seg_size, 0
	.set _ZN9rocsparseL32bsr2csr_block_per_row_2_7_kernelILj256ELj2EiilEEv20rocsparse_direction_T3_S2_21rocsparse_index_base_PKT1_PKT2_PKS2_S2_S3_PS4_PS7_PS2_.uses_vcc, 1
	.set _ZN9rocsparseL32bsr2csr_block_per_row_2_7_kernelILj256ELj2EiilEEv20rocsparse_direction_T3_S2_21rocsparse_index_base_PKT1_PKT2_PKS2_S2_S3_PS4_PS7_PS2_.uses_flat_scratch, 0
	.set _ZN9rocsparseL32bsr2csr_block_per_row_2_7_kernelILj256ELj2EiilEEv20rocsparse_direction_T3_S2_21rocsparse_index_base_PKT1_PKT2_PKS2_S2_S3_PS4_PS7_PS2_.has_dyn_sized_stack, 0
	.set _ZN9rocsparseL32bsr2csr_block_per_row_2_7_kernelILj256ELj2EiilEEv20rocsparse_direction_T3_S2_21rocsparse_index_base_PKT1_PKT2_PKS2_S2_S3_PS4_PS7_PS2_.has_recursion, 0
	.set _ZN9rocsparseL32bsr2csr_block_per_row_2_7_kernelILj256ELj2EiilEEv20rocsparse_direction_T3_S2_21rocsparse_index_base_PKT1_PKT2_PKS2_S2_S3_PS4_PS7_PS2_.has_indirect_call, 0
	.section	.AMDGPU.csdata,"",@progbits
; Kernel info:
; codeLenInByte = 644
; TotalNumSgprs: 17
; NumVgprs: 19
; ScratchSize: 0
; MemoryBound: 0
; FloatMode: 240
; IeeeMode: 1
; LDSByteSize: 0 bytes/workgroup (compile time only)
; SGPRBlocks: 0
; VGPRBlocks: 2
; NumSGPRsForWavesPerEU: 17
; NumVGPRsForWavesPerEU: 19
; Occupancy: 16
; WaveLimiterHint : 0
; COMPUTE_PGM_RSRC2:SCRATCH_EN: 0
; COMPUTE_PGM_RSRC2:USER_SGPR: 6
; COMPUTE_PGM_RSRC2:TRAP_HANDLER: 0
; COMPUTE_PGM_RSRC2:TGID_X_EN: 1
; COMPUTE_PGM_RSRC2:TGID_Y_EN: 0
; COMPUTE_PGM_RSRC2:TGID_Z_EN: 0
; COMPUTE_PGM_RSRC2:TIDIG_COMP_CNT: 0
	.section	.text._ZN9rocsparseL32bsr2csr_block_per_row_2_7_kernelILj256ELj3EiilEEv20rocsparse_direction_T3_S2_21rocsparse_index_base_PKT1_PKT2_PKS2_S2_S3_PS4_PS7_PS2_,"axG",@progbits,_ZN9rocsparseL32bsr2csr_block_per_row_2_7_kernelILj256ELj3EiilEEv20rocsparse_direction_T3_S2_21rocsparse_index_base_PKT1_PKT2_PKS2_S2_S3_PS4_PS7_PS2_,comdat
	.globl	_ZN9rocsparseL32bsr2csr_block_per_row_2_7_kernelILj256ELj3EiilEEv20rocsparse_direction_T3_S2_21rocsparse_index_base_PKT1_PKT2_PKS2_S2_S3_PS4_PS7_PS2_ ; -- Begin function _ZN9rocsparseL32bsr2csr_block_per_row_2_7_kernelILj256ELj3EiilEEv20rocsparse_direction_T3_S2_21rocsparse_index_base_PKT1_PKT2_PKS2_S2_S3_PS4_PS7_PS2_
	.p2align	8
	.type	_ZN9rocsparseL32bsr2csr_block_per_row_2_7_kernelILj256ELj3EiilEEv20rocsparse_direction_T3_S2_21rocsparse_index_base_PKT1_PKT2_PKS2_S2_S3_PS4_PS7_PS2_,@function
_ZN9rocsparseL32bsr2csr_block_per_row_2_7_kernelILj256ELj3EiilEEv20rocsparse_direction_T3_S2_21rocsparse_index_base_PKT1_PKT2_PKS2_S2_S3_PS4_PS7_PS2_: ; @_ZN9rocsparseL32bsr2csr_block_per_row_2_7_kernelILj256ELj3EiilEEv20rocsparse_direction_T3_S2_21rocsparse_index_base_PKT1_PKT2_PKS2_S2_S3_PS4_PS7_PS2_
; %bb.0:
	s_clause 0x2
	s_load_dwordx2 s[2:3], s[4:5], 0x28
	s_load_dword s8, s[4:5], 0x40
	s_load_dwordx2 s[0:1], s[4:5], 0x50
	s_mov_b32 s7, 0
	v_or_b32_e32 v1, s6, v0
	s_lshl_b64 s[10:11], s[6:7], 2
	s_mov_b32 s7, exec_lo
	s_waitcnt lgkmcnt(0)
	s_add_u32 s2, s2, s10
	s_addc_u32 s3, s3, s11
	v_cmpx_eq_u32_e32 0, v1
	s_cbranch_execz .LBB28_2
; %bb.1:
	v_mov_b32_e32 v1, 0
	v_mov_b32_e32 v2, s8
	global_store_dword v1, v2, s[0:1]
.LBB28_2:
	s_or_b32 exec_lo, exec_lo, s7
	v_and_b32_e32 v1, 3, v0
	s_mov_b32 s7, exec_lo
	v_cmpx_ne_u32_e32 3, v1
	s_cbranch_execz .LBB28_6
; %bb.3:
	s_load_dwordx2 s[2:3], s[2:3], 0x0
	s_load_dword s12, s[4:5], 0x18
	v_lshrrev_b32_e32 v2, 2, v0
	s_mul_hi_u32 s10, s6, 12
	s_mul_i32 s6, s6, 12
	v_lshlrev_b32_e32 v5, 2, v1
	s_waitcnt lgkmcnt(0)
	s_sub_i32 s7, s2, s12
	s_sub_i32 s3, s3, s12
	v_add_nc_u32_e32 v0, s7, v2
	s_sub_i32 s9, s3, s7
	s_mul_i32 s11, s7, 9
	s_mul_i32 s9, s9, 3
	v_mul_lo_u32 v4, s9, v1
	s_add_i32 s9, s9, s8
	v_cmp_gt_i32_e32 vcc_lo, s3, v0
	s_add_u32 s0, s0, s6
	s_addc_u32 s1, s1, s10
	v_add3_u32 v3, s9, s11, v4
	global_store_dword v5, v3, s[0:1] offset:4
	s_and_b32 exec_lo, exec_lo, vcc_lo
	s_cbranch_execz .LBB28_6
; %bb.4:
	s_clause 0x4
	s_load_dwordx2 s[0:1], s[4:5], 0x20
	s_load_dwordx2 s[6:7], s[4:5], 0x30
	;; [unrolled: 1-line block ×3, first 2 shown]
	s_load_dword s9, s[4:5], 0x0
	s_load_dwordx2 s[4:5], s[4:5], 0x58
	v_mul_u32_u24_e32 v6, 3, v2
	s_mul_i32 s2, s2, 9
	v_lshlrev_b32_e32 v1, 3, v1
	s_mul_i32 s13, s12, 9
	v_mov_b32_e32 v3, 0
	v_add3_u32 v4, v4, s2, v6
	v_lshl_add_u32 v2, v0, 3, v0
	v_subrev_nc_u32_e32 v4, s13, v4
	s_waitcnt lgkmcnt(0)
	v_add_co_u32 v6, s0, s0, v5
	v_add_co_ci_u32_e64 v7, null, s1, 0, s0
	s_cmp_eq_u32 s9, 0
	v_add_co_u32 v8, vcc_lo, v6, v1
	v_add_co_ci_u32_e64 v9, null, 0, v7, vcc_lo
	s_mov_b32 s9, 0
	s_cselect_b32 vcc_lo, -1, 0
	s_mov_b32 s13, s9
.LBB28_5:                               ; =>This Inner Loop Header: Depth=1
	v_ashrrev_i32_e32 v1, 31, v0
	v_lshlrev_b64 v[10:11], 2, v[2:3]
	v_add_nc_u32_e32 v2, 0x240, v2
	v_lshlrev_b64 v[12:13], 3, v[0:1]
	v_add_nc_u32_e32 v0, 64, v0
	v_add_co_u32 v5, s1, v8, v10
	v_add_co_u32 v1, s0, v6, v10
	;; [unrolled: 1-line block ×3, first 2 shown]
	v_add_co_ci_u32_e64 v13, null, s7, v13, s2
	v_add_co_ci_u32_e64 v10, null, v9, v11, s1
	;; [unrolled: 1-line block ×3, first 2 shown]
	global_load_dwordx2 v[12:13], v[12:13], off
	v_add_co_u32 v14, s0, v5, 4
	v_add_co_ci_u32_e64 v15, null, 0, v10, s0
	v_add_co_u32 v17, s0, v1, 12
	v_add_co_ci_u32_e64 v16, null, 0, v11, s0
	;; [unrolled: 2-line block ×4, first 2 shown]
	v_cndmask_b32_e32 v11, v11, v10, vcc_lo
	v_cndmask_b32_e32 v10, v1, v5, vcc_lo
	;; [unrolled: 1-line block ×6, first 2 shown]
	global_load_dword v14, v[10:11], off
	global_load_dword v15, v[15:16], off
	global_load_dword v16, v[17:18], off
	v_ashrrev_i32_e32 v5, 31, v4
	v_cmp_le_i32_e64 s0, s3, v0
	v_lshlrev_b64 v[17:18], 3, v[4:5]
	v_lshlrev_b64 v[19:20], 2, v[4:5]
	v_add_nc_u32_e32 v4, 0xc0, v4
	s_or_b32 s13, s0, s13
	s_waitcnt vmcnt(3)
	v_sub_co_u32 v1, s1, v12, s12
	v_subrev_co_ci_u32_e64 v5, null, 0, v13, s1
	v_add_co_u32 v17, s1, s4, v17
	v_mad_u64_u32 v[10:11], null, v1, 3, s[8:9]
	v_add_co_ci_u32_e64 v18, null, s5, v18, s1
	v_add_co_u32 v19, s1, s10, v19
	v_add_co_ci_u32_e64 v20, null, s11, v20, s1
	v_mov_b32_e32 v1, v11
	v_add_co_u32 v21, s1, v10, 2
	v_mad_u64_u32 v[11:12], null, v5, 3, v[1:2]
	v_add_co_u32 v12, s2, v10, 1
	v_add_co_ci_u32_e64 v13, null, 0, v11, s2
	v_add_co_ci_u32_e64 v22, null, 0, v11, s1
	s_waitcnt vmcnt(0)
	global_store_dwordx3 v[19:20], v[14:16], off
	global_store_dwordx4 v[17:18], v[10:13], off
	global_store_dwordx2 v[17:18], v[21:22], off offset:16
	s_andn2_b32 exec_lo, exec_lo, s13
	s_cbranch_execnz .LBB28_5
.LBB28_6:
	s_endpgm
	.section	.rodata,"a",@progbits
	.p2align	6, 0x0
	.amdhsa_kernel _ZN9rocsparseL32bsr2csr_block_per_row_2_7_kernelILj256ELj3EiilEEv20rocsparse_direction_T3_S2_21rocsparse_index_base_PKT1_PKT2_PKS2_S2_S3_PS4_PS7_PS2_
		.amdhsa_group_segment_fixed_size 0
		.amdhsa_private_segment_fixed_size 0
		.amdhsa_kernarg_size 96
		.amdhsa_user_sgpr_count 6
		.amdhsa_user_sgpr_private_segment_buffer 1
		.amdhsa_user_sgpr_dispatch_ptr 0
		.amdhsa_user_sgpr_queue_ptr 0
		.amdhsa_user_sgpr_kernarg_segment_ptr 1
		.amdhsa_user_sgpr_dispatch_id 0
		.amdhsa_user_sgpr_flat_scratch_init 0
		.amdhsa_user_sgpr_private_segment_size 0
		.amdhsa_wavefront_size32 1
		.amdhsa_uses_dynamic_stack 0
		.amdhsa_system_sgpr_private_segment_wavefront_offset 0
		.amdhsa_system_sgpr_workgroup_id_x 1
		.amdhsa_system_sgpr_workgroup_id_y 0
		.amdhsa_system_sgpr_workgroup_id_z 0
		.amdhsa_system_sgpr_workgroup_info 0
		.amdhsa_system_vgpr_workitem_id 0
		.amdhsa_next_free_vgpr 23
		.amdhsa_next_free_sgpr 14
		.amdhsa_reserve_vcc 1
		.amdhsa_reserve_flat_scratch 0
		.amdhsa_float_round_mode_32 0
		.amdhsa_float_round_mode_16_64 0
		.amdhsa_float_denorm_mode_32 3
		.amdhsa_float_denorm_mode_16_64 3
		.amdhsa_dx10_clamp 1
		.amdhsa_ieee_mode 1
		.amdhsa_fp16_overflow 0
		.amdhsa_workgroup_processor_mode 1
		.amdhsa_memory_ordered 1
		.amdhsa_forward_progress 1
		.amdhsa_shared_vgpr_count 0
		.amdhsa_exception_fp_ieee_invalid_op 0
		.amdhsa_exception_fp_denorm_src 0
		.amdhsa_exception_fp_ieee_div_zero 0
		.amdhsa_exception_fp_ieee_overflow 0
		.amdhsa_exception_fp_ieee_underflow 0
		.amdhsa_exception_fp_ieee_inexact 0
		.amdhsa_exception_int_div_zero 0
	.end_amdhsa_kernel
	.section	.text._ZN9rocsparseL32bsr2csr_block_per_row_2_7_kernelILj256ELj3EiilEEv20rocsparse_direction_T3_S2_21rocsparse_index_base_PKT1_PKT2_PKS2_S2_S3_PS4_PS7_PS2_,"axG",@progbits,_ZN9rocsparseL32bsr2csr_block_per_row_2_7_kernelILj256ELj3EiilEEv20rocsparse_direction_T3_S2_21rocsparse_index_base_PKT1_PKT2_PKS2_S2_S3_PS4_PS7_PS2_,comdat
.Lfunc_end28:
	.size	_ZN9rocsparseL32bsr2csr_block_per_row_2_7_kernelILj256ELj3EiilEEv20rocsparse_direction_T3_S2_21rocsparse_index_base_PKT1_PKT2_PKS2_S2_S3_PS4_PS7_PS2_, .Lfunc_end28-_ZN9rocsparseL32bsr2csr_block_per_row_2_7_kernelILj256ELj3EiilEEv20rocsparse_direction_T3_S2_21rocsparse_index_base_PKT1_PKT2_PKS2_S2_S3_PS4_PS7_PS2_
                                        ; -- End function
	.set _ZN9rocsparseL32bsr2csr_block_per_row_2_7_kernelILj256ELj3EiilEEv20rocsparse_direction_T3_S2_21rocsparse_index_base_PKT1_PKT2_PKS2_S2_S3_PS4_PS7_PS2_.num_vgpr, 23
	.set _ZN9rocsparseL32bsr2csr_block_per_row_2_7_kernelILj256ELj3EiilEEv20rocsparse_direction_T3_S2_21rocsparse_index_base_PKT1_PKT2_PKS2_S2_S3_PS4_PS7_PS2_.num_agpr, 0
	.set _ZN9rocsparseL32bsr2csr_block_per_row_2_7_kernelILj256ELj3EiilEEv20rocsparse_direction_T3_S2_21rocsparse_index_base_PKT1_PKT2_PKS2_S2_S3_PS4_PS7_PS2_.numbered_sgpr, 14
	.set _ZN9rocsparseL32bsr2csr_block_per_row_2_7_kernelILj256ELj3EiilEEv20rocsparse_direction_T3_S2_21rocsparse_index_base_PKT1_PKT2_PKS2_S2_S3_PS4_PS7_PS2_.num_named_barrier, 0
	.set _ZN9rocsparseL32bsr2csr_block_per_row_2_7_kernelILj256ELj3EiilEEv20rocsparse_direction_T3_S2_21rocsparse_index_base_PKT1_PKT2_PKS2_S2_S3_PS4_PS7_PS2_.private_seg_size, 0
	.set _ZN9rocsparseL32bsr2csr_block_per_row_2_7_kernelILj256ELj3EiilEEv20rocsparse_direction_T3_S2_21rocsparse_index_base_PKT1_PKT2_PKS2_S2_S3_PS4_PS7_PS2_.uses_vcc, 1
	.set _ZN9rocsparseL32bsr2csr_block_per_row_2_7_kernelILj256ELj3EiilEEv20rocsparse_direction_T3_S2_21rocsparse_index_base_PKT1_PKT2_PKS2_S2_S3_PS4_PS7_PS2_.uses_flat_scratch, 0
	.set _ZN9rocsparseL32bsr2csr_block_per_row_2_7_kernelILj256ELj3EiilEEv20rocsparse_direction_T3_S2_21rocsparse_index_base_PKT1_PKT2_PKS2_S2_S3_PS4_PS7_PS2_.has_dyn_sized_stack, 0
	.set _ZN9rocsparseL32bsr2csr_block_per_row_2_7_kernelILj256ELj3EiilEEv20rocsparse_direction_T3_S2_21rocsparse_index_base_PKT1_PKT2_PKS2_S2_S3_PS4_PS7_PS2_.has_recursion, 0
	.set _ZN9rocsparseL32bsr2csr_block_per_row_2_7_kernelILj256ELj3EiilEEv20rocsparse_direction_T3_S2_21rocsparse_index_base_PKT1_PKT2_PKS2_S2_S3_PS4_PS7_PS2_.has_indirect_call, 0
	.section	.AMDGPU.csdata,"",@progbits
; Kernel info:
; codeLenInByte = 728
; TotalNumSgprs: 16
; NumVgprs: 23
; ScratchSize: 0
; MemoryBound: 0
; FloatMode: 240
; IeeeMode: 1
; LDSByteSize: 0 bytes/workgroup (compile time only)
; SGPRBlocks: 0
; VGPRBlocks: 2
; NumSGPRsForWavesPerEU: 16
; NumVGPRsForWavesPerEU: 23
; Occupancy: 16
; WaveLimiterHint : 0
; COMPUTE_PGM_RSRC2:SCRATCH_EN: 0
; COMPUTE_PGM_RSRC2:USER_SGPR: 6
; COMPUTE_PGM_RSRC2:TRAP_HANDLER: 0
; COMPUTE_PGM_RSRC2:TGID_X_EN: 1
; COMPUTE_PGM_RSRC2:TGID_Y_EN: 0
; COMPUTE_PGM_RSRC2:TGID_Z_EN: 0
; COMPUTE_PGM_RSRC2:TIDIG_COMP_CNT: 0
	.section	.text._ZN9rocsparseL32bsr2csr_block_per_row_2_7_kernelILj256ELj4EiilEEv20rocsparse_direction_T3_S2_21rocsparse_index_base_PKT1_PKT2_PKS2_S2_S3_PS4_PS7_PS2_,"axG",@progbits,_ZN9rocsparseL32bsr2csr_block_per_row_2_7_kernelILj256ELj4EiilEEv20rocsparse_direction_T3_S2_21rocsparse_index_base_PKT1_PKT2_PKS2_S2_S3_PS4_PS7_PS2_,comdat
	.globl	_ZN9rocsparseL32bsr2csr_block_per_row_2_7_kernelILj256ELj4EiilEEv20rocsparse_direction_T3_S2_21rocsparse_index_base_PKT1_PKT2_PKS2_S2_S3_PS4_PS7_PS2_ ; -- Begin function _ZN9rocsparseL32bsr2csr_block_per_row_2_7_kernelILj256ELj4EiilEEv20rocsparse_direction_T3_S2_21rocsparse_index_base_PKT1_PKT2_PKS2_S2_S3_PS4_PS7_PS2_
	.p2align	8
	.type	_ZN9rocsparseL32bsr2csr_block_per_row_2_7_kernelILj256ELj4EiilEEv20rocsparse_direction_T3_S2_21rocsparse_index_base_PKT1_PKT2_PKS2_S2_S3_PS4_PS7_PS2_,@function
_ZN9rocsparseL32bsr2csr_block_per_row_2_7_kernelILj256ELj4EiilEEv20rocsparse_direction_T3_S2_21rocsparse_index_base_PKT1_PKT2_PKS2_S2_S3_PS4_PS7_PS2_: ; @_ZN9rocsparseL32bsr2csr_block_per_row_2_7_kernelILj256ELj4EiilEEv20rocsparse_direction_T3_S2_21rocsparse_index_base_PKT1_PKT2_PKS2_S2_S3_PS4_PS7_PS2_
; %bb.0:
	s_load_dwordx2 s[0:1], s[4:5], 0x28
	s_mov_b32 s7, 0
	s_clause 0x1
	s_load_dword s10, s[4:5], 0x40
	s_load_dwordx2 s[2:3], s[4:5], 0x50
	s_lshl_b64 s[8:9], s[6:7], 2
	v_or_b32_e32 v1, s6, v0
	s_waitcnt lgkmcnt(0)
	s_add_u32 s0, s0, s8
	s_addc_u32 s1, s1, s9
	s_mov_b32 s8, exec_lo
	s_load_dwordx2 s[0:1], s[0:1], 0x0
	v_cmpx_eq_u32_e32 0, v1
	s_cbranch_execz .LBB29_2
; %bb.1:
	v_mov_b32_e32 v1, 0
	v_mov_b32_e32 v2, s10
	global_store_dword v1, v2, s[2:3]
.LBB29_2:
	s_or_b32 exec_lo, exec_lo, s8
	s_load_dword s11, s[4:5], 0x18
	v_and_b32_e32 v8, 3, v0
	v_lshrrev_b32_e32 v2, 2, v0
	s_lshl_b64 s[6:7], s[6:7], 4
	v_lshlrev_b32_e32 v4, 2, v8
	s_waitcnt lgkmcnt(0)
	s_sub_i32 s8, s0, s11
	s_sub_i32 s12, s1, s11
	s_lshl_b32 s9, s8, 4
	s_sub_i32 s1, s12, s8
	v_add_nc_u32_e32 v0, s8, v2
	s_lshl_b32 s1, s1, 2
	v_mul_lo_u32 v1, s1, v8
	s_add_i32 s1, s1, s10
	s_add_u32 s2, s2, s6
	s_addc_u32 s3, s3, s7
	v_add3_u32 v3, s1, s9, v1
	s_mov_b32 s1, exec_lo
	global_store_dword v4, v3, s[2:3] offset:4
	v_cmpx_gt_i32_e64 s12, v0
	s_cbranch_execz .LBB29_5
; %bb.3:
	s_clause 0x4
	s_load_dwordx2 s[2:3], s[4:5], 0x30
	s_load_dwordx2 s[6:7], s[4:5], 0x48
	s_load_dword s1, s[4:5], 0x0
	s_load_dwordx2 s[8:9], s[4:5], 0x20
	s_load_dwordx2 s[4:5], s[4:5], 0x58
	v_lshlrev_b32_e32 v2, 2, v2
	v_lshlrev_b32_e32 v4, 4, v8
	v_mov_b32_e32 v3, 0
	v_lshlrev_b32_e32 v6, 4, v0
	s_mov_b32 s13, 0
	s_waitcnt lgkmcnt(0)
	s_cmp_eq_u32 s1, 0
	s_cselect_b32 vcc_lo, -1, 0
	s_lshl_b32 s0, s0, 4
	s_lshl_b32 s1, s11, 4
	v_add3_u32 v1, v1, s0, v2
	v_add_co_u32 v9, s0, s8, v4
	v_add_co_ci_u32_e64 v10, null, s9, 0, s0
	v_subrev_nc_u32_e32 v4, s1, v1
.LBB29_4:                               ; =>This Inner Loop Header: Depth=1
	v_ashrrev_i32_e32 v1, 31, v0
	v_add_nc_u32_e32 v2, v8, v6
	v_mov_b32_e32 v7, v3
	v_lshlrev_b64 v[11:12], 3, v[0:1]
	v_lshlrev_b64 v[1:2], 2, v[2:3]
	;; [unrolled: 1-line block ×3, first 2 shown]
	v_add_nc_u32_e32 v0, 64, v0
	v_add_nc_u32_e32 v6, 0x400, v6
	v_add_co_u32 v11, s0, s2, v11
	v_add_co_ci_u32_e64 v12, null, s3, v12, s0
	v_add_co_u32 v5, s0, s8, v1
	v_add_co_ci_u32_e64 v7, null, s9, v2, s0
	global_load_dwordx2 v[1:2], v[11:12], off
	v_add_co_u32 v13, s0, v9, v13
	v_add_co_ci_u32_e64 v14, null, v10, v14, s0
	v_add_co_u32 v15, s0, v13, 4
	v_add_co_ci_u32_e64 v16, null, 0, v14, s0
	;; [unrolled: 2-line block ×5, first 2 shown]
	v_add_co_u32 v23, s0, v13, 12
	v_cndmask_b32_e32 v11, v5, v13, vcc_lo
	v_add_co_ci_u32_e64 v24, null, 0, v14, s0
	v_add_co_u32 v5, s0, v5, 48
	v_cndmask_b32_e32 v12, v7, v14, vcc_lo
	v_add_co_ci_u32_e64 v7, null, 0, v7, s0
	v_cndmask_b32_e32 v14, v18, v16, vcc_lo
	v_cndmask_b32_e32 v13, v17, v15, vcc_lo
	;; [unrolled: 1-line block ×6, first 2 shown]
	global_load_dword v11, v[11:12], off
	global_load_dword v12, v[13:14], off
	;; [unrolled: 1-line block ×4, first 2 shown]
	v_ashrrev_i32_e32 v5, 31, v4
	v_cmp_le_i32_e64 s0, s12, v0
	v_lshlrev_b64 v[15:16], 3, v[4:5]
	v_lshlrev_b64 v[17:18], 2, v[4:5]
	v_add_nc_u32_e32 v4, 0x100, v4
	s_or_b32 s13, s0, s13
	v_add_co_u32 v23, s1, s4, v15
	v_add_co_ci_u32_e64 v24, null, s5, v16, s1
	v_add_co_u32 v25, s1, s6, v17
	v_add_co_ci_u32_e64 v26, null, s7, v18, s1
	s_waitcnt vmcnt(4)
	v_sub_co_u32 v1, s1, v1, s11
	v_subrev_co_ci_u32_e64 v2, null, 0, v2, s1
	v_lshlrev_b64 v[1:2], 2, v[1:2]
	v_add_co_u32 v15, s1, v1, s10
	v_add_co_ci_u32_e64 v16, null, 0, v2, s1
	v_add_co_u32 v17, s1, v15, 1
	v_add_co_ci_u32_e64 v18, null, 0, v16, s1
	v_add_co_u32 v19, s1, v15, 2
	v_add_co_ci_u32_e64 v20, null, 0, v16, s1
	v_add_co_u32 v21, s1, v15, 3
	v_add_co_ci_u32_e64 v22, null, 0, v16, s1
	s_waitcnt vmcnt(0)
	global_store_dwordx4 v[25:26], v[11:14], off
	global_store_dwordx4 v[23:24], v[15:18], off
	global_store_dwordx4 v[23:24], v[19:22], off offset:16
	s_andn2_b32 exec_lo, exec_lo, s13
	s_cbranch_execnz .LBB29_4
.LBB29_5:
	s_endpgm
	.section	.rodata,"a",@progbits
	.p2align	6, 0x0
	.amdhsa_kernel _ZN9rocsparseL32bsr2csr_block_per_row_2_7_kernelILj256ELj4EiilEEv20rocsparse_direction_T3_S2_21rocsparse_index_base_PKT1_PKT2_PKS2_S2_S3_PS4_PS7_PS2_
		.amdhsa_group_segment_fixed_size 0
		.amdhsa_private_segment_fixed_size 0
		.amdhsa_kernarg_size 96
		.amdhsa_user_sgpr_count 6
		.amdhsa_user_sgpr_private_segment_buffer 1
		.amdhsa_user_sgpr_dispatch_ptr 0
		.amdhsa_user_sgpr_queue_ptr 0
		.amdhsa_user_sgpr_kernarg_segment_ptr 1
		.amdhsa_user_sgpr_dispatch_id 0
		.amdhsa_user_sgpr_flat_scratch_init 0
		.amdhsa_user_sgpr_private_segment_size 0
		.amdhsa_wavefront_size32 1
		.amdhsa_uses_dynamic_stack 0
		.amdhsa_system_sgpr_private_segment_wavefront_offset 0
		.amdhsa_system_sgpr_workgroup_id_x 1
		.amdhsa_system_sgpr_workgroup_id_y 0
		.amdhsa_system_sgpr_workgroup_id_z 0
		.amdhsa_system_sgpr_workgroup_info 0
		.amdhsa_system_vgpr_workitem_id 0
		.amdhsa_next_free_vgpr 27
		.amdhsa_next_free_sgpr 14
		.amdhsa_reserve_vcc 1
		.amdhsa_reserve_flat_scratch 0
		.amdhsa_float_round_mode_32 0
		.amdhsa_float_round_mode_16_64 0
		.amdhsa_float_denorm_mode_32 3
		.amdhsa_float_denorm_mode_16_64 3
		.amdhsa_dx10_clamp 1
		.amdhsa_ieee_mode 1
		.amdhsa_fp16_overflow 0
		.amdhsa_workgroup_processor_mode 1
		.amdhsa_memory_ordered 1
		.amdhsa_forward_progress 1
		.amdhsa_shared_vgpr_count 0
		.amdhsa_exception_fp_ieee_invalid_op 0
		.amdhsa_exception_fp_denorm_src 0
		.amdhsa_exception_fp_ieee_div_zero 0
		.amdhsa_exception_fp_ieee_overflow 0
		.amdhsa_exception_fp_ieee_underflow 0
		.amdhsa_exception_fp_ieee_inexact 0
		.amdhsa_exception_int_div_zero 0
	.end_amdhsa_kernel
	.section	.text._ZN9rocsparseL32bsr2csr_block_per_row_2_7_kernelILj256ELj4EiilEEv20rocsparse_direction_T3_S2_21rocsparse_index_base_PKT1_PKT2_PKS2_S2_S3_PS4_PS7_PS2_,"axG",@progbits,_ZN9rocsparseL32bsr2csr_block_per_row_2_7_kernelILj256ELj4EiilEEv20rocsparse_direction_T3_S2_21rocsparse_index_base_PKT1_PKT2_PKS2_S2_S3_PS4_PS7_PS2_,comdat
.Lfunc_end29:
	.size	_ZN9rocsparseL32bsr2csr_block_per_row_2_7_kernelILj256ELj4EiilEEv20rocsparse_direction_T3_S2_21rocsparse_index_base_PKT1_PKT2_PKS2_S2_S3_PS4_PS7_PS2_, .Lfunc_end29-_ZN9rocsparseL32bsr2csr_block_per_row_2_7_kernelILj256ELj4EiilEEv20rocsparse_direction_T3_S2_21rocsparse_index_base_PKT1_PKT2_PKS2_S2_S3_PS4_PS7_PS2_
                                        ; -- End function
	.set _ZN9rocsparseL32bsr2csr_block_per_row_2_7_kernelILj256ELj4EiilEEv20rocsparse_direction_T3_S2_21rocsparse_index_base_PKT1_PKT2_PKS2_S2_S3_PS4_PS7_PS2_.num_vgpr, 27
	.set _ZN9rocsparseL32bsr2csr_block_per_row_2_7_kernelILj256ELj4EiilEEv20rocsparse_direction_T3_S2_21rocsparse_index_base_PKT1_PKT2_PKS2_S2_S3_PS4_PS7_PS2_.num_agpr, 0
	.set _ZN9rocsparseL32bsr2csr_block_per_row_2_7_kernelILj256ELj4EiilEEv20rocsparse_direction_T3_S2_21rocsparse_index_base_PKT1_PKT2_PKS2_S2_S3_PS4_PS7_PS2_.numbered_sgpr, 14
	.set _ZN9rocsparseL32bsr2csr_block_per_row_2_7_kernelILj256ELj4EiilEEv20rocsparse_direction_T3_S2_21rocsparse_index_base_PKT1_PKT2_PKS2_S2_S3_PS4_PS7_PS2_.num_named_barrier, 0
	.set _ZN9rocsparseL32bsr2csr_block_per_row_2_7_kernelILj256ELj4EiilEEv20rocsparse_direction_T3_S2_21rocsparse_index_base_PKT1_PKT2_PKS2_S2_S3_PS4_PS7_PS2_.private_seg_size, 0
	.set _ZN9rocsparseL32bsr2csr_block_per_row_2_7_kernelILj256ELj4EiilEEv20rocsparse_direction_T3_S2_21rocsparse_index_base_PKT1_PKT2_PKS2_S2_S3_PS4_PS7_PS2_.uses_vcc, 1
	.set _ZN9rocsparseL32bsr2csr_block_per_row_2_7_kernelILj256ELj4EiilEEv20rocsparse_direction_T3_S2_21rocsparse_index_base_PKT1_PKT2_PKS2_S2_S3_PS4_PS7_PS2_.uses_flat_scratch, 0
	.set _ZN9rocsparseL32bsr2csr_block_per_row_2_7_kernelILj256ELj4EiilEEv20rocsparse_direction_T3_S2_21rocsparse_index_base_PKT1_PKT2_PKS2_S2_S3_PS4_PS7_PS2_.has_dyn_sized_stack, 0
	.set _ZN9rocsparseL32bsr2csr_block_per_row_2_7_kernelILj256ELj4EiilEEv20rocsparse_direction_T3_S2_21rocsparse_index_base_PKT1_PKT2_PKS2_S2_S3_PS4_PS7_PS2_.has_recursion, 0
	.set _ZN9rocsparseL32bsr2csr_block_per_row_2_7_kernelILj256ELj4EiilEEv20rocsparse_direction_T3_S2_21rocsparse_index_base_PKT1_PKT2_PKS2_S2_S3_PS4_PS7_PS2_.has_indirect_call, 0
	.section	.AMDGPU.csdata,"",@progbits
; Kernel info:
; codeLenInByte = 776
; TotalNumSgprs: 16
; NumVgprs: 27
; ScratchSize: 0
; MemoryBound: 0
; FloatMode: 240
; IeeeMode: 1
; LDSByteSize: 0 bytes/workgroup (compile time only)
; SGPRBlocks: 0
; VGPRBlocks: 3
; NumSGPRsForWavesPerEU: 16
; NumVGPRsForWavesPerEU: 27
; Occupancy: 16
; WaveLimiterHint : 0
; COMPUTE_PGM_RSRC2:SCRATCH_EN: 0
; COMPUTE_PGM_RSRC2:USER_SGPR: 6
; COMPUTE_PGM_RSRC2:TRAP_HANDLER: 0
; COMPUTE_PGM_RSRC2:TGID_X_EN: 1
; COMPUTE_PGM_RSRC2:TGID_Y_EN: 0
; COMPUTE_PGM_RSRC2:TGID_Z_EN: 0
; COMPUTE_PGM_RSRC2:TIDIG_COMP_CNT: 0
	.section	.text._ZN9rocsparseL32bsr2csr_block_per_row_2_7_kernelILj256ELj5EiilEEv20rocsparse_direction_T3_S2_21rocsparse_index_base_PKT1_PKT2_PKS2_S2_S3_PS4_PS7_PS2_,"axG",@progbits,_ZN9rocsparseL32bsr2csr_block_per_row_2_7_kernelILj256ELj5EiilEEv20rocsparse_direction_T3_S2_21rocsparse_index_base_PKT1_PKT2_PKS2_S2_S3_PS4_PS7_PS2_,comdat
	.globl	_ZN9rocsparseL32bsr2csr_block_per_row_2_7_kernelILj256ELj5EiilEEv20rocsparse_direction_T3_S2_21rocsparse_index_base_PKT1_PKT2_PKS2_S2_S3_PS4_PS7_PS2_ ; -- Begin function _ZN9rocsparseL32bsr2csr_block_per_row_2_7_kernelILj256ELj5EiilEEv20rocsparse_direction_T3_S2_21rocsparse_index_base_PKT1_PKT2_PKS2_S2_S3_PS4_PS7_PS2_
	.p2align	8
	.type	_ZN9rocsparseL32bsr2csr_block_per_row_2_7_kernelILj256ELj5EiilEEv20rocsparse_direction_T3_S2_21rocsparse_index_base_PKT1_PKT2_PKS2_S2_S3_PS4_PS7_PS2_,@function
_ZN9rocsparseL32bsr2csr_block_per_row_2_7_kernelILj256ELj5EiilEEv20rocsparse_direction_T3_S2_21rocsparse_index_base_PKT1_PKT2_PKS2_S2_S3_PS4_PS7_PS2_: ; @_ZN9rocsparseL32bsr2csr_block_per_row_2_7_kernelILj256ELj5EiilEEv20rocsparse_direction_T3_S2_21rocsparse_index_base_PKT1_PKT2_PKS2_S2_S3_PS4_PS7_PS2_
; %bb.0:
	s_clause 0x2
	s_load_dwordx2 s[2:3], s[4:5], 0x28
	s_load_dword s8, s[4:5], 0x40
	s_load_dwordx2 s[0:1], s[4:5], 0x50
	s_mov_b32 s7, 0
	v_or_b32_e32 v1, s6, v0
	s_lshl_b64 s[10:11], s[6:7], 2
	s_mov_b32 s7, exec_lo
	s_waitcnt lgkmcnt(0)
	s_add_u32 s2, s2, s10
	s_addc_u32 s3, s3, s11
	v_cmpx_eq_u32_e32 0, v1
	s_cbranch_execz .LBB30_2
; %bb.1:
	v_mov_b32_e32 v1, 0
	v_mov_b32_e32 v2, s8
	global_store_dword v1, v2, s[0:1]
.LBB30_2:
	s_or_b32 exec_lo, exec_lo, s7
	v_and_b32_e32 v1, 7, v0
	s_mov_b32 s7, exec_lo
	v_cmpx_gt_u32_e32 5, v1
	s_cbranch_execz .LBB30_6
; %bb.3:
	s_load_dwordx2 s[2:3], s[2:3], 0x0
	s_load_dword s12, s[4:5], 0x18
	v_lshrrev_b32_e32 v2, 3, v0
	s_mul_hi_u32 s9, s6, 20
	s_mul_i32 s6, s6, 20
	v_lshlrev_b32_e32 v5, 2, v1
	s_waitcnt lgkmcnt(0)
	s_sub_i32 s7, s2, s12
	s_sub_i32 s13, s3, s12
	v_add_nc_u32_e32 v0, s7, v2
	s_sub_i32 s3, s13, s7
	s_mul_i32 s10, s7, 25
	s_mul_i32 s3, s3, 5
	v_mul_lo_u32 v4, s3, v1
	s_add_i32 s3, s3, s8
	v_cmp_gt_i32_e32 vcc_lo, s13, v0
	s_add_u32 s0, s0, s6
	s_addc_u32 s1, s1, s9
	v_add3_u32 v3, s3, s10, v4
	global_store_dword v5, v3, s[0:1] offset:4
	s_and_b32 exec_lo, exec_lo, vcc_lo
	s_cbranch_execz .LBB30_6
; %bb.4:
	s_clause 0x4
	s_load_dwordx2 s[0:1], s[4:5], 0x20
	s_load_dwordx2 s[6:7], s[4:5], 0x30
	;; [unrolled: 1-line block ×3, first 2 shown]
	s_load_dword s3, s[4:5], 0x0
	s_load_dwordx2 s[4:5], s[4:5], 0x58
	v_mul_u32_u24_e32 v6, 5, v2
	s_mul_i32 s2, s2, 25
	v_lshlrev_b32_e32 v1, 4, v1
	v_mul_lo_u32 v2, v0, 25
	s_mul_i32 s9, s12, 25
	v_add3_u32 v4, v4, s2, v6
	v_mov_b32_e32 v3, 0
	v_subrev_nc_u32_e32 v4, s9, v4
	s_mov_b32 s9, 0
	s_mov_b32 s14, s9
	s_waitcnt lgkmcnt(0)
	v_add_co_u32 v6, s0, s0, v5
	v_add_co_ci_u32_e64 v7, null, s1, 0, s0
	s_cmp_eq_u32 s3, 0
	v_add_co_u32 v8, vcc_lo, v6, v1
	v_add_co_ci_u32_e64 v9, null, 0, v7, vcc_lo
	s_cselect_b32 vcc_lo, -1, 0
.LBB30_5:                               ; =>This Inner Loop Header: Depth=1
	v_ashrrev_i32_e32 v1, 31, v0
	v_lshlrev_b64 v[10:11], 2, v[2:3]
	v_add_nc_u32_e32 v2, 0x320, v2
	v_lshlrev_b64 v[12:13], 3, v[0:1]
	v_add_nc_u32_e32 v0, 32, v0
	v_add_co_u32 v1, s0, v6, v10
	v_add_co_ci_u32_e64 v5, null, v7, v11, s0
	v_add_co_u32 v16, s0, v8, v10
	v_add_co_ci_u32_e64 v17, null, v9, v11, s0
	;; [unrolled: 2-line block ×4, first 2 shown]
	global_load_dwordx2 v[14:15], v[10:11], off
	v_add_co_u32 v20, s0, v1, 20
	v_add_co_ci_u32_e64 v21, null, 0, v5, s0
	v_add_co_u32 v22, s0, v16, 8
	v_add_co_ci_u32_e64 v23, null, 0, v17, s0
	;; [unrolled: 2-line block ×5, first 2 shown]
	v_add_co_u32 v28, s0, v16, 16
	v_cndmask_b32_e32 v12, v1, v16, vcc_lo
	v_add_co_ci_u32_e64 v29, null, 0, v17, s0
	v_add_co_u32 v1, s0, 0x50, v1
	v_cndmask_b32_e32 v13, v5, v17, vcc_lo
	v_add_co_ci_u32_e64 v5, null, 0, v5, s0
	v_cndmask_b32_e32 v17, v21, v19, vcc_lo
	v_cndmask_b32_e32 v16, v20, v18, vcc_lo
	v_cndmask_b32_e32 v19, v25, v23, vcc_lo
	v_cndmask_b32_e32 v18, v24, v22, vcc_lo
	v_cndmask_b32_e32 v21, v27, v11, vcc_lo
	v_cndmask_b32_e32 v20, v26, v10, vcc_lo
	v_cndmask_b32_e32 v23, v5, v29, vcc_lo
	v_cndmask_b32_e32 v22, v1, v28, vcc_lo
	global_load_dword v10, v[12:13], off
	global_load_dword v11, v[16:17], off
	;; [unrolled: 1-line block ×5, first 2 shown]
	v_cmp_le_i32_e64 s0, s13, v0
	v_ashrrev_i32_e32 v5, 31, v4
	s_or_b32 s14, s0, s14
	v_lshlrev_b64 v[16:17], 3, v[4:5]
	v_lshlrev_b64 v[18:19], 2, v[4:5]
	v_add_nc_u32_e32 v4, 0xa0, v4
	v_add_co_u32 v22, s1, s4, v16
	v_add_co_ci_u32_e64 v23, null, s5, v17, s1
	v_add_co_u32 v24, s1, s10, v18
	v_add_co_ci_u32_e64 v25, null, s11, v19, s1
	s_waitcnt vmcnt(5)
	v_sub_co_u32 v1, s0, v14, s12
	v_subrev_co_ci_u32_e64 v5, null, 0, v15, s0
	v_mad_u64_u32 v[14:15], null, v1, 5, s[8:9]
	v_mov_b32_e32 v1, v15
	v_add_co_u32 v18, s0, v14, 2
	v_add_co_u32 v20, s1, v14, 3
	v_mad_u64_u32 v[15:16], null, v5, 5, v[1:2]
	v_add_co_u32 v16, s3, v14, 1
	v_add_co_u32 v26, s2, v14, 4
	v_add_co_ci_u32_e64 v17, null, 0, v15, s3
	v_add_co_ci_u32_e64 v19, null, 0, v15, s0
	;; [unrolled: 1-line block ×4, first 2 shown]
	s_waitcnt vmcnt(1)
	global_store_dwordx4 v[24:25], v[10:13], off
	s_waitcnt vmcnt(0)
	global_store_dword v[24:25], v28, off offset:16
	global_store_dwordx4 v[22:23], v[14:17], off
	global_store_dwordx4 v[22:23], v[18:21], off offset:16
	global_store_dwordx2 v[22:23], v[26:27], off offset:32
	s_andn2_b32 exec_lo, exec_lo, s14
	s_cbranch_execnz .LBB30_5
.LBB30_6:
	s_endpgm
	.section	.rodata,"a",@progbits
	.p2align	6, 0x0
	.amdhsa_kernel _ZN9rocsparseL32bsr2csr_block_per_row_2_7_kernelILj256ELj5EiilEEv20rocsparse_direction_T3_S2_21rocsparse_index_base_PKT1_PKT2_PKS2_S2_S3_PS4_PS7_PS2_
		.amdhsa_group_segment_fixed_size 0
		.amdhsa_private_segment_fixed_size 0
		.amdhsa_kernarg_size 96
		.amdhsa_user_sgpr_count 6
		.amdhsa_user_sgpr_private_segment_buffer 1
		.amdhsa_user_sgpr_dispatch_ptr 0
		.amdhsa_user_sgpr_queue_ptr 0
		.amdhsa_user_sgpr_kernarg_segment_ptr 1
		.amdhsa_user_sgpr_dispatch_id 0
		.amdhsa_user_sgpr_flat_scratch_init 0
		.amdhsa_user_sgpr_private_segment_size 0
		.amdhsa_wavefront_size32 1
		.amdhsa_uses_dynamic_stack 0
		.amdhsa_system_sgpr_private_segment_wavefront_offset 0
		.amdhsa_system_sgpr_workgroup_id_x 1
		.amdhsa_system_sgpr_workgroup_id_y 0
		.amdhsa_system_sgpr_workgroup_id_z 0
		.amdhsa_system_sgpr_workgroup_info 0
		.amdhsa_system_vgpr_workitem_id 0
		.amdhsa_next_free_vgpr 30
		.amdhsa_next_free_sgpr 15
		.amdhsa_reserve_vcc 1
		.amdhsa_reserve_flat_scratch 0
		.amdhsa_float_round_mode_32 0
		.amdhsa_float_round_mode_16_64 0
		.amdhsa_float_denorm_mode_32 3
		.amdhsa_float_denorm_mode_16_64 3
		.amdhsa_dx10_clamp 1
		.amdhsa_ieee_mode 1
		.amdhsa_fp16_overflow 0
		.amdhsa_workgroup_processor_mode 1
		.amdhsa_memory_ordered 1
		.amdhsa_forward_progress 1
		.amdhsa_shared_vgpr_count 0
		.amdhsa_exception_fp_ieee_invalid_op 0
		.amdhsa_exception_fp_denorm_src 0
		.amdhsa_exception_fp_ieee_div_zero 0
		.amdhsa_exception_fp_ieee_overflow 0
		.amdhsa_exception_fp_ieee_underflow 0
		.amdhsa_exception_fp_ieee_inexact 0
		.amdhsa_exception_int_div_zero 0
	.end_amdhsa_kernel
	.section	.text._ZN9rocsparseL32bsr2csr_block_per_row_2_7_kernelILj256ELj5EiilEEv20rocsparse_direction_T3_S2_21rocsparse_index_base_PKT1_PKT2_PKS2_S2_S3_PS4_PS7_PS2_,"axG",@progbits,_ZN9rocsparseL32bsr2csr_block_per_row_2_7_kernelILj256ELj5EiilEEv20rocsparse_direction_T3_S2_21rocsparse_index_base_PKT1_PKT2_PKS2_S2_S3_PS4_PS7_PS2_,comdat
.Lfunc_end30:
	.size	_ZN9rocsparseL32bsr2csr_block_per_row_2_7_kernelILj256ELj5EiilEEv20rocsparse_direction_T3_S2_21rocsparse_index_base_PKT1_PKT2_PKS2_S2_S3_PS4_PS7_PS2_, .Lfunc_end30-_ZN9rocsparseL32bsr2csr_block_per_row_2_7_kernelILj256ELj5EiilEEv20rocsparse_direction_T3_S2_21rocsparse_index_base_PKT1_PKT2_PKS2_S2_S3_PS4_PS7_PS2_
                                        ; -- End function
	.set _ZN9rocsparseL32bsr2csr_block_per_row_2_7_kernelILj256ELj5EiilEEv20rocsparse_direction_T3_S2_21rocsparse_index_base_PKT1_PKT2_PKS2_S2_S3_PS4_PS7_PS2_.num_vgpr, 30
	.set _ZN9rocsparseL32bsr2csr_block_per_row_2_7_kernelILj256ELj5EiilEEv20rocsparse_direction_T3_S2_21rocsparse_index_base_PKT1_PKT2_PKS2_S2_S3_PS4_PS7_PS2_.num_agpr, 0
	.set _ZN9rocsparseL32bsr2csr_block_per_row_2_7_kernelILj256ELj5EiilEEv20rocsparse_direction_T3_S2_21rocsparse_index_base_PKT1_PKT2_PKS2_S2_S3_PS4_PS7_PS2_.numbered_sgpr, 15
	.set _ZN9rocsparseL32bsr2csr_block_per_row_2_7_kernelILj256ELj5EiilEEv20rocsparse_direction_T3_S2_21rocsparse_index_base_PKT1_PKT2_PKS2_S2_S3_PS4_PS7_PS2_.num_named_barrier, 0
	.set _ZN9rocsparseL32bsr2csr_block_per_row_2_7_kernelILj256ELj5EiilEEv20rocsparse_direction_T3_S2_21rocsparse_index_base_PKT1_PKT2_PKS2_S2_S3_PS4_PS7_PS2_.private_seg_size, 0
	.set _ZN9rocsparseL32bsr2csr_block_per_row_2_7_kernelILj256ELj5EiilEEv20rocsparse_direction_T3_S2_21rocsparse_index_base_PKT1_PKT2_PKS2_S2_S3_PS4_PS7_PS2_.uses_vcc, 1
	.set _ZN9rocsparseL32bsr2csr_block_per_row_2_7_kernelILj256ELj5EiilEEv20rocsparse_direction_T3_S2_21rocsparse_index_base_PKT1_PKT2_PKS2_S2_S3_PS4_PS7_PS2_.uses_flat_scratch, 0
	.set _ZN9rocsparseL32bsr2csr_block_per_row_2_7_kernelILj256ELj5EiilEEv20rocsparse_direction_T3_S2_21rocsparse_index_base_PKT1_PKT2_PKS2_S2_S3_PS4_PS7_PS2_.has_dyn_sized_stack, 0
	.set _ZN9rocsparseL32bsr2csr_block_per_row_2_7_kernelILj256ELj5EiilEEv20rocsparse_direction_T3_S2_21rocsparse_index_base_PKT1_PKT2_PKS2_S2_S3_PS4_PS7_PS2_.has_recursion, 0
	.set _ZN9rocsparseL32bsr2csr_block_per_row_2_7_kernelILj256ELj5EiilEEv20rocsparse_direction_T3_S2_21rocsparse_index_base_PKT1_PKT2_PKS2_S2_S3_PS4_PS7_PS2_.has_indirect_call, 0
	.section	.AMDGPU.csdata,"",@progbits
; Kernel info:
; codeLenInByte = 880
; TotalNumSgprs: 17
; NumVgprs: 30
; ScratchSize: 0
; MemoryBound: 0
; FloatMode: 240
; IeeeMode: 1
; LDSByteSize: 0 bytes/workgroup (compile time only)
; SGPRBlocks: 0
; VGPRBlocks: 3
; NumSGPRsForWavesPerEU: 17
; NumVGPRsForWavesPerEU: 30
; Occupancy: 16
; WaveLimiterHint : 0
; COMPUTE_PGM_RSRC2:SCRATCH_EN: 0
; COMPUTE_PGM_RSRC2:USER_SGPR: 6
; COMPUTE_PGM_RSRC2:TRAP_HANDLER: 0
; COMPUTE_PGM_RSRC2:TGID_X_EN: 1
; COMPUTE_PGM_RSRC2:TGID_Y_EN: 0
; COMPUTE_PGM_RSRC2:TGID_Z_EN: 0
; COMPUTE_PGM_RSRC2:TIDIG_COMP_CNT: 0
	.section	.text._ZN9rocsparseL32bsr2csr_block_per_row_2_7_kernelILj256ELj6EiilEEv20rocsparse_direction_T3_S2_21rocsparse_index_base_PKT1_PKT2_PKS2_S2_S3_PS4_PS7_PS2_,"axG",@progbits,_ZN9rocsparseL32bsr2csr_block_per_row_2_7_kernelILj256ELj6EiilEEv20rocsparse_direction_T3_S2_21rocsparse_index_base_PKT1_PKT2_PKS2_S2_S3_PS4_PS7_PS2_,comdat
	.globl	_ZN9rocsparseL32bsr2csr_block_per_row_2_7_kernelILj256ELj6EiilEEv20rocsparse_direction_T3_S2_21rocsparse_index_base_PKT1_PKT2_PKS2_S2_S3_PS4_PS7_PS2_ ; -- Begin function _ZN9rocsparseL32bsr2csr_block_per_row_2_7_kernelILj256ELj6EiilEEv20rocsparse_direction_T3_S2_21rocsparse_index_base_PKT1_PKT2_PKS2_S2_S3_PS4_PS7_PS2_
	.p2align	8
	.type	_ZN9rocsparseL32bsr2csr_block_per_row_2_7_kernelILj256ELj6EiilEEv20rocsparse_direction_T3_S2_21rocsparse_index_base_PKT1_PKT2_PKS2_S2_S3_PS4_PS7_PS2_,@function
_ZN9rocsparseL32bsr2csr_block_per_row_2_7_kernelILj256ELj6EiilEEv20rocsparse_direction_T3_S2_21rocsparse_index_base_PKT1_PKT2_PKS2_S2_S3_PS4_PS7_PS2_: ; @_ZN9rocsparseL32bsr2csr_block_per_row_2_7_kernelILj256ELj6EiilEEv20rocsparse_direction_T3_S2_21rocsparse_index_base_PKT1_PKT2_PKS2_S2_S3_PS4_PS7_PS2_
; %bb.0:
	s_clause 0x2
	s_load_dwordx2 s[2:3], s[4:5], 0x28
	s_load_dword s8, s[4:5], 0x40
	s_load_dwordx2 s[0:1], s[4:5], 0x50
	s_mov_b32 s7, 0
	v_or_b32_e32 v1, s6, v0
	s_lshl_b64 s[10:11], s[6:7], 2
	s_mov_b32 s7, exec_lo
	s_waitcnt lgkmcnt(0)
	s_add_u32 s2, s2, s10
	s_addc_u32 s3, s3, s11
	v_cmpx_eq_u32_e32 0, v1
	s_cbranch_execz .LBB31_2
; %bb.1:
	v_mov_b32_e32 v1, 0
	v_mov_b32_e32 v2, s8
	global_store_dword v1, v2, s[0:1]
.LBB31_2:
	s_or_b32 exec_lo, exec_lo, s7
	v_and_b32_e32 v1, 7, v0
	s_mov_b32 s7, exec_lo
	v_cmpx_gt_u32_e32 6, v1
	s_cbranch_execz .LBB31_6
; %bb.3:
	s_load_dwordx2 s[2:3], s[2:3], 0x0
	s_load_dword s14, s[4:5], 0x18
	v_lshrrev_b32_e32 v2, 3, v0
	s_mul_hi_u32 s9, s6, 24
	s_mul_i32 s6, s6, 24
	v_lshlrev_b32_e32 v3, 2, v1
	s_waitcnt lgkmcnt(0)
	s_sub_i32 s7, s2, s14
	s_sub_i32 s15, s3, s14
	v_add_nc_u32_e32 v0, s7, v2
	s_sub_i32 s3, s15, s7
	s_mul_i32 s10, s7, 36
	s_mul_i32 s3, s3, 6
	v_mul_lo_u32 v4, s3, v1
	s_add_i32 s3, s3, s8
	v_cmp_gt_i32_e32 vcc_lo, s15, v0
	s_add_u32 s0, s0, s6
	s_addc_u32 s1, s1, s9
	v_add3_u32 v5, s3, s10, v4
	global_store_dword v3, v5, s[0:1] offset:4
	s_and_b32 exec_lo, exec_lo, vcc_lo
	s_cbranch_execz .LBB31_6
; %bb.4:
	s_clause 0x4
	s_load_dwordx2 s[0:1], s[4:5], 0x20
	s_load_dwordx2 s[6:7], s[4:5], 0x30
	;; [unrolled: 1-line block ×3, first 2 shown]
	s_load_dword s3, s[4:5], 0x0
	s_load_dwordx2 s[12:13], s[4:5], 0x58
	v_mul_u32_u24_e32 v6, 6, v2
	v_mov_b32_e32 v5, 0
	s_mov_b32 s9, 0
	s_mov_b32 s5, s9
	s_waitcnt lgkmcnt(0)
	v_add_co_u32 v2, s0, s0, v3
	v_add_co_ci_u32_e64 v3, null, s1, 0, s0
	s_mul_i32 s0, s2, 36
	s_cmp_eq_u32 s3, 0
	v_add3_u32 v8, v4, s0, v6
	v_mad_u64_u32 v[6:7], null, v1, 20, v[2:3]
	v_mul_lo_u32 v4, v0, 36
	s_mul_i32 s0, s14, 36
	s_cselect_b32 vcc_lo, -1, 0
	v_subrev_nc_u32_e32 v8, s0, v8
.LBB31_5:                               ; =>This Inner Loop Header: Depth=1
	v_ashrrev_i32_e32 v1, 31, v0
	v_lshlrev_b64 v[9:10], 2, v[4:5]
	v_add_nc_u32_e32 v4, 0x480, v4
	v_lshlrev_b64 v[11:12], 3, v[0:1]
	v_add_nc_u32_e32 v0, 32, v0
	v_add_co_u32 v1, s0, v2, v9
	v_add_co_ci_u32_e64 v13, null, v3, v10, s0
	v_add_co_u32 v16, s0, v6, v9
	v_add_co_ci_u32_e64 v17, null, v7, v10, s0
	;; [unrolled: 2-line block ×4, first 2 shown]
	global_load_dwordx2 v[14:15], v[9:10], off
	v_add_co_u32 v20, s0, v1, 24
	v_add_co_ci_u32_e64 v21, null, 0, v13, s0
	v_add_co_u32 v22, s0, v16, 8
	v_add_co_ci_u32_e64 v23, null, 0, v17, s0
	;; [unrolled: 2-line block ×6, first 2 shown]
	v_add_co_u32 v9, s0, 0x60, v1
	v_cndmask_b32_e32 v12, v13, v17, vcc_lo
	v_cndmask_b32_e32 v11, v1, v16, vcc_lo
	v_add_co_ci_u32_e64 v32, null, 0, v13, s0
	v_add_co_u32 v33, s0, v16, 20
	v_add_co_ci_u32_e64 v34, null, 0, v17, s0
	v_add_co_u32 v1, s0, 0x78, v1
	v_add_co_ci_u32_e64 v13, null, 0, v13, s0
	global_load_dword v10, v[11:12], off
	v_cndmask_b32_e32 v12, v21, v19, vcc_lo
	v_cndmask_b32_e32 v11, v20, v18, vcc_lo
	;; [unrolled: 1-line block ×10, first 2 shown]
	global_load_dword v11, v[11:12], off
	global_load_dword v12, v[16:17], off
	;; [unrolled: 1-line block ×5, first 2 shown]
	v_cmp_le_i32_e64 s0, s15, v0
	v_ashrrev_i32_e32 v9, 31, v8
	s_or_b32 s5, s0, s5
	v_lshlrev_b64 v[16:17], 3, v[8:9]
	v_lshlrev_b64 v[18:19], 2, v[8:9]
	v_add_nc_u32_e32 v8, 0xc0, v8
	v_add_co_u32 v28, s1, s12, v16
	v_add_co_ci_u32_e64 v29, null, s13, v17, s1
	v_add_co_u32 v30, s1, s10, v18
	v_add_co_ci_u32_e64 v31, null, s11, v19, s1
	s_waitcnt vmcnt(6)
	v_sub_co_u32 v1, s0, v14, s14
	v_subrev_co_ci_u32_e64 v9, null, 0, v15, s0
	v_mad_u64_u32 v[14:15], null, v1, 6, s[8:9]
	v_mov_b32_e32 v1, v15
	v_add_co_u32 v18, s0, v14, 2
	v_add_co_u32 v20, s1, v14, 3
	v_mad_u64_u32 v[15:16], null, v9, 6, v[1:2]
	v_add_co_u32 v16, s4, v14, 1
	v_add_co_u32 v22, s2, v14, 4
	;; [unrolled: 1-line block ×3, first 2 shown]
	v_add_co_ci_u32_e64 v17, null, 0, v15, s4
	v_add_co_ci_u32_e64 v19, null, 0, v15, s0
	;; [unrolled: 1-line block ×5, first 2 shown]
	s_waitcnt vmcnt(2)
	global_store_dwordx4 v[30:31], v[10:13], off
	s_waitcnt vmcnt(0)
	global_store_dwordx2 v[30:31], v[26:27], off offset:16
	global_store_dwordx4 v[28:29], v[14:17], off
	global_store_dwordx4 v[28:29], v[18:21], off offset:16
	global_store_dwordx4 v[28:29], v[22:25], off offset:32
	s_andn2_b32 exec_lo, exec_lo, s5
	s_cbranch_execnz .LBB31_5
.LBB31_6:
	s_endpgm
	.section	.rodata,"a",@progbits
	.p2align	6, 0x0
	.amdhsa_kernel _ZN9rocsparseL32bsr2csr_block_per_row_2_7_kernelILj256ELj6EiilEEv20rocsparse_direction_T3_S2_21rocsparse_index_base_PKT1_PKT2_PKS2_S2_S3_PS4_PS7_PS2_
		.amdhsa_group_segment_fixed_size 0
		.amdhsa_private_segment_fixed_size 0
		.amdhsa_kernarg_size 96
		.amdhsa_user_sgpr_count 6
		.amdhsa_user_sgpr_private_segment_buffer 1
		.amdhsa_user_sgpr_dispatch_ptr 0
		.amdhsa_user_sgpr_queue_ptr 0
		.amdhsa_user_sgpr_kernarg_segment_ptr 1
		.amdhsa_user_sgpr_dispatch_id 0
		.amdhsa_user_sgpr_flat_scratch_init 0
		.amdhsa_user_sgpr_private_segment_size 0
		.amdhsa_wavefront_size32 1
		.amdhsa_uses_dynamic_stack 0
		.amdhsa_system_sgpr_private_segment_wavefront_offset 0
		.amdhsa_system_sgpr_workgroup_id_x 1
		.amdhsa_system_sgpr_workgroup_id_y 0
		.amdhsa_system_sgpr_workgroup_id_z 0
		.amdhsa_system_sgpr_workgroup_info 0
		.amdhsa_system_vgpr_workitem_id 0
		.amdhsa_next_free_vgpr 35
		.amdhsa_next_free_sgpr 16
		.amdhsa_reserve_vcc 1
		.amdhsa_reserve_flat_scratch 0
		.amdhsa_float_round_mode_32 0
		.amdhsa_float_round_mode_16_64 0
		.amdhsa_float_denorm_mode_32 3
		.amdhsa_float_denorm_mode_16_64 3
		.amdhsa_dx10_clamp 1
		.amdhsa_ieee_mode 1
		.amdhsa_fp16_overflow 0
		.amdhsa_workgroup_processor_mode 1
		.amdhsa_memory_ordered 1
		.amdhsa_forward_progress 1
		.amdhsa_shared_vgpr_count 0
		.amdhsa_exception_fp_ieee_invalid_op 0
		.amdhsa_exception_fp_denorm_src 0
		.amdhsa_exception_fp_ieee_div_zero 0
		.amdhsa_exception_fp_ieee_overflow 0
		.amdhsa_exception_fp_ieee_underflow 0
		.amdhsa_exception_fp_ieee_inexact 0
		.amdhsa_exception_int_div_zero 0
	.end_amdhsa_kernel
	.section	.text._ZN9rocsparseL32bsr2csr_block_per_row_2_7_kernelILj256ELj6EiilEEv20rocsparse_direction_T3_S2_21rocsparse_index_base_PKT1_PKT2_PKS2_S2_S3_PS4_PS7_PS2_,"axG",@progbits,_ZN9rocsparseL32bsr2csr_block_per_row_2_7_kernelILj256ELj6EiilEEv20rocsparse_direction_T3_S2_21rocsparse_index_base_PKT1_PKT2_PKS2_S2_S3_PS4_PS7_PS2_,comdat
.Lfunc_end31:
	.size	_ZN9rocsparseL32bsr2csr_block_per_row_2_7_kernelILj256ELj6EiilEEv20rocsparse_direction_T3_S2_21rocsparse_index_base_PKT1_PKT2_PKS2_S2_S3_PS4_PS7_PS2_, .Lfunc_end31-_ZN9rocsparseL32bsr2csr_block_per_row_2_7_kernelILj256ELj6EiilEEv20rocsparse_direction_T3_S2_21rocsparse_index_base_PKT1_PKT2_PKS2_S2_S3_PS4_PS7_PS2_
                                        ; -- End function
	.set _ZN9rocsparseL32bsr2csr_block_per_row_2_7_kernelILj256ELj6EiilEEv20rocsparse_direction_T3_S2_21rocsparse_index_base_PKT1_PKT2_PKS2_S2_S3_PS4_PS7_PS2_.num_vgpr, 35
	.set _ZN9rocsparseL32bsr2csr_block_per_row_2_7_kernelILj256ELj6EiilEEv20rocsparse_direction_T3_S2_21rocsparse_index_base_PKT1_PKT2_PKS2_S2_S3_PS4_PS7_PS2_.num_agpr, 0
	.set _ZN9rocsparseL32bsr2csr_block_per_row_2_7_kernelILj256ELj6EiilEEv20rocsparse_direction_T3_S2_21rocsparse_index_base_PKT1_PKT2_PKS2_S2_S3_PS4_PS7_PS2_.numbered_sgpr, 16
	.set _ZN9rocsparseL32bsr2csr_block_per_row_2_7_kernelILj256ELj6EiilEEv20rocsparse_direction_T3_S2_21rocsparse_index_base_PKT1_PKT2_PKS2_S2_S3_PS4_PS7_PS2_.num_named_barrier, 0
	.set _ZN9rocsparseL32bsr2csr_block_per_row_2_7_kernelILj256ELj6EiilEEv20rocsparse_direction_T3_S2_21rocsparse_index_base_PKT1_PKT2_PKS2_S2_S3_PS4_PS7_PS2_.private_seg_size, 0
	.set _ZN9rocsparseL32bsr2csr_block_per_row_2_7_kernelILj256ELj6EiilEEv20rocsparse_direction_T3_S2_21rocsparse_index_base_PKT1_PKT2_PKS2_S2_S3_PS4_PS7_PS2_.uses_vcc, 1
	.set _ZN9rocsparseL32bsr2csr_block_per_row_2_7_kernelILj256ELj6EiilEEv20rocsparse_direction_T3_S2_21rocsparse_index_base_PKT1_PKT2_PKS2_S2_S3_PS4_PS7_PS2_.uses_flat_scratch, 0
	.set _ZN9rocsparseL32bsr2csr_block_per_row_2_7_kernelILj256ELj6EiilEEv20rocsparse_direction_T3_S2_21rocsparse_index_base_PKT1_PKT2_PKS2_S2_S3_PS4_PS7_PS2_.has_dyn_sized_stack, 0
	.set _ZN9rocsparseL32bsr2csr_block_per_row_2_7_kernelILj256ELj6EiilEEv20rocsparse_direction_T3_S2_21rocsparse_index_base_PKT1_PKT2_PKS2_S2_S3_PS4_PS7_PS2_.has_recursion, 0
	.set _ZN9rocsparseL32bsr2csr_block_per_row_2_7_kernelILj256ELj6EiilEEv20rocsparse_direction_T3_S2_21rocsparse_index_base_PKT1_PKT2_PKS2_S2_S3_PS4_PS7_PS2_.has_indirect_call, 0
	.section	.AMDGPU.csdata,"",@progbits
; Kernel info:
; codeLenInByte = 940
; TotalNumSgprs: 18
; NumVgprs: 35
; ScratchSize: 0
; MemoryBound: 0
; FloatMode: 240
; IeeeMode: 1
; LDSByteSize: 0 bytes/workgroup (compile time only)
; SGPRBlocks: 0
; VGPRBlocks: 4
; NumSGPRsForWavesPerEU: 18
; NumVGPRsForWavesPerEU: 35
; Occupancy: 16
; WaveLimiterHint : 0
; COMPUTE_PGM_RSRC2:SCRATCH_EN: 0
; COMPUTE_PGM_RSRC2:USER_SGPR: 6
; COMPUTE_PGM_RSRC2:TRAP_HANDLER: 0
; COMPUTE_PGM_RSRC2:TGID_X_EN: 1
; COMPUTE_PGM_RSRC2:TGID_Y_EN: 0
; COMPUTE_PGM_RSRC2:TGID_Z_EN: 0
; COMPUTE_PGM_RSRC2:TIDIG_COMP_CNT: 0
	.section	.text._ZN9rocsparseL32bsr2csr_block_per_row_2_7_kernelILj256ELj7EiilEEv20rocsparse_direction_T3_S2_21rocsparse_index_base_PKT1_PKT2_PKS2_S2_S3_PS4_PS7_PS2_,"axG",@progbits,_ZN9rocsparseL32bsr2csr_block_per_row_2_7_kernelILj256ELj7EiilEEv20rocsparse_direction_T3_S2_21rocsparse_index_base_PKT1_PKT2_PKS2_S2_S3_PS4_PS7_PS2_,comdat
	.globl	_ZN9rocsparseL32bsr2csr_block_per_row_2_7_kernelILj256ELj7EiilEEv20rocsparse_direction_T3_S2_21rocsparse_index_base_PKT1_PKT2_PKS2_S2_S3_PS4_PS7_PS2_ ; -- Begin function _ZN9rocsparseL32bsr2csr_block_per_row_2_7_kernelILj256ELj7EiilEEv20rocsparse_direction_T3_S2_21rocsparse_index_base_PKT1_PKT2_PKS2_S2_S3_PS4_PS7_PS2_
	.p2align	8
	.type	_ZN9rocsparseL32bsr2csr_block_per_row_2_7_kernelILj256ELj7EiilEEv20rocsparse_direction_T3_S2_21rocsparse_index_base_PKT1_PKT2_PKS2_S2_S3_PS4_PS7_PS2_,@function
_ZN9rocsparseL32bsr2csr_block_per_row_2_7_kernelILj256ELj7EiilEEv20rocsparse_direction_T3_S2_21rocsparse_index_base_PKT1_PKT2_PKS2_S2_S3_PS4_PS7_PS2_: ; @_ZN9rocsparseL32bsr2csr_block_per_row_2_7_kernelILj256ELj7EiilEEv20rocsparse_direction_T3_S2_21rocsparse_index_base_PKT1_PKT2_PKS2_S2_S3_PS4_PS7_PS2_
; %bb.0:
	s_clause 0x2
	s_load_dwordx2 s[2:3], s[4:5], 0x28
	s_load_dword s8, s[4:5], 0x40
	s_load_dwordx2 s[0:1], s[4:5], 0x50
	s_mov_b32 s7, 0
	v_or_b32_e32 v1, s6, v0
	s_lshl_b64 s[10:11], s[6:7], 2
	s_mov_b32 s7, exec_lo
	s_waitcnt lgkmcnt(0)
	s_add_u32 s2, s2, s10
	s_addc_u32 s3, s3, s11
	v_cmpx_eq_u32_e32 0, v1
	s_cbranch_execz .LBB32_2
; %bb.1:
	v_mov_b32_e32 v1, 0
	v_mov_b32_e32 v2, s8
	global_store_dword v1, v2, s[0:1]
.LBB32_2:
	s_or_b32 exec_lo, exec_lo, s7
	v_and_b32_e32 v1, 7, v0
	s_mov_b32 s7, exec_lo
	v_cmpx_ne_u32_e32 7, v1
	s_cbranch_execz .LBB32_6
; %bb.3:
	s_load_dwordx2 s[2:3], s[2:3], 0x0
	s_load_dword s14, s[4:5], 0x18
	v_lshrrev_b32_e32 v2, 3, v0
	s_mul_hi_u32 s9, s6, 28
	s_mul_i32 s6, s6, 28
	v_lshlrev_b32_e32 v3, 2, v1
	s_waitcnt lgkmcnt(0)
	s_sub_i32 s7, s2, s14
	s_sub_i32 s15, s3, s14
	v_add_nc_u32_e32 v0, s7, v2
	s_sub_i32 s3, s15, s7
	s_mul_i32 s10, s7, 49
	s_mul_i32 s3, s3, 7
	v_mul_lo_u32 v4, s3, v1
	s_add_i32 s3, s3, s8
	v_cmp_gt_i32_e32 vcc_lo, s15, v0
	s_add_u32 s0, s0, s6
	s_addc_u32 s1, s1, s9
	v_add3_u32 v5, s3, s10, v4
	global_store_dword v3, v5, s[0:1] offset:4
	s_and_b32 exec_lo, exec_lo, vcc_lo
	s_cbranch_execz .LBB32_6
; %bb.4:
	s_clause 0x4
	s_load_dwordx2 s[0:1], s[4:5], 0x20
	s_load_dwordx2 s[6:7], s[4:5], 0x30
	s_load_dwordx2 s[10:11], s[4:5], 0x48
	s_load_dword s3, s[4:5], 0x0
	s_load_dwordx2 s[12:13], s[4:5], 0x58
	v_mul_u32_u24_e32 v6, 7, v2
	v_mov_b32_e32 v5, 0
	s_mov_b32 s9, 0
	s_mov_b32 s16, s9
	s_waitcnt lgkmcnt(0)
	v_add_co_u32 v2, s0, s0, v3
	v_add_co_ci_u32_e64 v3, null, s1, 0, s0
	s_mul_i32 s0, s2, 49
	s_cmp_eq_u32 s3, 0
	v_add3_u32 v8, v4, s0, v6
	v_mad_u64_u32 v[6:7], null, v1, 24, v[2:3]
	v_mul_lo_u32 v4, v0, 49
	s_mul_i32 s0, s14, 49
	s_cselect_b32 vcc_lo, -1, 0
	v_subrev_nc_u32_e32 v8, s0, v8
.LBB32_5:                               ; =>This Inner Loop Header: Depth=1
	v_ashrrev_i32_e32 v1, 31, v0
	v_lshlrev_b64 v[9:10], 2, v[4:5]
	v_add_nc_u32_e32 v4, 0x620, v4
	v_lshlrev_b64 v[11:12], 3, v[0:1]
	v_add_nc_u32_e32 v0, 32, v0
	v_add_co_u32 v1, s0, v2, v9
	v_add_co_ci_u32_e64 v13, null, v3, v10, s0
	v_add_co_u32 v14, s0, v6, v9
	v_add_co_ci_u32_e64 v15, null, v7, v10, s0
	;; [unrolled: 2-line block ×11, first 2 shown]
	v_add_co_u32 v32, s0, v14, 20
	v_cndmask_b32_e32 v12, v13, v15, vcc_lo
	v_cndmask_b32_e32 v11, v1, v14, vcc_lo
	v_add_co_ci_u32_e64 v33, null, 0, v15, s0
	v_add_co_u32 v34, s0, 0x8c, v1
	v_add_co_ci_u32_e64 v35, null, 0, v13, s0
	v_add_co_u32 v36, s0, v14, 24
	v_add_co_ci_u32_e64 v37, null, 0, v15, s0
	global_load_dwordx2 v[14:15], v[9:10], off
	global_load_dword v10, v[11:12], off
	v_add_co_u32 v1, s0, 0xa8, v1
	v_add_co_ci_u32_e64 v13, null, 0, v13, s0
	v_cndmask_b32_e32 v12, v19, v17, vcc_lo
	v_cndmask_b32_e32 v11, v18, v16, vcc_lo
	v_cndmask_b32_e32 v17, v23, v21, vcc_lo
	v_cndmask_b32_e32 v16, v22, v20, vcc_lo
	v_cndmask_b32_e32 v19, v27, v25, vcc_lo
	v_cndmask_b32_e32 v18, v26, v24, vcc_lo
	v_cndmask_b32_e32 v21, v31, v29, vcc_lo
	v_cndmask_b32_e32 v20, v30, v28, vcc_lo
	v_cndmask_b32_e32 v24, v35, v33, vcc_lo
	v_cndmask_b32_e32 v23, v34, v32, vcc_lo
	v_cndmask_b32_e32 v26, v13, v37, vcc_lo
	v_cndmask_b32_e32 v25, v1, v36, vcc_lo
	global_load_dword v11, v[11:12], off
	global_load_dword v12, v[16:17], off
	;; [unrolled: 1-line block ×6, first 2 shown]
	v_cmp_le_i32_e64 s0, s15, v0
	v_ashrrev_i32_e32 v9, 31, v8
	s_or_b32 s16, s0, s16
	v_lshlrev_b64 v[16:17], 3, v[8:9]
	v_lshlrev_b64 v[18:19], 2, v[8:9]
	v_add_nc_u32_e32 v8, 0xe0, v8
	v_add_co_u32 v25, s1, s12, v16
	v_add_co_ci_u32_e64 v26, null, s13, v17, s1
	v_add_co_u32 v27, s1, s10, v18
	v_add_co_ci_u32_e64 v28, null, s11, v19, s1
	s_waitcnt vmcnt(7)
	v_sub_co_u32 v1, s0, v14, s14
	v_subrev_co_ci_u32_e64 v9, null, 0, v15, s0
	v_mad_u64_u32 v[14:15], null, v1, 7, s[8:9]
	v_mov_b32_e32 v1, v15
	v_add_co_u32 v18, s2, v14, 4
	s_waitcnt vmcnt(3)
	global_store_dwordx4 v[27:28], v[10:13], off
	v_add_co_u32 v11, s1, v14, 3
	v_mad_u64_u32 v[15:16], null, v9, 7, v[1:2]
	v_add_co_u32 v16, s5, v14, 1
	v_add_co_u32 v9, s0, v14, 2
	;; [unrolled: 1-line block ×3, first 2 shown]
	v_add_co_ci_u32_e64 v17, null, 0, v15, s5
	v_add_co_u32 v29, s4, v14, 6
	v_add_co_ci_u32_e64 v10, null, 0, v15, s0
	v_add_co_ci_u32_e64 v12, null, 0, v15, s1
	;; [unrolled: 1-line block ×5, first 2 shown]
	s_waitcnt vmcnt(0)
	global_store_dwordx3 v[27:28], v[22:24], off offset:16
	global_store_dwordx4 v[25:26], v[14:17], off
	global_store_dwordx4 v[25:26], v[9:12], off offset:16
	global_store_dwordx4 v[25:26], v[18:21], off offset:32
	global_store_dwordx2 v[25:26], v[29:30], off offset:48
	s_andn2_b32 exec_lo, exec_lo, s16
	s_cbranch_execnz .LBB32_5
.LBB32_6:
	s_endpgm
	.section	.rodata,"a",@progbits
	.p2align	6, 0x0
	.amdhsa_kernel _ZN9rocsparseL32bsr2csr_block_per_row_2_7_kernelILj256ELj7EiilEEv20rocsparse_direction_T3_S2_21rocsparse_index_base_PKT1_PKT2_PKS2_S2_S3_PS4_PS7_PS2_
		.amdhsa_group_segment_fixed_size 0
		.amdhsa_private_segment_fixed_size 0
		.amdhsa_kernarg_size 96
		.amdhsa_user_sgpr_count 6
		.amdhsa_user_sgpr_private_segment_buffer 1
		.amdhsa_user_sgpr_dispatch_ptr 0
		.amdhsa_user_sgpr_queue_ptr 0
		.amdhsa_user_sgpr_kernarg_segment_ptr 1
		.amdhsa_user_sgpr_dispatch_id 0
		.amdhsa_user_sgpr_flat_scratch_init 0
		.amdhsa_user_sgpr_private_segment_size 0
		.amdhsa_wavefront_size32 1
		.amdhsa_uses_dynamic_stack 0
		.amdhsa_system_sgpr_private_segment_wavefront_offset 0
		.amdhsa_system_sgpr_workgroup_id_x 1
		.amdhsa_system_sgpr_workgroup_id_y 0
		.amdhsa_system_sgpr_workgroup_id_z 0
		.amdhsa_system_sgpr_workgroup_info 0
		.amdhsa_system_vgpr_workitem_id 0
		.amdhsa_next_free_vgpr 38
		.amdhsa_next_free_sgpr 17
		.amdhsa_reserve_vcc 1
		.amdhsa_reserve_flat_scratch 0
		.amdhsa_float_round_mode_32 0
		.amdhsa_float_round_mode_16_64 0
		.amdhsa_float_denorm_mode_32 3
		.amdhsa_float_denorm_mode_16_64 3
		.amdhsa_dx10_clamp 1
		.amdhsa_ieee_mode 1
		.amdhsa_fp16_overflow 0
		.amdhsa_workgroup_processor_mode 1
		.amdhsa_memory_ordered 1
		.amdhsa_forward_progress 1
		.amdhsa_shared_vgpr_count 0
		.amdhsa_exception_fp_ieee_invalid_op 0
		.amdhsa_exception_fp_denorm_src 0
		.amdhsa_exception_fp_ieee_div_zero 0
		.amdhsa_exception_fp_ieee_overflow 0
		.amdhsa_exception_fp_ieee_underflow 0
		.amdhsa_exception_fp_ieee_inexact 0
		.amdhsa_exception_int_div_zero 0
	.end_amdhsa_kernel
	.section	.text._ZN9rocsparseL32bsr2csr_block_per_row_2_7_kernelILj256ELj7EiilEEv20rocsparse_direction_T3_S2_21rocsparse_index_base_PKT1_PKT2_PKS2_S2_S3_PS4_PS7_PS2_,"axG",@progbits,_ZN9rocsparseL32bsr2csr_block_per_row_2_7_kernelILj256ELj7EiilEEv20rocsparse_direction_T3_S2_21rocsparse_index_base_PKT1_PKT2_PKS2_S2_S3_PS4_PS7_PS2_,comdat
.Lfunc_end32:
	.size	_ZN9rocsparseL32bsr2csr_block_per_row_2_7_kernelILj256ELj7EiilEEv20rocsparse_direction_T3_S2_21rocsparse_index_base_PKT1_PKT2_PKS2_S2_S3_PS4_PS7_PS2_, .Lfunc_end32-_ZN9rocsparseL32bsr2csr_block_per_row_2_7_kernelILj256ELj7EiilEEv20rocsparse_direction_T3_S2_21rocsparse_index_base_PKT1_PKT2_PKS2_S2_S3_PS4_PS7_PS2_
                                        ; -- End function
	.set _ZN9rocsparseL32bsr2csr_block_per_row_2_7_kernelILj256ELj7EiilEEv20rocsparse_direction_T3_S2_21rocsparse_index_base_PKT1_PKT2_PKS2_S2_S3_PS4_PS7_PS2_.num_vgpr, 38
	.set _ZN9rocsparseL32bsr2csr_block_per_row_2_7_kernelILj256ELj7EiilEEv20rocsparse_direction_T3_S2_21rocsparse_index_base_PKT1_PKT2_PKS2_S2_S3_PS4_PS7_PS2_.num_agpr, 0
	.set _ZN9rocsparseL32bsr2csr_block_per_row_2_7_kernelILj256ELj7EiilEEv20rocsparse_direction_T3_S2_21rocsparse_index_base_PKT1_PKT2_PKS2_S2_S3_PS4_PS7_PS2_.numbered_sgpr, 17
	.set _ZN9rocsparseL32bsr2csr_block_per_row_2_7_kernelILj256ELj7EiilEEv20rocsparse_direction_T3_S2_21rocsparse_index_base_PKT1_PKT2_PKS2_S2_S3_PS4_PS7_PS2_.num_named_barrier, 0
	.set _ZN9rocsparseL32bsr2csr_block_per_row_2_7_kernelILj256ELj7EiilEEv20rocsparse_direction_T3_S2_21rocsparse_index_base_PKT1_PKT2_PKS2_S2_S3_PS4_PS7_PS2_.private_seg_size, 0
	.set _ZN9rocsparseL32bsr2csr_block_per_row_2_7_kernelILj256ELj7EiilEEv20rocsparse_direction_T3_S2_21rocsparse_index_base_PKT1_PKT2_PKS2_S2_S3_PS4_PS7_PS2_.uses_vcc, 1
	.set _ZN9rocsparseL32bsr2csr_block_per_row_2_7_kernelILj256ELj7EiilEEv20rocsparse_direction_T3_S2_21rocsparse_index_base_PKT1_PKT2_PKS2_S2_S3_PS4_PS7_PS2_.uses_flat_scratch, 0
	.set _ZN9rocsparseL32bsr2csr_block_per_row_2_7_kernelILj256ELj7EiilEEv20rocsparse_direction_T3_S2_21rocsparse_index_base_PKT1_PKT2_PKS2_S2_S3_PS4_PS7_PS2_.has_dyn_sized_stack, 0
	.set _ZN9rocsparseL32bsr2csr_block_per_row_2_7_kernelILj256ELj7EiilEEv20rocsparse_direction_T3_S2_21rocsparse_index_base_PKT1_PKT2_PKS2_S2_S3_PS4_PS7_PS2_.has_recursion, 0
	.set _ZN9rocsparseL32bsr2csr_block_per_row_2_7_kernelILj256ELj7EiilEEv20rocsparse_direction_T3_S2_21rocsparse_index_base_PKT1_PKT2_PKS2_S2_S3_PS4_PS7_PS2_.has_indirect_call, 0
	.section	.AMDGPU.csdata,"",@progbits
; Kernel info:
; codeLenInByte = 1016
; TotalNumSgprs: 19
; NumVgprs: 38
; ScratchSize: 0
; MemoryBound: 0
; FloatMode: 240
; IeeeMode: 1
; LDSByteSize: 0 bytes/workgroup (compile time only)
; SGPRBlocks: 0
; VGPRBlocks: 4
; NumSGPRsForWavesPerEU: 19
; NumVGPRsForWavesPerEU: 38
; Occupancy: 16
; WaveLimiterHint : 0
; COMPUTE_PGM_RSRC2:SCRATCH_EN: 0
; COMPUTE_PGM_RSRC2:USER_SGPR: 6
; COMPUTE_PGM_RSRC2:TRAP_HANDLER: 0
; COMPUTE_PGM_RSRC2:TGID_X_EN: 1
; COMPUTE_PGM_RSRC2:TGID_Y_EN: 0
; COMPUTE_PGM_RSRC2:TGID_Z_EN: 0
; COMPUTE_PGM_RSRC2:TIDIG_COMP_CNT: 0
	.section	.text._ZN9rocsparseL33bsr2csr_block_per_row_8_32_kernelILj1024ELj8EiilEEv20rocsparse_direction_T3_S2_21rocsparse_index_base_PKT1_PKT2_PKS2_S2_S3_PS4_PS7_PS2_,"axG",@progbits,_ZN9rocsparseL33bsr2csr_block_per_row_8_32_kernelILj1024ELj8EiilEEv20rocsparse_direction_T3_S2_21rocsparse_index_base_PKT1_PKT2_PKS2_S2_S3_PS4_PS7_PS2_,comdat
	.globl	_ZN9rocsparseL33bsr2csr_block_per_row_8_32_kernelILj1024ELj8EiilEEv20rocsparse_direction_T3_S2_21rocsparse_index_base_PKT1_PKT2_PKS2_S2_S3_PS4_PS7_PS2_ ; -- Begin function _ZN9rocsparseL33bsr2csr_block_per_row_8_32_kernelILj1024ELj8EiilEEv20rocsparse_direction_T3_S2_21rocsparse_index_base_PKT1_PKT2_PKS2_S2_S3_PS4_PS7_PS2_
	.p2align	8
	.type	_ZN9rocsparseL33bsr2csr_block_per_row_8_32_kernelILj1024ELj8EiilEEv20rocsparse_direction_T3_S2_21rocsparse_index_base_PKT1_PKT2_PKS2_S2_S3_PS4_PS7_PS2_,@function
_ZN9rocsparseL33bsr2csr_block_per_row_8_32_kernelILj1024ELj8EiilEEv20rocsparse_direction_T3_S2_21rocsparse_index_base_PKT1_PKT2_PKS2_S2_S3_PS4_PS7_PS2_: ; @_ZN9rocsparseL33bsr2csr_block_per_row_8_32_kernelILj1024ELj8EiilEEv20rocsparse_direction_T3_S2_21rocsparse_index_base_PKT1_PKT2_PKS2_S2_S3_PS4_PS7_PS2_
; %bb.0:
	s_clause 0x2
	s_load_dwordx2 s[2:3], s[4:5], 0x28
	s_load_dword s1, s[4:5], 0x40
	s_load_dwordx2 s[8:9], s[4:5], 0x50
	s_mov_b32 s7, 0
	v_or_b32_e32 v1, s6, v0
	s_lshl_b64 s[10:11], s[6:7], 2
	s_mov_b32 s0, exec_lo
	s_waitcnt lgkmcnt(0)
	s_add_u32 s10, s2, s10
	s_addc_u32 s11, s3, s11
	v_cmpx_eq_u32_e32 0, v1
	s_cbranch_execz .LBB33_2
; %bb.1:
	v_mov_b32_e32 v1, 0
	v_mov_b32_e32 v2, s1
	global_store_dword v1, v2, s[8:9]
.LBB33_2:
	s_or_b32 exec_lo, exec_lo, s0
	s_load_dwordx2 s[2:3], s[4:5], 0x38
	v_mov_b32_e32 v2, 0
	v_bfe_u32 v3, v0, 3, 3
	v_and_b32_e32 v1, 7, v0
	v_mov_b32_e32 v4, v2
	s_waitcnt lgkmcnt(0)
	v_cmp_gt_i64_e32 vcc_lo, s[2:3], v[3:4]
	v_cmp_gt_i64_e64 s0, s[2:3], v[1:2]
	s_and_b32 s0, vcc_lo, s0
	s_and_saveexec_b32 s7, s0
	s_cbranch_execz .LBB33_6
; %bb.3:
	s_load_dwordx2 s[10:11], s[10:11], 0x0
	s_load_dword s12, s[4:5], 0x18
	v_lshrrev_b32_e32 v2, 6, v0
	s_mul_i32 s14, s2, s2
	s_mul_i32 s7, s3, s6
	s_waitcnt lgkmcnt(0)
	s_sub_i32 s0, s10, s12
	s_sub_i32 s13, s11, s12
	v_add_nc_u32_e32 v0, s0, v2
	s_sub_i32 s15, s13, s0
	s_mul_hi_u32 s11, s2, s6
	s_mul_i32 s10, s2, s15
	s_mul_i32 s6, s2, s6
	v_mul_lo_u32 v4, s10, v3
	s_add_i32 s7, s11, s7
	s_mul_i32 s11, s14, s0
	s_add_i32 s10, s1, s10
	s_lshl_b64 s[6:7], s[6:7], 2
	v_cmp_gt_i32_e32 vcc_lo, s13, v0
	s_add_u32 s6, s8, s6
	s_addc_u32 s7, s9, s7
	v_add3_u32 v5, s10, s11, v4
	v_lshlrev_b32_e32 v4, 2, v3
	global_store_dword v4, v5, s[6:7] offset:4
	s_and_b32 exec_lo, exec_lo, vcc_lo
	s_cbranch_execz .LBB33_6
; %bb.4:
	v_mad_u64_u32 v[5:6], null, s2, v1, 0
	v_mad_u64_u32 v[7:8], null, s2, v3, 0
	s_clause 0x4
	s_load_dwordx2 s[16:17], s[4:5], 0x20
	s_load_dwordx2 s[6:7], s[4:5], 0x58
	;; [unrolled: 1-line block ×4, first 2 shown]
	s_load_dword s5, s[4:5], 0x0
	s_mul_i32 s0, s2, s0
	s_mul_i32 s18, s2, s3
	s_mul_hi_u32 s19, s2, s2
	v_mad_u64_u32 v[9:10], null, s3, v1, v[6:7]
	v_mov_b32_e32 v6, v8
	s_add_i32 s4, s19, s18
	s_add_i32 s4, s4, s18
	v_mad_u64_u32 v[10:11], null, s3, v3, v[6:7]
	v_mov_b32_e32 v6, v9
	v_mul_lo_u32 v3, s15, v3
	v_lshlrev_b32_e32 v9, 2, v1
	v_lshlrev_b64 v[5:6], 2, v[5:6]
	v_mov_b32_e32 v8, v10
	s_waitcnt lgkmcnt(0)
	s_cmp_eq_u32 s5, 0
	s_mov_b32 s5, 0
	v_add3_u32 v2, v2, s0, v3
	v_lshlrev_b64 v[7:8], 2, v[7:8]
	v_add_co_u32 v5, vcc_lo, s16, v5
	v_add_co_ci_u32_e64 v6, null, s17, v6, vcc_lo
	v_add_co_u32 v7, vcc_lo, s16, v7
	v_add_co_ci_u32_e64 v8, null, s17, v8, vcc_lo
	;; [unrolled: 2-line block ×4, first 2 shown]
	v_mad_u64_u32 v[5:6], null, s2, v2, v[1:2]
	v_add_co_u32 v2, s0, v1, s1
	s_cselect_b32 vcc_lo, -1, 0
	v_add_co_ci_u32_e64 v3, null, 0, 0, s0
	v_mov_b32_e32 v4, 0
	v_cndmask_b32_e32 v6, v11, v8, vcc_lo
	v_cndmask_b32_e32 v7, v10, v7, vcc_lo
	s_lshl_b32 s15, s2, 4
.LBB33_5:                               ; =>This Inner Loop Header: Depth=1
	v_ashrrev_i32_e32 v1, 31, v0
	v_mul_lo_u32 v12, s4, v0
	v_mad_u64_u32 v[8:9], null, s14, v0, 0
	v_lshlrev_b64 v[10:11], 3, v[0:1]
	v_mul_lo_u32 v1, s14, v1
	v_add_nc_u32_e32 v0, 16, v0
	v_add_co_u32 v10, vcc_lo, s8, v10
	v_add_co_ci_u32_e64 v11, null, s9, v11, vcc_lo
	v_add3_u32 v9, v9, v1, v12
	v_ashrrev_i64 v[12:13], 30, v[4:5]
	global_load_dwordx2 v[10:11], v[10:11], off
	v_lshlrev_b64 v[8:9], 2, v[8:9]
	v_add_co_u32 v8, vcc_lo, v7, v8
	v_add_co_ci_u32_e64 v9, null, v6, v9, vcc_lo
	global_load_dword v1, v[8:9], off
	v_ashrrev_i64 v[8:9], 29, v[4:5]
	v_add_co_u32 v4, vcc_lo, v4, 0
	v_add_co_ci_u32_e64 v5, null, s15, v5, vcc_lo
	v_add_co_u32 v8, s0, s6, v8
	v_add_co_ci_u32_e64 v9, null, s7, v9, s0
	v_add_co_u32 v12, s0, s10, v12
	v_add_co_ci_u32_e64 v13, null, s11, v13, s0
	v_cmp_le_i32_e64 s0, s13, v0
	s_or_b32 s5, s0, s5
	s_waitcnt vmcnt(1)
	v_sub_co_u32 v10, s1, v10, s12
	v_subrev_co_ci_u32_e64 v11, null, 0, v11, s1
	v_mul_lo_u32 v14, v10, s3
	v_mul_lo_u32 v15, v11, s2
	v_mad_u64_u32 v[10:11], null, v10, s2, v[2:3]
	v_add3_u32 v11, v15, v11, v14
	s_waitcnt vmcnt(0)
	global_store_dword v[12:13], v1, off
	global_store_dwordx2 v[8:9], v[10:11], off
	s_andn2_b32 exec_lo, exec_lo, s5
	s_cbranch_execnz .LBB33_5
.LBB33_6:
	s_endpgm
	.section	.rodata,"a",@progbits
	.p2align	6, 0x0
	.amdhsa_kernel _ZN9rocsparseL33bsr2csr_block_per_row_8_32_kernelILj1024ELj8EiilEEv20rocsparse_direction_T3_S2_21rocsparse_index_base_PKT1_PKT2_PKS2_S2_S3_PS4_PS7_PS2_
		.amdhsa_group_segment_fixed_size 0
		.amdhsa_private_segment_fixed_size 0
		.amdhsa_kernarg_size 96
		.amdhsa_user_sgpr_count 6
		.amdhsa_user_sgpr_private_segment_buffer 1
		.amdhsa_user_sgpr_dispatch_ptr 0
		.amdhsa_user_sgpr_queue_ptr 0
		.amdhsa_user_sgpr_kernarg_segment_ptr 1
		.amdhsa_user_sgpr_dispatch_id 0
		.amdhsa_user_sgpr_flat_scratch_init 0
		.amdhsa_user_sgpr_private_segment_size 0
		.amdhsa_wavefront_size32 1
		.amdhsa_uses_dynamic_stack 0
		.amdhsa_system_sgpr_private_segment_wavefront_offset 0
		.amdhsa_system_sgpr_workgroup_id_x 1
		.amdhsa_system_sgpr_workgroup_id_y 0
		.amdhsa_system_sgpr_workgroup_id_z 0
		.amdhsa_system_sgpr_workgroup_info 0
		.amdhsa_system_vgpr_workitem_id 0
		.amdhsa_next_free_vgpr 16
		.amdhsa_next_free_sgpr 20
		.amdhsa_reserve_vcc 1
		.amdhsa_reserve_flat_scratch 0
		.amdhsa_float_round_mode_32 0
		.amdhsa_float_round_mode_16_64 0
		.amdhsa_float_denorm_mode_32 3
		.amdhsa_float_denorm_mode_16_64 3
		.amdhsa_dx10_clamp 1
		.amdhsa_ieee_mode 1
		.amdhsa_fp16_overflow 0
		.amdhsa_workgroup_processor_mode 1
		.amdhsa_memory_ordered 1
		.amdhsa_forward_progress 1
		.amdhsa_shared_vgpr_count 0
		.amdhsa_exception_fp_ieee_invalid_op 0
		.amdhsa_exception_fp_denorm_src 0
		.amdhsa_exception_fp_ieee_div_zero 0
		.amdhsa_exception_fp_ieee_overflow 0
		.amdhsa_exception_fp_ieee_underflow 0
		.amdhsa_exception_fp_ieee_inexact 0
		.amdhsa_exception_int_div_zero 0
	.end_amdhsa_kernel
	.section	.text._ZN9rocsparseL33bsr2csr_block_per_row_8_32_kernelILj1024ELj8EiilEEv20rocsparse_direction_T3_S2_21rocsparse_index_base_PKT1_PKT2_PKS2_S2_S3_PS4_PS7_PS2_,"axG",@progbits,_ZN9rocsparseL33bsr2csr_block_per_row_8_32_kernelILj1024ELj8EiilEEv20rocsparse_direction_T3_S2_21rocsparse_index_base_PKT1_PKT2_PKS2_S2_S3_PS4_PS7_PS2_,comdat
.Lfunc_end33:
	.size	_ZN9rocsparseL33bsr2csr_block_per_row_8_32_kernelILj1024ELj8EiilEEv20rocsparse_direction_T3_S2_21rocsparse_index_base_PKT1_PKT2_PKS2_S2_S3_PS4_PS7_PS2_, .Lfunc_end33-_ZN9rocsparseL33bsr2csr_block_per_row_8_32_kernelILj1024ELj8EiilEEv20rocsparse_direction_T3_S2_21rocsparse_index_base_PKT1_PKT2_PKS2_S2_S3_PS4_PS7_PS2_
                                        ; -- End function
	.set _ZN9rocsparseL33bsr2csr_block_per_row_8_32_kernelILj1024ELj8EiilEEv20rocsparse_direction_T3_S2_21rocsparse_index_base_PKT1_PKT2_PKS2_S2_S3_PS4_PS7_PS2_.num_vgpr, 16
	.set _ZN9rocsparseL33bsr2csr_block_per_row_8_32_kernelILj1024ELj8EiilEEv20rocsparse_direction_T3_S2_21rocsparse_index_base_PKT1_PKT2_PKS2_S2_S3_PS4_PS7_PS2_.num_agpr, 0
	.set _ZN9rocsparseL33bsr2csr_block_per_row_8_32_kernelILj1024ELj8EiilEEv20rocsparse_direction_T3_S2_21rocsparse_index_base_PKT1_PKT2_PKS2_S2_S3_PS4_PS7_PS2_.numbered_sgpr, 20
	.set _ZN9rocsparseL33bsr2csr_block_per_row_8_32_kernelILj1024ELj8EiilEEv20rocsparse_direction_T3_S2_21rocsparse_index_base_PKT1_PKT2_PKS2_S2_S3_PS4_PS7_PS2_.num_named_barrier, 0
	.set _ZN9rocsparseL33bsr2csr_block_per_row_8_32_kernelILj1024ELj8EiilEEv20rocsparse_direction_T3_S2_21rocsparse_index_base_PKT1_PKT2_PKS2_S2_S3_PS4_PS7_PS2_.private_seg_size, 0
	.set _ZN9rocsparseL33bsr2csr_block_per_row_8_32_kernelILj1024ELj8EiilEEv20rocsparse_direction_T3_S2_21rocsparse_index_base_PKT1_PKT2_PKS2_S2_S3_PS4_PS7_PS2_.uses_vcc, 1
	.set _ZN9rocsparseL33bsr2csr_block_per_row_8_32_kernelILj1024ELj8EiilEEv20rocsparse_direction_T3_S2_21rocsparse_index_base_PKT1_PKT2_PKS2_S2_S3_PS4_PS7_PS2_.uses_flat_scratch, 0
	.set _ZN9rocsparseL33bsr2csr_block_per_row_8_32_kernelILj1024ELj8EiilEEv20rocsparse_direction_T3_S2_21rocsparse_index_base_PKT1_PKT2_PKS2_S2_S3_PS4_PS7_PS2_.has_dyn_sized_stack, 0
	.set _ZN9rocsparseL33bsr2csr_block_per_row_8_32_kernelILj1024ELj8EiilEEv20rocsparse_direction_T3_S2_21rocsparse_index_base_PKT1_PKT2_PKS2_S2_S3_PS4_PS7_PS2_.has_recursion, 0
	.set _ZN9rocsparseL33bsr2csr_block_per_row_8_32_kernelILj1024ELj8EiilEEv20rocsparse_direction_T3_S2_21rocsparse_index_base_PKT1_PKT2_PKS2_S2_S3_PS4_PS7_PS2_.has_indirect_call, 0
	.section	.AMDGPU.csdata,"",@progbits
; Kernel info:
; codeLenInByte = 792
; TotalNumSgprs: 22
; NumVgprs: 16
; ScratchSize: 0
; MemoryBound: 0
; FloatMode: 240
; IeeeMode: 1
; LDSByteSize: 0 bytes/workgroup (compile time only)
; SGPRBlocks: 0
; VGPRBlocks: 1
; NumSGPRsForWavesPerEU: 22
; NumVGPRsForWavesPerEU: 16
; Occupancy: 16
; WaveLimiterHint : 0
; COMPUTE_PGM_RSRC2:SCRATCH_EN: 0
; COMPUTE_PGM_RSRC2:USER_SGPR: 6
; COMPUTE_PGM_RSRC2:TRAP_HANDLER: 0
; COMPUTE_PGM_RSRC2:TGID_X_EN: 1
; COMPUTE_PGM_RSRC2:TGID_Y_EN: 0
; COMPUTE_PGM_RSRC2:TGID_Z_EN: 0
; COMPUTE_PGM_RSRC2:TIDIG_COMP_CNT: 0
	.section	.text._ZN9rocsparseL33bsr2csr_block_per_row_8_32_kernelILj1024ELj16EiilEEv20rocsparse_direction_T3_S2_21rocsparse_index_base_PKT1_PKT2_PKS2_S2_S3_PS4_PS7_PS2_,"axG",@progbits,_ZN9rocsparseL33bsr2csr_block_per_row_8_32_kernelILj1024ELj16EiilEEv20rocsparse_direction_T3_S2_21rocsparse_index_base_PKT1_PKT2_PKS2_S2_S3_PS4_PS7_PS2_,comdat
	.globl	_ZN9rocsparseL33bsr2csr_block_per_row_8_32_kernelILj1024ELj16EiilEEv20rocsparse_direction_T3_S2_21rocsparse_index_base_PKT1_PKT2_PKS2_S2_S3_PS4_PS7_PS2_ ; -- Begin function _ZN9rocsparseL33bsr2csr_block_per_row_8_32_kernelILj1024ELj16EiilEEv20rocsparse_direction_T3_S2_21rocsparse_index_base_PKT1_PKT2_PKS2_S2_S3_PS4_PS7_PS2_
	.p2align	8
	.type	_ZN9rocsparseL33bsr2csr_block_per_row_8_32_kernelILj1024ELj16EiilEEv20rocsparse_direction_T3_S2_21rocsparse_index_base_PKT1_PKT2_PKS2_S2_S3_PS4_PS7_PS2_,@function
_ZN9rocsparseL33bsr2csr_block_per_row_8_32_kernelILj1024ELj16EiilEEv20rocsparse_direction_T3_S2_21rocsparse_index_base_PKT1_PKT2_PKS2_S2_S3_PS4_PS7_PS2_: ; @_ZN9rocsparseL33bsr2csr_block_per_row_8_32_kernelILj1024ELj16EiilEEv20rocsparse_direction_T3_S2_21rocsparse_index_base_PKT1_PKT2_PKS2_S2_S3_PS4_PS7_PS2_
; %bb.0:
	s_clause 0x2
	s_load_dwordx2 s[2:3], s[4:5], 0x28
	s_load_dword s1, s[4:5], 0x40
	s_load_dwordx2 s[8:9], s[4:5], 0x50
	s_mov_b32 s7, 0
	v_or_b32_e32 v1, s6, v0
	s_lshl_b64 s[10:11], s[6:7], 2
	s_mov_b32 s0, exec_lo
	s_waitcnt lgkmcnt(0)
	s_add_u32 s10, s2, s10
	s_addc_u32 s11, s3, s11
	v_cmpx_eq_u32_e32 0, v1
	s_cbranch_execz .LBB34_2
; %bb.1:
	v_mov_b32_e32 v1, 0
	v_mov_b32_e32 v2, s1
	global_store_dword v1, v2, s[8:9]
.LBB34_2:
	s_or_b32 exec_lo, exec_lo, s0
	s_load_dwordx2 s[2:3], s[4:5], 0x38
	v_mov_b32_e32 v2, 0
	v_bfe_u32 v3, v0, 4, 4
	v_and_b32_e32 v1, 15, v0
	v_mov_b32_e32 v4, v2
	s_waitcnt lgkmcnt(0)
	v_cmp_gt_i64_e32 vcc_lo, s[2:3], v[3:4]
	v_cmp_gt_i64_e64 s0, s[2:3], v[1:2]
	s_and_b32 s0, vcc_lo, s0
	s_and_saveexec_b32 s7, s0
	s_cbranch_execz .LBB34_6
; %bb.3:
	s_load_dwordx2 s[10:11], s[10:11], 0x0
	s_load_dword s12, s[4:5], 0x18
	v_lshrrev_b32_e32 v2, 8, v0
	s_mul_i32 s14, s2, s2
	s_mul_i32 s7, s3, s6
	s_waitcnt lgkmcnt(0)
	s_sub_i32 s0, s10, s12
	s_sub_i32 s13, s11, s12
	v_add_nc_u32_e32 v0, s0, v2
	s_sub_i32 s15, s13, s0
	s_mul_hi_u32 s11, s2, s6
	s_mul_i32 s10, s2, s15
	s_mul_i32 s6, s2, s6
	v_mul_lo_u32 v4, s10, v3
	s_add_i32 s7, s11, s7
	s_mul_i32 s11, s14, s0
	s_add_i32 s10, s1, s10
	s_lshl_b64 s[6:7], s[6:7], 2
	v_cmp_gt_i32_e32 vcc_lo, s13, v0
	s_add_u32 s6, s8, s6
	s_addc_u32 s7, s9, s7
	v_add3_u32 v5, s10, s11, v4
	v_lshlrev_b32_e32 v4, 2, v3
	global_store_dword v4, v5, s[6:7] offset:4
	s_and_b32 exec_lo, exec_lo, vcc_lo
	s_cbranch_execz .LBB34_6
; %bb.4:
	v_mad_u64_u32 v[5:6], null, s2, v1, 0
	v_mad_u64_u32 v[7:8], null, s2, v3, 0
	s_clause 0x4
	s_load_dwordx2 s[16:17], s[4:5], 0x20
	s_load_dwordx2 s[6:7], s[4:5], 0x58
	;; [unrolled: 1-line block ×4, first 2 shown]
	s_load_dword s5, s[4:5], 0x0
	s_mul_i32 s0, s2, s0
	s_mul_i32 s18, s2, s3
	s_mul_hi_u32 s19, s2, s2
	v_mad_u64_u32 v[9:10], null, s3, v1, v[6:7]
	v_mov_b32_e32 v6, v8
	s_add_i32 s4, s19, s18
	s_add_i32 s4, s4, s18
	v_mad_u64_u32 v[10:11], null, s3, v3, v[6:7]
	v_mov_b32_e32 v6, v9
	v_mul_lo_u32 v3, s15, v3
	v_lshlrev_b32_e32 v9, 2, v1
	v_lshlrev_b64 v[5:6], 2, v[5:6]
	v_mov_b32_e32 v8, v10
	s_waitcnt lgkmcnt(0)
	s_cmp_eq_u32 s5, 0
	s_mov_b32 s5, 0
	v_add3_u32 v2, v2, s0, v3
	v_lshlrev_b64 v[7:8], 2, v[7:8]
	v_add_co_u32 v5, vcc_lo, s16, v5
	v_add_co_ci_u32_e64 v6, null, s17, v6, vcc_lo
	v_add_co_u32 v7, vcc_lo, s16, v7
	v_add_co_ci_u32_e64 v8, null, s17, v8, vcc_lo
	;; [unrolled: 2-line block ×4, first 2 shown]
	v_mad_u64_u32 v[5:6], null, s2, v2, v[1:2]
	v_add_co_u32 v2, s0, v1, s1
	s_cselect_b32 vcc_lo, -1, 0
	v_add_co_ci_u32_e64 v3, null, 0, 0, s0
	v_mov_b32_e32 v4, 0
	v_cndmask_b32_e32 v6, v11, v8, vcc_lo
	v_cndmask_b32_e32 v7, v10, v7, vcc_lo
	s_lshl_b32 s15, s2, 2
.LBB34_5:                               ; =>This Inner Loop Header: Depth=1
	v_ashrrev_i32_e32 v1, 31, v0
	v_mul_lo_u32 v12, s4, v0
	v_mad_u64_u32 v[8:9], null, s14, v0, 0
	v_lshlrev_b64 v[10:11], 3, v[0:1]
	v_mul_lo_u32 v1, s14, v1
	v_add_nc_u32_e32 v0, 4, v0
	v_add_co_u32 v10, vcc_lo, s8, v10
	v_add_co_ci_u32_e64 v11, null, s9, v11, vcc_lo
	v_add3_u32 v9, v9, v1, v12
	v_ashrrev_i64 v[12:13], 30, v[4:5]
	global_load_dwordx2 v[10:11], v[10:11], off
	v_lshlrev_b64 v[8:9], 2, v[8:9]
	v_add_co_u32 v8, vcc_lo, v7, v8
	v_add_co_ci_u32_e64 v9, null, v6, v9, vcc_lo
	global_load_dword v1, v[8:9], off
	v_ashrrev_i64 v[8:9], 29, v[4:5]
	v_add_co_u32 v4, vcc_lo, v4, 0
	v_add_co_ci_u32_e64 v5, null, s15, v5, vcc_lo
	v_add_co_u32 v8, s0, s6, v8
	v_add_co_ci_u32_e64 v9, null, s7, v9, s0
	v_add_co_u32 v12, s0, s10, v12
	v_add_co_ci_u32_e64 v13, null, s11, v13, s0
	v_cmp_le_i32_e64 s0, s13, v0
	s_or_b32 s5, s0, s5
	s_waitcnt vmcnt(1)
	v_sub_co_u32 v10, s1, v10, s12
	v_subrev_co_ci_u32_e64 v11, null, 0, v11, s1
	v_mul_lo_u32 v14, v10, s3
	v_mul_lo_u32 v15, v11, s2
	v_mad_u64_u32 v[10:11], null, v10, s2, v[2:3]
	v_add3_u32 v11, v15, v11, v14
	s_waitcnt vmcnt(0)
	global_store_dword v[12:13], v1, off
	global_store_dwordx2 v[8:9], v[10:11], off
	s_andn2_b32 exec_lo, exec_lo, s5
	s_cbranch_execnz .LBB34_5
.LBB34_6:
	s_endpgm
	.section	.rodata,"a",@progbits
	.p2align	6, 0x0
	.amdhsa_kernel _ZN9rocsparseL33bsr2csr_block_per_row_8_32_kernelILj1024ELj16EiilEEv20rocsparse_direction_T3_S2_21rocsparse_index_base_PKT1_PKT2_PKS2_S2_S3_PS4_PS7_PS2_
		.amdhsa_group_segment_fixed_size 0
		.amdhsa_private_segment_fixed_size 0
		.amdhsa_kernarg_size 96
		.amdhsa_user_sgpr_count 6
		.amdhsa_user_sgpr_private_segment_buffer 1
		.amdhsa_user_sgpr_dispatch_ptr 0
		.amdhsa_user_sgpr_queue_ptr 0
		.amdhsa_user_sgpr_kernarg_segment_ptr 1
		.amdhsa_user_sgpr_dispatch_id 0
		.amdhsa_user_sgpr_flat_scratch_init 0
		.amdhsa_user_sgpr_private_segment_size 0
		.amdhsa_wavefront_size32 1
		.amdhsa_uses_dynamic_stack 0
		.amdhsa_system_sgpr_private_segment_wavefront_offset 0
		.amdhsa_system_sgpr_workgroup_id_x 1
		.amdhsa_system_sgpr_workgroup_id_y 0
		.amdhsa_system_sgpr_workgroup_id_z 0
		.amdhsa_system_sgpr_workgroup_info 0
		.amdhsa_system_vgpr_workitem_id 0
		.amdhsa_next_free_vgpr 16
		.amdhsa_next_free_sgpr 20
		.amdhsa_reserve_vcc 1
		.amdhsa_reserve_flat_scratch 0
		.amdhsa_float_round_mode_32 0
		.amdhsa_float_round_mode_16_64 0
		.amdhsa_float_denorm_mode_32 3
		.amdhsa_float_denorm_mode_16_64 3
		.amdhsa_dx10_clamp 1
		.amdhsa_ieee_mode 1
		.amdhsa_fp16_overflow 0
		.amdhsa_workgroup_processor_mode 1
		.amdhsa_memory_ordered 1
		.amdhsa_forward_progress 1
		.amdhsa_shared_vgpr_count 0
		.amdhsa_exception_fp_ieee_invalid_op 0
		.amdhsa_exception_fp_denorm_src 0
		.amdhsa_exception_fp_ieee_div_zero 0
		.amdhsa_exception_fp_ieee_overflow 0
		.amdhsa_exception_fp_ieee_underflow 0
		.amdhsa_exception_fp_ieee_inexact 0
		.amdhsa_exception_int_div_zero 0
	.end_amdhsa_kernel
	.section	.text._ZN9rocsparseL33bsr2csr_block_per_row_8_32_kernelILj1024ELj16EiilEEv20rocsparse_direction_T3_S2_21rocsparse_index_base_PKT1_PKT2_PKS2_S2_S3_PS4_PS7_PS2_,"axG",@progbits,_ZN9rocsparseL33bsr2csr_block_per_row_8_32_kernelILj1024ELj16EiilEEv20rocsparse_direction_T3_S2_21rocsparse_index_base_PKT1_PKT2_PKS2_S2_S3_PS4_PS7_PS2_,comdat
.Lfunc_end34:
	.size	_ZN9rocsparseL33bsr2csr_block_per_row_8_32_kernelILj1024ELj16EiilEEv20rocsparse_direction_T3_S2_21rocsparse_index_base_PKT1_PKT2_PKS2_S2_S3_PS4_PS7_PS2_, .Lfunc_end34-_ZN9rocsparseL33bsr2csr_block_per_row_8_32_kernelILj1024ELj16EiilEEv20rocsparse_direction_T3_S2_21rocsparse_index_base_PKT1_PKT2_PKS2_S2_S3_PS4_PS7_PS2_
                                        ; -- End function
	.set _ZN9rocsparseL33bsr2csr_block_per_row_8_32_kernelILj1024ELj16EiilEEv20rocsparse_direction_T3_S2_21rocsparse_index_base_PKT1_PKT2_PKS2_S2_S3_PS4_PS7_PS2_.num_vgpr, 16
	.set _ZN9rocsparseL33bsr2csr_block_per_row_8_32_kernelILj1024ELj16EiilEEv20rocsparse_direction_T3_S2_21rocsparse_index_base_PKT1_PKT2_PKS2_S2_S3_PS4_PS7_PS2_.num_agpr, 0
	.set _ZN9rocsparseL33bsr2csr_block_per_row_8_32_kernelILj1024ELj16EiilEEv20rocsparse_direction_T3_S2_21rocsparse_index_base_PKT1_PKT2_PKS2_S2_S3_PS4_PS7_PS2_.numbered_sgpr, 20
	.set _ZN9rocsparseL33bsr2csr_block_per_row_8_32_kernelILj1024ELj16EiilEEv20rocsparse_direction_T3_S2_21rocsparse_index_base_PKT1_PKT2_PKS2_S2_S3_PS4_PS7_PS2_.num_named_barrier, 0
	.set _ZN9rocsparseL33bsr2csr_block_per_row_8_32_kernelILj1024ELj16EiilEEv20rocsparse_direction_T3_S2_21rocsparse_index_base_PKT1_PKT2_PKS2_S2_S3_PS4_PS7_PS2_.private_seg_size, 0
	.set _ZN9rocsparseL33bsr2csr_block_per_row_8_32_kernelILj1024ELj16EiilEEv20rocsparse_direction_T3_S2_21rocsparse_index_base_PKT1_PKT2_PKS2_S2_S3_PS4_PS7_PS2_.uses_vcc, 1
	.set _ZN9rocsparseL33bsr2csr_block_per_row_8_32_kernelILj1024ELj16EiilEEv20rocsparse_direction_T3_S2_21rocsparse_index_base_PKT1_PKT2_PKS2_S2_S3_PS4_PS7_PS2_.uses_flat_scratch, 0
	.set _ZN9rocsparseL33bsr2csr_block_per_row_8_32_kernelILj1024ELj16EiilEEv20rocsparse_direction_T3_S2_21rocsparse_index_base_PKT1_PKT2_PKS2_S2_S3_PS4_PS7_PS2_.has_dyn_sized_stack, 0
	.set _ZN9rocsparseL33bsr2csr_block_per_row_8_32_kernelILj1024ELj16EiilEEv20rocsparse_direction_T3_S2_21rocsparse_index_base_PKT1_PKT2_PKS2_S2_S3_PS4_PS7_PS2_.has_recursion, 0
	.set _ZN9rocsparseL33bsr2csr_block_per_row_8_32_kernelILj1024ELj16EiilEEv20rocsparse_direction_T3_S2_21rocsparse_index_base_PKT1_PKT2_PKS2_S2_S3_PS4_PS7_PS2_.has_indirect_call, 0
	.section	.AMDGPU.csdata,"",@progbits
; Kernel info:
; codeLenInByte = 792
; TotalNumSgprs: 22
; NumVgprs: 16
; ScratchSize: 0
; MemoryBound: 0
; FloatMode: 240
; IeeeMode: 1
; LDSByteSize: 0 bytes/workgroup (compile time only)
; SGPRBlocks: 0
; VGPRBlocks: 1
; NumSGPRsForWavesPerEU: 22
; NumVGPRsForWavesPerEU: 16
; Occupancy: 16
; WaveLimiterHint : 0
; COMPUTE_PGM_RSRC2:SCRATCH_EN: 0
; COMPUTE_PGM_RSRC2:USER_SGPR: 6
; COMPUTE_PGM_RSRC2:TRAP_HANDLER: 0
; COMPUTE_PGM_RSRC2:TGID_X_EN: 1
; COMPUTE_PGM_RSRC2:TGID_Y_EN: 0
; COMPUTE_PGM_RSRC2:TGID_Z_EN: 0
; COMPUTE_PGM_RSRC2:TIDIG_COMP_CNT: 0
	.section	.text._ZN9rocsparseL33bsr2csr_block_per_row_8_32_kernelILj1024ELj32EiilEEv20rocsparse_direction_T3_S2_21rocsparse_index_base_PKT1_PKT2_PKS2_S2_S3_PS4_PS7_PS2_,"axG",@progbits,_ZN9rocsparseL33bsr2csr_block_per_row_8_32_kernelILj1024ELj32EiilEEv20rocsparse_direction_T3_S2_21rocsparse_index_base_PKT1_PKT2_PKS2_S2_S3_PS4_PS7_PS2_,comdat
	.globl	_ZN9rocsparseL33bsr2csr_block_per_row_8_32_kernelILj1024ELj32EiilEEv20rocsparse_direction_T3_S2_21rocsparse_index_base_PKT1_PKT2_PKS2_S2_S3_PS4_PS7_PS2_ ; -- Begin function _ZN9rocsparseL33bsr2csr_block_per_row_8_32_kernelILj1024ELj32EiilEEv20rocsparse_direction_T3_S2_21rocsparse_index_base_PKT1_PKT2_PKS2_S2_S3_PS4_PS7_PS2_
	.p2align	8
	.type	_ZN9rocsparseL33bsr2csr_block_per_row_8_32_kernelILj1024ELj32EiilEEv20rocsparse_direction_T3_S2_21rocsparse_index_base_PKT1_PKT2_PKS2_S2_S3_PS4_PS7_PS2_,@function
_ZN9rocsparseL33bsr2csr_block_per_row_8_32_kernelILj1024ELj32EiilEEv20rocsparse_direction_T3_S2_21rocsparse_index_base_PKT1_PKT2_PKS2_S2_S3_PS4_PS7_PS2_: ; @_ZN9rocsparseL33bsr2csr_block_per_row_8_32_kernelILj1024ELj32EiilEEv20rocsparse_direction_T3_S2_21rocsparse_index_base_PKT1_PKT2_PKS2_S2_S3_PS4_PS7_PS2_
; %bb.0:
	s_clause 0x2
	s_load_dwordx2 s[2:3], s[4:5], 0x28
	s_load_dword s1, s[4:5], 0x40
	s_load_dwordx2 s[10:11], s[4:5], 0x50
	s_mov_b32 s7, 0
	v_or_b32_e32 v1, s6, v0
	s_lshl_b64 s[8:9], s[6:7], 2
	s_mov_b32 s0, exec_lo
	s_waitcnt lgkmcnt(0)
	s_add_u32 s8, s2, s8
	s_addc_u32 s9, s3, s9
	v_cmpx_eq_u32_e32 0, v1
	s_cbranch_execz .LBB35_2
; %bb.1:
	v_mov_b32_e32 v1, 0
	v_mov_b32_e32 v2, s1
	global_store_dword v1, v2, s[10:11]
.LBB35_2:
	s_or_b32 exec_lo, exec_lo, s0
	s_load_dwordx2 s[2:3], s[4:5], 0x38
	v_mov_b32_e32 v1, 0
	v_lshrrev_b32_e32 v2, 5, v0
	v_and_b32_e32 v0, 31, v0
	v_mov_b32_e32 v3, v1
	s_waitcnt lgkmcnt(0)
	v_cmp_gt_i64_e32 vcc_lo, s[2:3], v[2:3]
	v_cmp_gt_i64_e64 s0, s[2:3], v[0:1]
	s_and_b32 s0, vcc_lo, s0
	s_and_saveexec_b32 s7, s0
	s_cbranch_execz .LBB35_6
; %bb.3:
	s_load_dwordx2 s[14:15], s[8:9], 0x0
	s_load_dword s12, s[4:5], 0x18
	s_mul_i32 s7, s3, s6
	s_mul_hi_u32 s17, s2, s6
	s_mul_i32 s8, s2, s2
	s_mul_i32 s6, s2, s6
	s_add_i32 s7, s17, s7
	s_lshl_b64 s[6:7], s[6:7], 2
	s_waitcnt lgkmcnt(0)
	s_sub_i32 s0, s14, s12
	s_sub_i32 s13, s15, s12
	s_mul_i32 s17, s8, s0
	s_sub_i32 s9, s13, s0
	s_mul_i32 s16, s2, s9
	v_mul_lo_u32 v1, s16, v2
	s_add_i32 s16, s1, s16
	s_add_u32 s6, s10, s6
	s_addc_u32 s7, s11, s7
	s_cmp_ge_i32 s14, s15
	v_add3_u32 v3, s16, s17, v1
	v_lshlrev_b32_e32 v1, 2, v2
	global_store_dword v1, v3, s[6:7] offset:4
	s_cbranch_scc1 .LBB35_6
; %bb.4:
	v_mad_u64_u32 v[3:4], null, s2, v0, 0
	v_mad_u64_u32 v[5:6], null, s2, v2, 0
	s_clause 0x3
	s_load_dwordx2 s[10:11], s[4:5], 0x30
	s_load_dwordx2 s[6:7], s[4:5], 0x48
	s_load_dword s16, s[4:5], 0x0
	s_load_dwordx2 s[14:15], s[4:5], 0x20
	s_mul_i32 s17, s2, s3
	s_mul_hi_u32 s18, s2, s2
	s_load_dwordx2 s[4:5], s[4:5], 0x58
	s_add_i32 s18, s18, s17
	v_mad_u64_u32 v[7:8], null, s3, v0, v[4:5]
	v_mad_u64_u32 v[8:9], null, s3, v2, v[6:7]
	v_mov_b32_e32 v4, v7
	v_mul_lo_u32 v2, v2, s9
	v_lshlrev_b32_e32 v7, 2, v0
	s_add_i32 s9, s18, s17
	s_waitcnt lgkmcnt(0)
	s_cmp_eq_u32 s16, 0
	v_lshlrev_b64 v[3:4], 2, v[3:4]
	v_mov_b32_e32 v6, v8
	v_add_co_u32 v3, vcc_lo, s14, v3
	v_lshlrev_b64 v[5:6], 2, v[5:6]
	v_add_co_ci_u32_e64 v4, null, s15, v4, vcc_lo
	v_add_co_u32 v5, vcc_lo, s14, v5
	v_add_co_ci_u32_e64 v6, null, s15, v6, vcc_lo
	v_add_co_u32 v8, vcc_lo, v3, v1
	;; [unrolled: 2-line block ×3, first 2 shown]
	v_add_co_u32 v1, s1, v0, s1
	v_mad_u64_u32 v[4:5], null, s2, s0, v[2:3]
	v_add_co_ci_u32_e64 v6, null, 0, v6, vcc_lo
	v_add_co_ci_u32_e64 v2, null, 0, 0, s1
	s_cselect_b32 vcc_lo, -1, 0
	s_ashr_i32 s1, s0, 31
	v_mad_u64_u32 v[4:5], null, s2, v4, v[0:1]
	s_lshl_b64 s[14:15], s[0:1], 3
	s_mul_i32 s1, s8, s1
	s_add_u32 s10, s10, s14
	s_mul_hi_u32 s14, s8, s0
	s_addc_u32 s11, s11, s15
	s_add_i32 s1, s14, s1
	s_mul_i32 s14, s9, s0
	v_cndmask_b32_e32 v0, v8, v7, vcc_lo
	s_add_i32 s15, s1, s14
	s_mul_i32 s14, s8, s0
	v_cndmask_b32_e32 v6, v9, v6, vcc_lo
	s_lshl_b64 s[14:15], s[14:15], 2
	v_mov_b32_e32 v3, 0
	v_add_co_u32 v5, vcc_lo, v0, s14
	v_add_co_ci_u32_e64 v6, null, s15, v6, vcc_lo
	s_mov_b32 s1, s2
	s_lshl_b64 s[8:9], s[8:9], 2
	s_inst_prefetch 0x1
	.p2align	6
.LBB35_5:                               ; =>This Inner Loop Header: Depth=1
	global_load_dword v0, v[5:6], off
	s_load_dwordx2 s[14:15], s[10:11], 0x0
	v_ashrrev_i64 v[7:8], 29, v[3:4]
	v_ashrrev_i64 v[9:10], 30, v[3:4]
	v_add_co_u32 v3, vcc_lo, v3, 0
	v_add_co_ci_u32_e64 v4, null, s1, v4, vcc_lo
	v_add_co_u32 v5, vcc_lo, v5, s8
	v_add_co_ci_u32_e64 v6, null, s9, v6, vcc_lo
	;; [unrolled: 2-line block ×4, first 2 shown]
	s_waitcnt lgkmcnt(0)
	s_sub_u32 s14, s14, s12
	s_subb_u32 s15, s15, 0
	v_mad_u64_u32 v[11:12], null, s14, s2, v[1:2]
	s_mul_i32 s14, s14, s3
	s_mul_i32 s15, s15, s2
	s_add_i32 s0, s0, 1
	s_add_u32 s10, s10, 8
	s_addc_u32 s11, s11, 0
	s_cmp_lt_i32 s0, s13
	v_add3_u32 v12, s14, s15, v12
	global_store_dwordx2 v[7:8], v[11:12], off
	s_waitcnt vmcnt(0)
	global_store_dword v[9:10], v0, off
	s_cbranch_scc1 .LBB35_5
.LBB35_6:
	s_inst_prefetch 0x2
	s_endpgm
	.section	.rodata,"a",@progbits
	.p2align	6, 0x0
	.amdhsa_kernel _ZN9rocsparseL33bsr2csr_block_per_row_8_32_kernelILj1024ELj32EiilEEv20rocsparse_direction_T3_S2_21rocsparse_index_base_PKT1_PKT2_PKS2_S2_S3_PS4_PS7_PS2_
		.amdhsa_group_segment_fixed_size 0
		.amdhsa_private_segment_fixed_size 0
		.amdhsa_kernarg_size 96
		.amdhsa_user_sgpr_count 6
		.amdhsa_user_sgpr_private_segment_buffer 1
		.amdhsa_user_sgpr_dispatch_ptr 0
		.amdhsa_user_sgpr_queue_ptr 0
		.amdhsa_user_sgpr_kernarg_segment_ptr 1
		.amdhsa_user_sgpr_dispatch_id 0
		.amdhsa_user_sgpr_flat_scratch_init 0
		.amdhsa_user_sgpr_private_segment_size 0
		.amdhsa_wavefront_size32 1
		.amdhsa_uses_dynamic_stack 0
		.amdhsa_system_sgpr_private_segment_wavefront_offset 0
		.amdhsa_system_sgpr_workgroup_id_x 1
		.amdhsa_system_sgpr_workgroup_id_y 0
		.amdhsa_system_sgpr_workgroup_id_z 0
		.amdhsa_system_sgpr_workgroup_info 0
		.amdhsa_system_vgpr_workitem_id 0
		.amdhsa_next_free_vgpr 13
		.amdhsa_next_free_sgpr 19
		.amdhsa_reserve_vcc 1
		.amdhsa_reserve_flat_scratch 0
		.amdhsa_float_round_mode_32 0
		.amdhsa_float_round_mode_16_64 0
		.amdhsa_float_denorm_mode_32 3
		.amdhsa_float_denorm_mode_16_64 3
		.amdhsa_dx10_clamp 1
		.amdhsa_ieee_mode 1
		.amdhsa_fp16_overflow 0
		.amdhsa_workgroup_processor_mode 1
		.amdhsa_memory_ordered 1
		.amdhsa_forward_progress 1
		.amdhsa_shared_vgpr_count 0
		.amdhsa_exception_fp_ieee_invalid_op 0
		.amdhsa_exception_fp_denorm_src 0
		.amdhsa_exception_fp_ieee_div_zero 0
		.amdhsa_exception_fp_ieee_overflow 0
		.amdhsa_exception_fp_ieee_underflow 0
		.amdhsa_exception_fp_ieee_inexact 0
		.amdhsa_exception_int_div_zero 0
	.end_amdhsa_kernel
	.section	.text._ZN9rocsparseL33bsr2csr_block_per_row_8_32_kernelILj1024ELj32EiilEEv20rocsparse_direction_T3_S2_21rocsparse_index_base_PKT1_PKT2_PKS2_S2_S3_PS4_PS7_PS2_,"axG",@progbits,_ZN9rocsparseL33bsr2csr_block_per_row_8_32_kernelILj1024ELj32EiilEEv20rocsparse_direction_T3_S2_21rocsparse_index_base_PKT1_PKT2_PKS2_S2_S3_PS4_PS7_PS2_,comdat
.Lfunc_end35:
	.size	_ZN9rocsparseL33bsr2csr_block_per_row_8_32_kernelILj1024ELj32EiilEEv20rocsparse_direction_T3_S2_21rocsparse_index_base_PKT1_PKT2_PKS2_S2_S3_PS4_PS7_PS2_, .Lfunc_end35-_ZN9rocsparseL33bsr2csr_block_per_row_8_32_kernelILj1024ELj32EiilEEv20rocsparse_direction_T3_S2_21rocsparse_index_base_PKT1_PKT2_PKS2_S2_S3_PS4_PS7_PS2_
                                        ; -- End function
	.set _ZN9rocsparseL33bsr2csr_block_per_row_8_32_kernelILj1024ELj32EiilEEv20rocsparse_direction_T3_S2_21rocsparse_index_base_PKT1_PKT2_PKS2_S2_S3_PS4_PS7_PS2_.num_vgpr, 13
	.set _ZN9rocsparseL33bsr2csr_block_per_row_8_32_kernelILj1024ELj32EiilEEv20rocsparse_direction_T3_S2_21rocsparse_index_base_PKT1_PKT2_PKS2_S2_S3_PS4_PS7_PS2_.num_agpr, 0
	.set _ZN9rocsparseL33bsr2csr_block_per_row_8_32_kernelILj1024ELj32EiilEEv20rocsparse_direction_T3_S2_21rocsparse_index_base_PKT1_PKT2_PKS2_S2_S3_PS4_PS7_PS2_.numbered_sgpr, 19
	.set _ZN9rocsparseL33bsr2csr_block_per_row_8_32_kernelILj1024ELj32EiilEEv20rocsparse_direction_T3_S2_21rocsparse_index_base_PKT1_PKT2_PKS2_S2_S3_PS4_PS7_PS2_.num_named_barrier, 0
	.set _ZN9rocsparseL33bsr2csr_block_per_row_8_32_kernelILj1024ELj32EiilEEv20rocsparse_direction_T3_S2_21rocsparse_index_base_PKT1_PKT2_PKS2_S2_S3_PS4_PS7_PS2_.private_seg_size, 0
	.set _ZN9rocsparseL33bsr2csr_block_per_row_8_32_kernelILj1024ELj32EiilEEv20rocsparse_direction_T3_S2_21rocsparse_index_base_PKT1_PKT2_PKS2_S2_S3_PS4_PS7_PS2_.uses_vcc, 1
	.set _ZN9rocsparseL33bsr2csr_block_per_row_8_32_kernelILj1024ELj32EiilEEv20rocsparse_direction_T3_S2_21rocsparse_index_base_PKT1_PKT2_PKS2_S2_S3_PS4_PS7_PS2_.uses_flat_scratch, 0
	.set _ZN9rocsparseL33bsr2csr_block_per_row_8_32_kernelILj1024ELj32EiilEEv20rocsparse_direction_T3_S2_21rocsparse_index_base_PKT1_PKT2_PKS2_S2_S3_PS4_PS7_PS2_.has_dyn_sized_stack, 0
	.set _ZN9rocsparseL33bsr2csr_block_per_row_8_32_kernelILj1024ELj32EiilEEv20rocsparse_direction_T3_S2_21rocsparse_index_base_PKT1_PKT2_PKS2_S2_S3_PS4_PS7_PS2_.has_recursion, 0
	.set _ZN9rocsparseL33bsr2csr_block_per_row_8_32_kernelILj1024ELj32EiilEEv20rocsparse_direction_T3_S2_21rocsparse_index_base_PKT1_PKT2_PKS2_S2_S3_PS4_PS7_PS2_.has_indirect_call, 0
	.section	.AMDGPU.csdata,"",@progbits
; Kernel info:
; codeLenInByte = 756
; TotalNumSgprs: 21
; NumVgprs: 13
; ScratchSize: 0
; MemoryBound: 0
; FloatMode: 240
; IeeeMode: 1
; LDSByteSize: 0 bytes/workgroup (compile time only)
; SGPRBlocks: 0
; VGPRBlocks: 1
; NumSGPRsForWavesPerEU: 21
; NumVGPRsForWavesPerEU: 13
; Occupancy: 16
; WaveLimiterHint : 0
; COMPUTE_PGM_RSRC2:SCRATCH_EN: 0
; COMPUTE_PGM_RSRC2:USER_SGPR: 6
; COMPUTE_PGM_RSRC2:TRAP_HANDLER: 0
; COMPUTE_PGM_RSRC2:TGID_X_EN: 1
; COMPUTE_PGM_RSRC2:TGID_Y_EN: 0
; COMPUTE_PGM_RSRC2:TGID_Z_EN: 0
; COMPUTE_PGM_RSRC2:TIDIG_COMP_CNT: 0
	.section	.text._ZN9rocsparseL35bsr2csr_block_per_row_33_256_kernelILj1024ELj64ELj32EiilEEv20rocsparse_direction_T4_S2_21rocsparse_index_base_PKT2_PKT3_PKS2_S2_S3_PS4_PS7_PS2_,"axG",@progbits,_ZN9rocsparseL35bsr2csr_block_per_row_33_256_kernelILj1024ELj64ELj32EiilEEv20rocsparse_direction_T4_S2_21rocsparse_index_base_PKT2_PKT3_PKS2_S2_S3_PS4_PS7_PS2_,comdat
	.globl	_ZN9rocsparseL35bsr2csr_block_per_row_33_256_kernelILj1024ELj64ELj32EiilEEv20rocsparse_direction_T4_S2_21rocsparse_index_base_PKT2_PKT3_PKS2_S2_S3_PS4_PS7_PS2_ ; -- Begin function _ZN9rocsparseL35bsr2csr_block_per_row_33_256_kernelILj1024ELj64ELj32EiilEEv20rocsparse_direction_T4_S2_21rocsparse_index_base_PKT2_PKT3_PKS2_S2_S3_PS4_PS7_PS2_
	.p2align	8
	.type	_ZN9rocsparseL35bsr2csr_block_per_row_33_256_kernelILj1024ELj64ELj32EiilEEv20rocsparse_direction_T4_S2_21rocsparse_index_base_PKT2_PKT3_PKS2_S2_S3_PS4_PS7_PS2_,@function
_ZN9rocsparseL35bsr2csr_block_per_row_33_256_kernelILj1024ELj64ELj32EiilEEv20rocsparse_direction_T4_S2_21rocsparse_index_base_PKT2_PKT3_PKS2_S2_S3_PS4_PS7_PS2_: ; @_ZN9rocsparseL35bsr2csr_block_per_row_33_256_kernelILj1024ELj64ELj32EiilEEv20rocsparse_direction_T4_S2_21rocsparse_index_base_PKT2_PKT3_PKS2_S2_S3_PS4_PS7_PS2_
; %bb.0:
	s_load_dwordx2 s[0:1], s[4:5], 0x28
	s_mov_b32 s7, 0
	s_clause 0x1
	s_load_dword s16, s[4:5], 0x40
	s_load_dwordx2 s[12:13], s[4:5], 0x50
	s_lshl_b64 s[2:3], s[6:7], 2
	v_or_b32_e32 v1, s6, v0
	s_waitcnt lgkmcnt(0)
	s_add_u32 s0, s0, s2
	s_addc_u32 s1, s1, s3
	s_load_dwordx2 s[2:3], s[0:1], 0x0
	s_mov_b32 s0, exec_lo
	v_cmpx_eq_u32_e32 0, v1
	s_cbranch_execz .LBB36_2
; %bb.1:
	v_mov_b32_e32 v1, 0
	v_mov_b32_e32 v2, s16
	global_store_dword v1, v2, s[12:13]
.LBB36_2:
	s_or_b32 exec_lo, exec_lo, s0
	s_clause 0x1
	s_load_dword s17, s[4:5], 0x18
	s_load_dwordx2 s[8:9], s[4:5], 0x38
	v_mov_b32_e32 v5, 0
	v_lshrrev_b32_e32 v4, 5, v0
	v_lshlrev_b32_e32 v9, 2, v4
	s_waitcnt lgkmcnt(0)
	s_sub_i32 s10, s2, s17
	s_sub_i32 s18, s3, s17
	s_mul_i32 s7, s8, s9
	s_mul_hi_u32 s1, s8, s8
	s_mul_i32 s15, s9, s6
	s_mul_hi_u32 s19, s8, s6
	s_mul_i32 s0, s8, s6
	s_add_i32 s6, s1, s7
	s_sub_i32 s22, s18, s10
	s_add_i32 s1, s19, s15
	s_add_i32 s15, s6, s7
	s_mul_i32 s19, s8, s22
	s_lshl_b64 s[6:7], s[0:1], 2
	v_cmp_gt_i64_e64 s0, s[8:9], v[4:5]
	s_mul_i32 s14, s8, s8
	s_add_i32 s20, s16, s19
	s_add_u32 s6, s12, s6
	s_mul_i32 s11, s14, s10
	s_addc_u32 s7, s13, s7
	s_and_saveexec_b32 s1, s0
	s_cbranch_execz .LBB36_4
; %bb.3:
	v_mul_lo_u32 v1, v4, s19
	v_add3_u32 v1, s20, s11, v1
	global_store_dword v9, v1, s[6:7] offset:4
.LBB36_4:
	s_or_b32 exec_lo, exec_lo, s1
	v_or_b32_e32 v6, 32, v4
	v_mov_b32_e32 v7, v5
	v_cmp_gt_i64_e64 s1, s[8:9], v[6:7]
	s_and_saveexec_b32 s12, s1
	s_cbranch_execz .LBB36_6
; %bb.5:
	v_mul_lo_u32 v1, v6, s19
	v_add3_u32 v1, s20, s11, v1
	global_store_dword v9, v1, s[6:7] offset:132
.LBB36_6:
	s_or_b32 exec_lo, exec_lo, s12
	s_cmp_lt_i32 s2, s3
	s_cbranch_scc0 .LBB36_17
; %bb.7:
	s_clause 0x2
	s_load_dwordx2 s[12:13], s[4:5], 0x30
	s_load_dwordx2 s[6:7], s[4:5], 0x48
	s_load_dword s11, s[4:5], 0x0
	v_and_b32_e32 v0, 31, v0
	v_mov_b32_e32 v1, 0
	s_mul_hi_u32 s23, s8, s10
	s_mul_i32 s24, s8, s10
	s_mul_i32 s25, s9, s10
	v_or_b32_e32 v2, 32, v0
	v_mov_b32_e32 v3, v1
	v_cmp_gt_i64_e64 s2, s[8:9], v[0:1]
	v_mad_u64_u32 v[11:12], null, v6, s22, s[24:25]
	v_mad_u64_u32 v[13:14], null, v4, s22, s[24:25]
	v_cmp_gt_i64_e64 s3, s[8:9], v[2:3]
	v_lshlrev_b32_e32 v5, 2, v0
	v_mov_b32_e32 v10, v1
	v_mov_b32_e32 v6, v1
	v_mul_lo_u32 v11, s8, v11
	v_mul_lo_u32 v13, s8, v13
	s_waitcnt lgkmcnt(0)
	s_cmp_eq_u32 s11, 0
	s_cselect_b32 vcc_lo, -1, 0
	s_ashr_i32 s11, s10, 31
	s_and_b32 s19, s0, s2
	s_and_b32 s20, s0, s3
	;; [unrolled: 1-line block ×4, first 2 shown]
	s_lshl_b64 s[2:3], s[10:11], 3
	s_mul_i32 s0, s8, s11
	s_add_u32 s2, s12, s2
	s_addc_u32 s3, s13, s3
	s_add_i32 s0, s23, s0
	s_load_dwordx2 s[12:13], s[4:5], 0x20
	s_add_i32 s25, s0, s25
	s_load_dwordx2 s[4:5], s[4:5], 0x58
	s_lshl_b64 s[22:23], s[24:25], 2
	s_mov_b32 s11, s8
	v_add_co_u32 v7, s0, s22, v9
	v_add_co_ci_u32_e64 v8, null, s23, 0, s0
	s_lshl_b64 s[14:15], s[14:15], 2
	v_add_co_u32 v3, s0, 0x80, v7
	v_add_co_ci_u32_e64 v4, null, 0, v8, s0
	v_add_co_u32 v12, s0, s22, v5
	v_add_co_ci_u32_e64 v16, null, s23, 0, s0
	v_mul_lo_u32 v14, s8, v4
	v_add_co_u32 v17, s0, 0x80, v12
	v_add_co_ci_u32_e64 v18, null, 0, v16, s0
	v_mul_lo_u32 v15, s9, v3
	v_mad_u64_u32 v[3:4], null, s8, v3, v[5:6]
	v_mul_lo_u32 v19, s8, v8
	v_mul_lo_u32 v20, s9, v7
	v_mad_u64_u32 v[5:6], null, s8, v7, v[5:6]
	v_mul_lo_u32 v18, s8, v18
	;; [unrolled: 3-line block ×3, first 2 shown]
	v_mul_lo_u32 v17, s9, v12
	v_mad_u64_u32 v[9:10], null, s8, v12, v[9:10]
	v_mov_b32_e32 v12, v0
	v_add3_u32 v4, v15, v4, v14
	v_add3_u32 v6, v20, v6, v19
	;; [unrolled: 1-line block ×4, first 2 shown]
	s_branch .LBB36_9
.LBB36_8:                               ;   in Loop: Header=BB36_9 Depth=1
	s_or_b32 exec_lo, exec_lo, s24
	s_add_i32 s10, s10, 1
	v_add_co_u32 v1, s0, v1, 0
	s_add_u32 s2, s2, 8
	v_add_co_ci_u32_e64 v12, null, s11, v12, s0
	s_addc_u32 s3, s3, 0
	s_add_u32 s12, s12, s14
	s_addc_u32 s13, s13, s15
	s_cmp_ge_i32 s10, s18
	s_cbranch_scc1 .LBB36_17
.LBB36_9:                               ; =>This Inner Loop Header: Depth=1
	s_load_dwordx2 s[22:23], s[2:3], 0x0
	s_waitcnt lgkmcnt(0)
	s_sub_u32 s0, s22, s17
	s_subb_u32 s23, s23, 0
	s_mul_i32 s22, s0, s9
	s_mul_hi_u32 s24, s0, s8
	s_mul_i32 s23, s23, s8
	s_add_i32 s22, s24, s22
	s_mul_i32 s0, s0, s8
	s_add_i32 s23, s22, s23
	s_add_u32 s22, s0, s16
	s_addc_u32 s23, s23, 0
	s_and_saveexec_b32 s24, s19
	s_cbranch_execnz .LBB36_13
; %bb.10:                               ;   in Loop: Header=BB36_9 Depth=1
	s_or_b32 exec_lo, exec_lo, s24
	s_and_saveexec_b32 s24, s20
	s_cbranch_execnz .LBB36_14
.LBB36_11:                              ;   in Loop: Header=BB36_9 Depth=1
	s_or_b32 exec_lo, exec_lo, s24
	s_and_saveexec_b32 s24, s21
	s_cbranch_execnz .LBB36_15
.LBB36_12:                              ;   in Loop: Header=BB36_9 Depth=1
	s_or_b32 exec_lo, exec_lo, s24
	s_and_saveexec_b32 s24, s1
	s_cbranch_execz .LBB36_8
	s_branch .LBB36_16
.LBB36_13:                              ;   in Loop: Header=BB36_9 Depth=1
	v_add_co_u32 v14, s0, s12, v5
	v_add_co_ci_u32_e64 v15, null, s13, v6, s0
	v_add_co_u32 v16, s0, s12, v9
	v_add_co_ci_u32_e64 v17, null, s13, v10, s0
	v_cndmask_b32_e32 v14, v16, v14, vcc_lo
	v_cndmask_b32_e32 v15, v17, v15, vcc_lo
	global_load_dword v20, v[14:15], off
	v_add_co_u32 v14, s0, 0, v1
	v_add_co_ci_u32_e64 v15, null, v13, v12, s0
	v_add_co_u32 v18, s0, s22, v0
	v_add_co_ci_u32_e64 v19, null, s23, 0, s0
	v_ashrrev_i64 v[16:17], 29, v[14:15]
	v_ashrrev_i64 v[14:15], 30, v[14:15]
	v_add_co_u32 v16, s0, s4, v16
	v_add_co_ci_u32_e64 v17, null, s5, v17, s0
	v_add_co_u32 v14, s0, s6, v14
	v_add_co_ci_u32_e64 v15, null, s7, v15, s0
	global_store_dwordx2 v[16:17], v[18:19], off
	s_waitcnt vmcnt(0)
	global_store_dword v[14:15], v20, off
	s_or_b32 exec_lo, exec_lo, s24
	s_and_saveexec_b32 s24, s20
	s_cbranch_execz .LBB36_11
.LBB36_14:                              ;   in Loop: Header=BB36_9 Depth=1
	v_add_co_u32 v14, s0, s12, v5
	v_add_co_ci_u32_e64 v15, null, s13, v6, s0
	v_add_co_u32 v14, s0, 0x80, v14
	v_add_co_ci_u32_e64 v15, null, 0, v15, s0
	;; [unrolled: 2-line block ×3, first 2 shown]
	v_cndmask_b32_e32 v14, v16, v14, vcc_lo
	v_cndmask_b32_e32 v15, v17, v15, vcc_lo
	global_load_dword v20, v[14:15], off
	v_add_co_u32 v14, s0, 0, v1
	v_add_co_ci_u32_e64 v15, null, v13, v12, s0
	v_add_co_u32 v18, s0, s22, v2
	v_add_co_ci_u32_e64 v19, null, s23, 0, s0
	v_add_nc_u32_e32 v15, 32, v15
	v_ashrrev_i64 v[16:17], 29, v[14:15]
	v_ashrrev_i64 v[14:15], 30, v[14:15]
	v_add_co_u32 v16, s0, s4, v16
	v_add_co_ci_u32_e64 v17, null, s5, v17, s0
	v_add_co_u32 v14, s0, s6, v14
	v_add_co_ci_u32_e64 v15, null, s7, v15, s0
	global_store_dwordx2 v[16:17], v[18:19], off
	s_waitcnt vmcnt(0)
	global_store_dword v[14:15], v20, off
	s_or_b32 exec_lo, exec_lo, s24
	s_and_saveexec_b32 s24, s21
	s_cbranch_execz .LBB36_12
.LBB36_15:                              ;   in Loop: Header=BB36_9 Depth=1
	v_add_co_u32 v14, s0, s12, v9
	v_add_co_ci_u32_e64 v15, null, s13, v10, s0
	v_add_co_u32 v16, s0, s12, v3
	v_add_co_ci_u32_e64 v17, null, s13, v4, s0
	;; [unrolled: 2-line block ×3, first 2 shown]
	v_cndmask_b32_e32 v14, v14, v16, vcc_lo
	v_cndmask_b32_e32 v15, v15, v17, vcc_lo
	global_load_dword v20, v[14:15], off
	v_add_co_u32 v14, s0, 0, v1
	v_add_co_ci_u32_e64 v15, null, v11, v12, s0
	v_add_co_u32 v18, s0, s22, v0
	v_add_co_ci_u32_e64 v19, null, s23, 0, s0
	v_ashrrev_i64 v[16:17], 29, v[14:15]
	v_ashrrev_i64 v[14:15], 30, v[14:15]
	v_add_co_u32 v16, s0, s4, v16
	v_add_co_ci_u32_e64 v17, null, s5, v17, s0
	v_add_co_u32 v14, s0, s6, v14
	v_add_co_ci_u32_e64 v15, null, s7, v15, s0
	global_store_dwordx2 v[16:17], v[18:19], off
	s_waitcnt vmcnt(0)
	global_store_dword v[14:15], v20, off
	s_or_b32 exec_lo, exec_lo, s24
	s_and_saveexec_b32 s24, s1
	s_cbranch_execz .LBB36_8
.LBB36_16:                              ;   in Loop: Header=BB36_9 Depth=1
	v_add_co_u32 v14, s0, s12, v3
	v_add_co_ci_u32_e64 v15, null, s13, v4, s0
	v_add_co_u32 v16, s0, s12, v7
	v_add_co_ci_u32_e64 v17, null, s13, v8, s0
	v_cndmask_b32_e32 v14, v16, v14, vcc_lo
	v_cndmask_b32_e32 v15, v17, v15, vcc_lo
	global_load_dword v20, v[14:15], off offset:128
	v_add_co_u32 v14, s0, 0, v1
	v_add_co_ci_u32_e64 v15, null, v11, v12, s0
	v_add_co_u32 v18, s0, s22, v2
	v_add_co_ci_u32_e64 v19, null, s23, 0, s0
	v_add_nc_u32_e32 v15, 32, v15
	v_ashrrev_i64 v[16:17], 29, v[14:15]
	v_ashrrev_i64 v[14:15], 30, v[14:15]
	v_add_co_u32 v16, s0, s4, v16
	v_add_co_ci_u32_e64 v17, null, s5, v17, s0
	v_add_co_u32 v14, s0, s6, v14
	v_add_co_ci_u32_e64 v15, null, s7, v15, s0
	global_store_dwordx2 v[16:17], v[18:19], off
	s_waitcnt vmcnt(0)
	global_store_dword v[14:15], v20, off
	s_branch .LBB36_8
.LBB36_17:
	s_endpgm
	.section	.rodata,"a",@progbits
	.p2align	6, 0x0
	.amdhsa_kernel _ZN9rocsparseL35bsr2csr_block_per_row_33_256_kernelILj1024ELj64ELj32EiilEEv20rocsparse_direction_T4_S2_21rocsparse_index_base_PKT2_PKT3_PKS2_S2_S3_PS4_PS7_PS2_
		.amdhsa_group_segment_fixed_size 0
		.amdhsa_private_segment_fixed_size 0
		.amdhsa_kernarg_size 96
		.amdhsa_user_sgpr_count 6
		.amdhsa_user_sgpr_private_segment_buffer 1
		.amdhsa_user_sgpr_dispatch_ptr 0
		.amdhsa_user_sgpr_queue_ptr 0
		.amdhsa_user_sgpr_kernarg_segment_ptr 1
		.amdhsa_user_sgpr_dispatch_id 0
		.amdhsa_user_sgpr_flat_scratch_init 0
		.amdhsa_user_sgpr_private_segment_size 0
		.amdhsa_wavefront_size32 1
		.amdhsa_uses_dynamic_stack 0
		.amdhsa_system_sgpr_private_segment_wavefront_offset 0
		.amdhsa_system_sgpr_workgroup_id_x 1
		.amdhsa_system_sgpr_workgroup_id_y 0
		.amdhsa_system_sgpr_workgroup_id_z 0
		.amdhsa_system_sgpr_workgroup_info 0
		.amdhsa_system_vgpr_workitem_id 0
		.amdhsa_next_free_vgpr 22
		.amdhsa_next_free_sgpr 26
		.amdhsa_reserve_vcc 1
		.amdhsa_reserve_flat_scratch 0
		.amdhsa_float_round_mode_32 0
		.amdhsa_float_round_mode_16_64 0
		.amdhsa_float_denorm_mode_32 3
		.amdhsa_float_denorm_mode_16_64 3
		.amdhsa_dx10_clamp 1
		.amdhsa_ieee_mode 1
		.amdhsa_fp16_overflow 0
		.amdhsa_workgroup_processor_mode 1
		.amdhsa_memory_ordered 1
		.amdhsa_forward_progress 1
		.amdhsa_shared_vgpr_count 0
		.amdhsa_exception_fp_ieee_invalid_op 0
		.amdhsa_exception_fp_denorm_src 0
		.amdhsa_exception_fp_ieee_div_zero 0
		.amdhsa_exception_fp_ieee_overflow 0
		.amdhsa_exception_fp_ieee_underflow 0
		.amdhsa_exception_fp_ieee_inexact 0
		.amdhsa_exception_int_div_zero 0
	.end_amdhsa_kernel
	.section	.text._ZN9rocsparseL35bsr2csr_block_per_row_33_256_kernelILj1024ELj64ELj32EiilEEv20rocsparse_direction_T4_S2_21rocsparse_index_base_PKT2_PKT3_PKS2_S2_S3_PS4_PS7_PS2_,"axG",@progbits,_ZN9rocsparseL35bsr2csr_block_per_row_33_256_kernelILj1024ELj64ELj32EiilEEv20rocsparse_direction_T4_S2_21rocsparse_index_base_PKT2_PKT3_PKS2_S2_S3_PS4_PS7_PS2_,comdat
.Lfunc_end36:
	.size	_ZN9rocsparseL35bsr2csr_block_per_row_33_256_kernelILj1024ELj64ELj32EiilEEv20rocsparse_direction_T4_S2_21rocsparse_index_base_PKT2_PKT3_PKS2_S2_S3_PS4_PS7_PS2_, .Lfunc_end36-_ZN9rocsparseL35bsr2csr_block_per_row_33_256_kernelILj1024ELj64ELj32EiilEEv20rocsparse_direction_T4_S2_21rocsparse_index_base_PKT2_PKT3_PKS2_S2_S3_PS4_PS7_PS2_
                                        ; -- End function
	.set _ZN9rocsparseL35bsr2csr_block_per_row_33_256_kernelILj1024ELj64ELj32EiilEEv20rocsparse_direction_T4_S2_21rocsparse_index_base_PKT2_PKT3_PKS2_S2_S3_PS4_PS7_PS2_.num_vgpr, 22
	.set _ZN9rocsparseL35bsr2csr_block_per_row_33_256_kernelILj1024ELj64ELj32EiilEEv20rocsparse_direction_T4_S2_21rocsparse_index_base_PKT2_PKT3_PKS2_S2_S3_PS4_PS7_PS2_.num_agpr, 0
	.set _ZN9rocsparseL35bsr2csr_block_per_row_33_256_kernelILj1024ELj64ELj32EiilEEv20rocsparse_direction_T4_S2_21rocsparse_index_base_PKT2_PKT3_PKS2_S2_S3_PS4_PS7_PS2_.numbered_sgpr, 26
	.set _ZN9rocsparseL35bsr2csr_block_per_row_33_256_kernelILj1024ELj64ELj32EiilEEv20rocsparse_direction_T4_S2_21rocsparse_index_base_PKT2_PKT3_PKS2_S2_S3_PS4_PS7_PS2_.num_named_barrier, 0
	.set _ZN9rocsparseL35bsr2csr_block_per_row_33_256_kernelILj1024ELj64ELj32EiilEEv20rocsparse_direction_T4_S2_21rocsparse_index_base_PKT2_PKT3_PKS2_S2_S3_PS4_PS7_PS2_.private_seg_size, 0
	.set _ZN9rocsparseL35bsr2csr_block_per_row_33_256_kernelILj1024ELj64ELj32EiilEEv20rocsparse_direction_T4_S2_21rocsparse_index_base_PKT2_PKT3_PKS2_S2_S3_PS4_PS7_PS2_.uses_vcc, 1
	.set _ZN9rocsparseL35bsr2csr_block_per_row_33_256_kernelILj1024ELj64ELj32EiilEEv20rocsparse_direction_T4_S2_21rocsparse_index_base_PKT2_PKT3_PKS2_S2_S3_PS4_PS7_PS2_.uses_flat_scratch, 0
	.set _ZN9rocsparseL35bsr2csr_block_per_row_33_256_kernelILj1024ELj64ELj32EiilEEv20rocsparse_direction_T4_S2_21rocsparse_index_base_PKT2_PKT3_PKS2_S2_S3_PS4_PS7_PS2_.has_dyn_sized_stack, 0
	.set _ZN9rocsparseL35bsr2csr_block_per_row_33_256_kernelILj1024ELj64ELj32EiilEEv20rocsparse_direction_T4_S2_21rocsparse_index_base_PKT2_PKT3_PKS2_S2_S3_PS4_PS7_PS2_.has_recursion, 0
	.set _ZN9rocsparseL35bsr2csr_block_per_row_33_256_kernelILj1024ELj64ELj32EiilEEv20rocsparse_direction_T4_S2_21rocsparse_index_base_PKT2_PKT3_PKS2_S2_S3_PS4_PS7_PS2_.has_indirect_call, 0
	.section	.AMDGPU.csdata,"",@progbits
; Kernel info:
; codeLenInByte = 1544
; TotalNumSgprs: 28
; NumVgprs: 22
; ScratchSize: 0
; MemoryBound: 0
; FloatMode: 240
; IeeeMode: 1
; LDSByteSize: 0 bytes/workgroup (compile time only)
; SGPRBlocks: 0
; VGPRBlocks: 2
; NumSGPRsForWavesPerEU: 28
; NumVGPRsForWavesPerEU: 22
; Occupancy: 16
; WaveLimiterHint : 1
; COMPUTE_PGM_RSRC2:SCRATCH_EN: 0
; COMPUTE_PGM_RSRC2:USER_SGPR: 6
; COMPUTE_PGM_RSRC2:TRAP_HANDLER: 0
; COMPUTE_PGM_RSRC2:TGID_X_EN: 1
; COMPUTE_PGM_RSRC2:TGID_Y_EN: 0
; COMPUTE_PGM_RSRC2:TGID_Z_EN: 0
; COMPUTE_PGM_RSRC2:TIDIG_COMP_CNT: 0
	.section	.text._ZN9rocsparseL35bsr2csr_block_per_row_33_256_kernelILj1024ELj128ELj32EiilEEv20rocsparse_direction_T4_S2_21rocsparse_index_base_PKT2_PKT3_PKS2_S2_S3_PS4_PS7_PS2_,"axG",@progbits,_ZN9rocsparseL35bsr2csr_block_per_row_33_256_kernelILj1024ELj128ELj32EiilEEv20rocsparse_direction_T4_S2_21rocsparse_index_base_PKT2_PKT3_PKS2_S2_S3_PS4_PS7_PS2_,comdat
	.globl	_ZN9rocsparseL35bsr2csr_block_per_row_33_256_kernelILj1024ELj128ELj32EiilEEv20rocsparse_direction_T4_S2_21rocsparse_index_base_PKT2_PKT3_PKS2_S2_S3_PS4_PS7_PS2_ ; -- Begin function _ZN9rocsparseL35bsr2csr_block_per_row_33_256_kernelILj1024ELj128ELj32EiilEEv20rocsparse_direction_T4_S2_21rocsparse_index_base_PKT2_PKT3_PKS2_S2_S3_PS4_PS7_PS2_
	.p2align	8
	.type	_ZN9rocsparseL35bsr2csr_block_per_row_33_256_kernelILj1024ELj128ELj32EiilEEv20rocsparse_direction_T4_S2_21rocsparse_index_base_PKT2_PKT3_PKS2_S2_S3_PS4_PS7_PS2_,@function
_ZN9rocsparseL35bsr2csr_block_per_row_33_256_kernelILj1024ELj128ELj32EiilEEv20rocsparse_direction_T4_S2_21rocsparse_index_base_PKT2_PKT3_PKS2_S2_S3_PS4_PS7_PS2_: ; @_ZN9rocsparseL35bsr2csr_block_per_row_33_256_kernelILj1024ELj128ELj32EiilEEv20rocsparse_direction_T4_S2_21rocsparse_index_base_PKT2_PKT3_PKS2_S2_S3_PS4_PS7_PS2_
; %bb.0:
	s_load_dwordx2 s[0:1], s[4:5], 0x28
	s_mov_b32 s7, 0
	s_clause 0x1
	s_load_dword s22, s[4:5], 0x40
	s_load_dwordx2 s[2:3], s[4:5], 0x50
	s_lshl_b64 s[8:9], s[6:7], 2
	v_or_b32_e32 v1, s6, v0
	s_waitcnt lgkmcnt(0)
	s_add_u32 s0, s0, s8
	s_addc_u32 s1, s1, s9
	s_load_dwordx2 s[8:9], s[0:1], 0x0
	s_mov_b32 s0, exec_lo
	v_cmpx_eq_u32_e32 0, v1
	s_cbranch_execz .LBB37_2
; %bb.1:
	v_mov_b32_e32 v1, 0
	v_mov_b32_e32 v2, s22
	global_store_dword v1, v2, s[2:3]
.LBB37_2:
	s_or_b32 exec_lo, exec_lo, s0
	s_clause 0x1
	s_load_dword s23, s[4:5], 0x18
	s_load_dwordx2 s[10:11], s[4:5], 0x38
	v_mov_b32_e32 v9, 0
	v_lshrrev_b32_e32 v8, 5, v0
	v_lshlrev_b32_e32 v21, 2, v8
	s_waitcnt lgkmcnt(0)
	s_sub_i32 s12, s8, s23
	s_sub_i32 s24, s9, s23
	s_mul_i32 s7, s10, s11
	s_mul_hi_u32 s1, s10, s10
	s_mul_i32 s14, s11, s6
	s_mul_hi_u32 s15, s10, s6
	s_mul_i32 s0, s10, s6
	s_add_i32 s6, s1, s7
	s_sub_i32 s39, s24, s12
	s_add_i32 s1, s15, s14
	s_add_i32 s19, s6, s7
	s_mul_i32 s14, s10, s39
	s_lshl_b64 s[6:7], s[0:1], 2
	v_cmp_gt_i64_e64 s0, s[10:11], v[8:9]
	s_mul_i32 s18, s10, s10
	s_add_i32 s15, s22, s14
	s_add_u32 s6, s2, s6
	s_mul_i32 s13, s18, s12
	s_addc_u32 s7, s3, s7
	s_and_saveexec_b32 s1, s0
	s_cbranch_execz .LBB37_4
; %bb.3:
	v_mul_lo_u32 v1, v8, s14
	v_add3_u32 v1, s15, s13, v1
	global_store_dword v21, v1, s[6:7] offset:4
.LBB37_4:
	s_or_b32 exec_lo, exec_lo, s1
	v_or_b32_e32 v10, 32, v8
	v_mov_b32_e32 v11, v9
	v_cmp_gt_i64_e64 s2, s[10:11], v[10:11]
	s_and_saveexec_b32 s1, s2
	s_cbranch_execz .LBB37_6
; %bb.5:
	v_mul_lo_u32 v1, v10, s14
	v_add3_u32 v1, s15, s13, v1
	global_store_dword v21, v1, s[6:7] offset:132
.LBB37_6:
	s_or_b32 exec_lo, exec_lo, s1
	v_or_b32_e32 v11, 64, v8
	v_mov_b32_e32 v12, v9
	v_cmp_gt_i64_e64 s1, s[10:11], v[11:12]
	;; [unrolled: 11-line block ×3, first 2 shown]
	s_and_saveexec_b32 s16, s3
	s_cbranch_execz .LBB37_10
; %bb.9:
	v_mul_lo_u32 v1, v12, s14
	v_add3_u32 v1, s15, s13, v1
	global_store_dword v21, v1, s[6:7] offset:388
.LBB37_10:
	s_or_b32 exec_lo, exec_lo, s16
	s_cmp_lt_i32 s8, s9
	s_cbranch_scc0 .LBB37_45
; %bb.11:
	s_clause 0x2
	s_load_dwordx2 s[20:21], s[4:5], 0x30
	s_load_dwordx2 s[14:15], s[4:5], 0x48
	s_load_dword s13, s[4:5], 0x0
	v_and_b32_e32 v0, 31, v0
	v_mov_b32_e32 v1, 0
	s_mul_i32 s40, s10, s12
	s_load_dwordx2 s[16:17], s[4:5], 0x20
	v_mad_u64_u32 v[12:13], null, v12, s39, s[40:41]
	v_or_b32_e32 v2, 32, v0
	v_mov_b32_e32 v3, v1
	v_or_b32_e32 v4, 64, v0
	v_mov_b32_e32 v5, v1
	;; [unrolled: 2-line block ×3, first 2 shown]
	v_cmp_gt_i64_e64 s6, s[10:11], v[0:1]
	v_cmp_gt_i64_e64 s7, s[10:11], v[2:3]
	;; [unrolled: 1-line block ×3, first 2 shown]
	v_mad_u64_u32 v[12:13], null, s10, v12, 0x60
	v_cmp_gt_i64_e64 s9, s[10:11], v[6:7]
	v_mad_u64_u32 v[13:14], null, v11, s39, s[40:41]
	s_waitcnt lgkmcnt(0)
	s_cmp_eq_u32 s13, 0
	v_mad_u64_u32 v[9:10], null, v10, s39, s[40:41]
	s_cselect_b32 vcc_lo, -1, 0
	s_ashr_i32 s13, s12, 31
	s_and_b32 s27, s0, s8
	s_and_b32 s28, s0, s9
	;; [unrolled: 1-line block ×14, first 2 shown]
	s_lshl_b64 s[2:3], s[12:13], 3
	s_and_b32 s25, s0, s6
	s_and_b32 s26, s0, s7
	s_mul_hi_u32 s0, s10, s12
	s_mul_i32 s6, s10, s13
	s_add_u32 s2, s20, s2
	s_addc_u32 s3, s21, s3
	s_add_i32 s0, s0, s6
	s_mul_i32 s6, s11, s12
	v_mad_u64_u32 v[7:8], null, v8, s39, s[40:41]
	s_add_i32 s41, s0, s6
	v_mul_lo_u32 v24, s10, v13
	s_lshl_b64 s[6:7], s[40:41], 2
	v_lshlrev_b32_e32 v13, 2, v0
	v_add_co_u32 v15, s0, s6, v21
	v_add_co_ci_u32_e64 v16, null, s7, 0, s0
	v_mul_lo_u32 v28, s10, v7
	v_add_co_u32 v7, s0, 0x180, v15
	v_mul_lo_u32 v26, s10, v9
	v_add_co_ci_u32_e64 v8, null, 0, v16, s0
	v_add_co_u32 v9, s0, 0x100, v15
	v_add_co_ci_u32_e64 v10, null, 0, v16, s0
	v_add_co_u32 v11, s0, 0x80, v15
	v_mov_b32_e32 v23, v12
	v_add_co_ci_u32_e64 v12, null, 0, v16, s0
	v_add_co_u32 v35, s0, s6, v13
	v_add_co_ci_u32_e64 v36, null, s7, 0, s0
	v_mov_b32_e32 v14, v1
	v_mov_b32_e32 v22, v1
	v_add_co_u32 v17, s0, 0x180, v35
	v_add_co_ci_u32_e64 v18, null, 0, v36, s0
	v_mov_b32_e32 v25, v1
	v_mov_b32_e32 v27, v1
	;; [unrolled: 1-line block ×3, first 2 shown]
	v_mul_lo_u32 v1, s10, v8
	v_mul_lo_u32 v30, s11, v7
	v_mad_u64_u32 v[7:8], null, s10, v7, v[13:14]
	v_mul_lo_u32 v31, s10, v10
	v_mul_lo_u32 v32, s11, v9
	v_mad_u64_u32 v[9:10], null, s10, v9, v[13:14]
	;; [unrolled: 3-line block ×4, first 2 shown]
	v_mul_lo_u32 v40, s11, v17
	v_mad_u64_u32 v[15:16], null, s10, v17, v[21:22]
	v_add_co_u32 v17, s0, 0x100, v35
	s_load_dwordx2 s[4:5], s[4:5], 0x58
	v_mul_lo_u32 v39, s10, v18
	v_add_co_ci_u32_e64 v18, null, 0, v36, s0
	v_add_co_u32 v19, s0, 0x80, v35
	v_add_co_ci_u32_e64 v20, null, 0, v36, s0
	v_mul_lo_u32 v41, s10, v18
	v_mul_lo_u32 v42, s11, v17
	v_mad_u64_u32 v[17:18], null, s10, v17, v[21:22]
	v_mul_lo_u32 v43, s10, v20
	v_mul_lo_u32 v44, s11, v19
	v_mad_u64_u32 v[19:20], null, s10, v19, v[21:22]
	;; [unrolled: 3-line block ×3, first 2 shown]
	v_mov_b32_e32 v3, v0
	v_add3_u32 v8, v30, v8, v1
	v_add3_u32 v10, v32, v10, v31
	;; [unrolled: 1-line block ×8, first 2 shown]
	s_mov_b32 s13, s10
	s_lshl_b64 s[6:7], s[18:19], 2
	s_branch .LBB37_13
.LBB37_12:                              ;   in Loop: Header=BB37_13 Depth=1
	s_or_b32 exec_lo, exec_lo, s20
	v_add_co_u32 v5, s0, v5, 0
	v_add_co_ci_u32_e64 v23, null, s13, v23, s0
	v_add_co_u32 v25, s0, v25, 0
	v_add_co_ci_u32_e64 v24, null, s13, v24, s0
	v_add_co_u32 v27, s0, v27, 0
	s_add_i32 s12, s12, 1
	v_add_co_ci_u32_e64 v26, null, s13, v26, s0
	v_add_co_u32 v29, s0, v29, 0
	s_add_u32 s2, s2, 8
	v_add_co_ci_u32_e64 v28, null, s13, v28, s0
	s_addc_u32 s3, s3, 0
	s_add_u32 s16, s16, s6
	s_addc_u32 s17, s17, s7
	s_cmp_ge_i32 s12, s24
	s_cbranch_scc1 .LBB37_45
.LBB37_13:                              ; =>This Inner Loop Header: Depth=1
	s_load_dwordx2 s[18:19], s[2:3], 0x0
	s_waitcnt lgkmcnt(0)
	s_sub_u32 s0, s18, s23
	s_subb_u32 s19, s19, 0
	s_mul_i32 s18, s0, s11
	s_mul_hi_u32 s20, s0, s10
	s_mul_i32 s19, s19, s10
	s_add_i32 s18, s20, s18
	s_mul_i32 s0, s0, s10
	s_add_i32 s19, s18, s19
	s_add_u32 s18, s0, s22
	s_addc_u32 s19, s19, 0
	s_and_saveexec_b32 s20, s25
	s_cbranch_execnz .LBB37_29
; %bb.14:                               ;   in Loop: Header=BB37_13 Depth=1
	s_or_b32 exec_lo, exec_lo, s20
	s_and_saveexec_b32 s20, s26
	s_cbranch_execnz .LBB37_30
.LBB37_15:                              ;   in Loop: Header=BB37_13 Depth=1
	s_or_b32 exec_lo, exec_lo, s20
	s_and_saveexec_b32 s20, s27
	s_cbranch_execnz .LBB37_31
.LBB37_16:                              ;   in Loop: Header=BB37_13 Depth=1
	s_or_b32 exec_lo, exec_lo, s20
	s_and_saveexec_b32 s20, s28
	s_cbranch_execnz .LBB37_32
.LBB37_17:                              ;   in Loop: Header=BB37_13 Depth=1
	s_or_b32 exec_lo, exec_lo, s20
	s_and_saveexec_b32 s20, s29
	s_cbranch_execnz .LBB37_33
.LBB37_18:                              ;   in Loop: Header=BB37_13 Depth=1
	s_or_b32 exec_lo, exec_lo, s20
	s_and_saveexec_b32 s20, s30
	s_cbranch_execnz .LBB37_34
.LBB37_19:                              ;   in Loop: Header=BB37_13 Depth=1
	s_or_b32 exec_lo, exec_lo, s20
	s_and_saveexec_b32 s20, s31
	s_cbranch_execnz .LBB37_35
.LBB37_20:                              ;   in Loop: Header=BB37_13 Depth=1
	s_or_b32 exec_lo, exec_lo, s20
	s_and_saveexec_b32 s20, s33
	s_cbranch_execnz .LBB37_36
.LBB37_21:                              ;   in Loop: Header=BB37_13 Depth=1
	s_or_b32 exec_lo, exec_lo, s20
	s_and_saveexec_b32 s20, s34
	s_cbranch_execnz .LBB37_37
.LBB37_22:                              ;   in Loop: Header=BB37_13 Depth=1
	s_or_b32 exec_lo, exec_lo, s20
	s_and_saveexec_b32 s20, s35
	s_cbranch_execnz .LBB37_38
.LBB37_23:                              ;   in Loop: Header=BB37_13 Depth=1
	s_or_b32 exec_lo, exec_lo, s20
	s_and_saveexec_b32 s20, s36
	s_cbranch_execnz .LBB37_39
.LBB37_24:                              ;   in Loop: Header=BB37_13 Depth=1
	s_or_b32 exec_lo, exec_lo, s20
	s_and_saveexec_b32 s20, s1
	s_cbranch_execnz .LBB37_40
.LBB37_25:                              ;   in Loop: Header=BB37_13 Depth=1
	s_or_b32 exec_lo, exec_lo, s20
	s_and_saveexec_b32 s20, s37
	s_cbranch_execnz .LBB37_41
.LBB37_26:                              ;   in Loop: Header=BB37_13 Depth=1
	s_or_b32 exec_lo, exec_lo, s20
	s_and_saveexec_b32 s20, s38
	s_cbranch_execnz .LBB37_42
.LBB37_27:                              ;   in Loop: Header=BB37_13 Depth=1
	s_or_b32 exec_lo, exec_lo, s20
	s_and_saveexec_b32 s20, s8
	s_cbranch_execnz .LBB37_43
.LBB37_28:                              ;   in Loop: Header=BB37_13 Depth=1
	s_or_b32 exec_lo, exec_lo, s20
	s_and_saveexec_b32 s20, s9
	s_cbranch_execz .LBB37_12
	s_branch .LBB37_44
.LBB37_29:                              ;   in Loop: Header=BB37_13 Depth=1
	v_add_co_u32 v1, s0, s16, v13
	v_add_co_ci_u32_e64 v30, null, s17, v14, s0
	v_add_co_u32 v32, s0, s16, v21
	v_add_co_ci_u32_e64 v31, null, s17, v22, s0
	v_cndmask_b32_e32 v31, v31, v30, vcc_lo
	v_cndmask_b32_e32 v30, v32, v1, vcc_lo
	global_load_dword v1, v[30:31], off
	v_add_co_u32 v30, s0, 0, v29
	v_add_co_ci_u32_e64 v31, null, v3, v28, s0
	v_add_co_u32 v34, s0, s18, v0
	v_add_co_ci_u32_e64 v35, null, s19, 0, s0
	v_ashrrev_i64 v[32:33], 29, v[30:31]
	v_ashrrev_i64 v[30:31], 30, v[30:31]
	v_add_co_u32 v32, s0, s4, v32
	v_add_co_ci_u32_e64 v33, null, s5, v33, s0
	v_add_co_u32 v30, s0, s14, v30
	v_add_co_ci_u32_e64 v31, null, s15, v31, s0
	global_store_dwordx2 v[32:33], v[34:35], off
	s_waitcnt vmcnt(0)
	global_store_dword v[30:31], v1, off
	s_or_b32 exec_lo, exec_lo, s20
	s_and_saveexec_b32 s20, s26
	s_cbranch_execz .LBB37_15
.LBB37_30:                              ;   in Loop: Header=BB37_13 Depth=1
	v_add_co_u32 v1, s0, s16, v13
	v_add_co_ci_u32_e64 v30, null, s17, v14, s0
	v_add_co_u32 v1, s0, 0x80, v1
	v_add_co_ci_u32_e64 v30, null, 0, v30, s0
	;; [unrolled: 2-line block ×3, first 2 shown]
	v_cndmask_b32_e32 v31, v31, v30, vcc_lo
	v_cndmask_b32_e32 v30, v32, v1, vcc_lo
	global_load_dword v1, v[30:31], off
	v_add_co_u32 v30, s0, 0, v29
	v_add_co_ci_u32_e64 v31, null, v3, v28, s0
	v_add_co_u32 v34, s0, s18, v2
	v_add_co_ci_u32_e64 v35, null, s19, 0, s0
	v_add_nc_u32_e32 v31, 32, v31
	v_ashrrev_i64 v[32:33], 29, v[30:31]
	v_ashrrev_i64 v[30:31], 30, v[30:31]
	v_add_co_u32 v32, s0, s4, v32
	v_add_co_ci_u32_e64 v33, null, s5, v33, s0
	v_add_co_u32 v30, s0, s14, v30
	v_add_co_ci_u32_e64 v31, null, s15, v31, s0
	global_store_dwordx2 v[32:33], v[34:35], off
	s_waitcnt vmcnt(0)
	global_store_dword v[30:31], v1, off
	s_or_b32 exec_lo, exec_lo, s20
	s_and_saveexec_b32 s20, s27
	s_cbranch_execz .LBB37_16
.LBB37_31:                              ;   in Loop: Header=BB37_13 Depth=1
	v_add_co_u32 v1, s0, s16, v13
	v_add_co_ci_u32_e64 v30, null, s17, v14, s0
	v_add_co_u32 v1, s0, 0x100, v1
	v_add_co_ci_u32_e64 v30, null, 0, v30, s0
	v_add_co_u32 v32, s0, s16, v17
	v_add_co_ci_u32_e64 v31, null, s17, v18, s0
	v_cndmask_b32_e32 v31, v31, v30, vcc_lo
	v_cndmask_b32_e32 v30, v32, v1, vcc_lo
	global_load_dword v1, v[30:31], off
	v_add_co_u32 v30, s0, 0, v29
	v_add_co_ci_u32_e64 v31, null, v3, v28, s0
	v_add_co_u32 v34, s0, s18, v4
	v_add_co_ci_u32_e64 v35, null, s19, 0, s0
	v_add_nc_u32_e32 v31, 64, v31
	v_ashrrev_i64 v[32:33], 29, v[30:31]
	v_ashrrev_i64 v[30:31], 30, v[30:31]
	v_add_co_u32 v32, s0, s4, v32
	v_add_co_ci_u32_e64 v33, null, s5, v33, s0
	v_add_co_u32 v30, s0, s14, v30
	v_add_co_ci_u32_e64 v31, null, s15, v31, s0
	global_store_dwordx2 v[32:33], v[34:35], off
	s_waitcnt vmcnt(0)
	global_store_dword v[30:31], v1, off
	s_or_b32 exec_lo, exec_lo, s20
	s_and_saveexec_b32 s20, s28
	s_cbranch_execz .LBB37_17
.LBB37_32:                              ;   in Loop: Header=BB37_13 Depth=1
	v_add_co_u32 v1, s0, s16, v13
	v_add_co_ci_u32_e64 v30, null, s17, v14, s0
	v_add_co_u32 v1, s0, 0x180, v1
	v_add_co_ci_u32_e64 v30, null, 0, v30, s0
	;; [unrolled: 2-line block ×3, first 2 shown]
	v_cndmask_b32_e32 v31, v31, v30, vcc_lo
	v_cndmask_b32_e32 v30, v32, v1, vcc_lo
	global_load_dword v1, v[30:31], off
	v_add_co_u32 v30, s0, 0, v29
	v_add_co_ci_u32_e64 v31, null, v3, v28, s0
	v_add_co_u32 v34, s0, s18, v6
	v_add_co_ci_u32_e64 v35, null, s19, 0, s0
	v_add_nc_u32_e32 v31, 0x60, v31
	v_ashrrev_i64 v[32:33], 29, v[30:31]
	v_ashrrev_i64 v[30:31], 30, v[30:31]
	v_add_co_u32 v32, s0, s4, v32
	v_add_co_ci_u32_e64 v33, null, s5, v33, s0
	v_add_co_u32 v30, s0, s14, v30
	v_add_co_ci_u32_e64 v31, null, s15, v31, s0
	global_store_dwordx2 v[32:33], v[34:35], off
	s_waitcnt vmcnt(0)
	global_store_dword v[30:31], v1, off
	s_or_b32 exec_lo, exec_lo, s20
	s_and_saveexec_b32 s20, s29
	s_cbranch_execz .LBB37_18
.LBB37_33:                              ;   in Loop: Header=BB37_13 Depth=1
	v_add_co_u32 v1, s0, s16, v21
	v_add_co_ci_u32_e64 v30, null, s17, v22, s0
	v_add_co_u32 v32, s0, s16, v11
	v_add_co_ci_u32_e64 v31, null, s17, v12, s0
	;; [unrolled: 2-line block ×3, first 2 shown]
	v_cndmask_b32_e32 v31, v30, v31, vcc_lo
	v_cndmask_b32_e32 v30, v1, v32, vcc_lo
	global_load_dword v1, v[30:31], off
	v_add_co_u32 v30, s0, 0, v27
	v_add_co_ci_u32_e64 v31, null, v3, v26, s0
	v_add_co_u32 v34, s0, s18, v0
	v_add_co_ci_u32_e64 v35, null, s19, 0, s0
	v_ashrrev_i64 v[32:33], 29, v[30:31]
	v_ashrrev_i64 v[30:31], 30, v[30:31]
	v_add_co_u32 v32, s0, s4, v32
	v_add_co_ci_u32_e64 v33, null, s5, v33, s0
	v_add_co_u32 v30, s0, s14, v30
	v_add_co_ci_u32_e64 v31, null, s15, v31, s0
	global_store_dwordx2 v[32:33], v[34:35], off
	s_waitcnt vmcnt(0)
	global_store_dword v[30:31], v1, off
	s_or_b32 exec_lo, exec_lo, s20
	s_and_saveexec_b32 s20, s30
	s_cbranch_execz .LBB37_19
.LBB37_34:                              ;   in Loop: Header=BB37_13 Depth=1
	v_add_co_u32 v1, s0, s16, v11
	v_add_co_ci_u32_e64 v30, null, s17, v12, s0
	v_add_co_u32 v32, s0, s16, v19
	v_add_co_ci_u32_e64 v31, null, s17, v20, s0
	v_cndmask_b32_e32 v31, v31, v30, vcc_lo
	v_cndmask_b32_e32 v30, v32, v1, vcc_lo
	global_load_dword v1, v[30:31], off offset:128
	v_add_co_u32 v30, s0, 0, v27
	v_add_co_ci_u32_e64 v31, null, v3, v26, s0
	v_add_co_u32 v34, s0, s18, v2
	v_add_co_ci_u32_e64 v35, null, s19, 0, s0
	v_add_nc_u32_e32 v31, 32, v31
	v_ashrrev_i64 v[32:33], 29, v[30:31]
	v_ashrrev_i64 v[30:31], 30, v[30:31]
	v_add_co_u32 v32, s0, s4, v32
	v_add_co_ci_u32_e64 v33, null, s5, v33, s0
	v_add_co_u32 v30, s0, s14, v30
	v_add_co_ci_u32_e64 v31, null, s15, v31, s0
	global_store_dwordx2 v[32:33], v[34:35], off
	s_waitcnt vmcnt(0)
	global_store_dword v[30:31], v1, off
	s_or_b32 exec_lo, exec_lo, s20
	s_and_saveexec_b32 s20, s31
	s_cbranch_execz .LBB37_20
.LBB37_35:                              ;   in Loop: Header=BB37_13 Depth=1
	v_add_co_u32 v1, s0, s16, v11
	v_add_co_ci_u32_e64 v30, null, s17, v12, s0
	v_add_co_u32 v31, s0, s16, v17
	v_add_co_ci_u32_e64 v32, null, s17, v18, s0
	;; [unrolled: 2-line block ×4, first 2 shown]
	v_cndmask_b32_e32 v31, v31, v30, vcc_lo
	v_cndmask_b32_e32 v30, v33, v1, vcc_lo
	global_load_dword v1, v[30:31], off
	v_add_co_u32 v30, s0, 0, v27
	v_add_co_ci_u32_e64 v31, null, v3, v26, s0
	v_add_co_u32 v34, s0, s18, v4
	v_add_co_ci_u32_e64 v35, null, s19, 0, s0
	v_add_nc_u32_e32 v31, 64, v31
	v_ashrrev_i64 v[32:33], 29, v[30:31]
	v_ashrrev_i64 v[30:31], 30, v[30:31]
	v_add_co_u32 v32, s0, s4, v32
	v_add_co_ci_u32_e64 v33, null, s5, v33, s0
	v_add_co_u32 v30, s0, s14, v30
	v_add_co_ci_u32_e64 v31, null, s15, v31, s0
	global_store_dwordx2 v[32:33], v[34:35], off
	s_waitcnt vmcnt(0)
	global_store_dword v[30:31], v1, off
	s_or_b32 exec_lo, exec_lo, s20
	s_and_saveexec_b32 s20, s33
	s_cbranch_execz .LBB37_21
.LBB37_36:                              ;   in Loop: Header=BB37_13 Depth=1
	v_add_co_u32 v1, s0, s16, v11
	v_add_co_ci_u32_e64 v30, null, s17, v12, s0
	v_add_co_u32 v31, s0, s16, v15
	v_add_co_ci_u32_e64 v32, null, s17, v16, s0
	;; [unrolled: 2-line block ×4, first 2 shown]
	v_cndmask_b32_e32 v31, v31, v30, vcc_lo
	v_cndmask_b32_e32 v30, v33, v1, vcc_lo
	global_load_dword v1, v[30:31], off
	v_add_co_u32 v30, s0, 0, v27
	v_add_co_ci_u32_e64 v31, null, v3, v26, s0
	v_add_co_u32 v34, s0, s18, v6
	v_add_co_ci_u32_e64 v35, null, s19, 0, s0
	v_add_nc_u32_e32 v31, 0x60, v31
	v_ashrrev_i64 v[32:33], 29, v[30:31]
	v_ashrrev_i64 v[30:31], 30, v[30:31]
	v_add_co_u32 v32, s0, s4, v32
	v_add_co_ci_u32_e64 v33, null, s5, v33, s0
	v_add_co_u32 v30, s0, s14, v30
	v_add_co_ci_u32_e64 v31, null, s15, v31, s0
	global_store_dwordx2 v[32:33], v[34:35], off
	s_waitcnt vmcnt(0)
	global_store_dword v[30:31], v1, off
	s_or_b32 exec_lo, exec_lo, s20
	s_and_saveexec_b32 s20, s34
	s_cbranch_execz .LBB37_22
.LBB37_37:                              ;   in Loop: Header=BB37_13 Depth=1
	v_add_co_u32 v1, s0, s16, v21
	v_add_co_ci_u32_e64 v30, null, s17, v22, s0
	v_add_co_u32 v32, s0, s16, v9
	v_add_co_ci_u32_e64 v31, null, s17, v10, s0
	;; [unrolled: 2-line block ×3, first 2 shown]
	v_cndmask_b32_e32 v31, v30, v31, vcc_lo
	v_cndmask_b32_e32 v30, v1, v32, vcc_lo
	global_load_dword v1, v[30:31], off
	v_add_co_u32 v30, s0, 0, v25
	v_add_co_ci_u32_e64 v31, null, v3, v24, s0
	v_add_co_u32 v34, s0, s18, v0
	v_add_co_ci_u32_e64 v35, null, s19, 0, s0
	v_ashrrev_i64 v[32:33], 29, v[30:31]
	v_ashrrev_i64 v[30:31], 30, v[30:31]
	v_add_co_u32 v32, s0, s4, v32
	v_add_co_ci_u32_e64 v33, null, s5, v33, s0
	v_add_co_u32 v30, s0, s14, v30
	v_add_co_ci_u32_e64 v31, null, s15, v31, s0
	global_store_dwordx2 v[32:33], v[34:35], off
	s_waitcnt vmcnt(0)
	global_store_dword v[30:31], v1, off
	s_or_b32 exec_lo, exec_lo, s20
	s_and_saveexec_b32 s20, s35
	s_cbranch_execz .LBB37_23
.LBB37_38:                              ;   in Loop: Header=BB37_13 Depth=1
	v_add_co_u32 v1, s0, s16, v9
	v_add_co_ci_u32_e64 v30, null, s17, v10, s0
	v_add_co_u32 v31, s0, s16, v19
	v_add_co_ci_u32_e64 v32, null, s17, v20, s0
	v_add_co_u32 v1, s0, 0x80, v1
	v_add_co_ci_u32_e64 v30, null, 0, v30, s0
	v_add_co_u32 v33, s0, 0x100, v31
	v_add_co_ci_u32_e64 v31, null, 0, v32, s0
	v_cndmask_b32_e32 v31, v31, v30, vcc_lo
	v_cndmask_b32_e32 v30, v33, v1, vcc_lo
	global_load_dword v1, v[30:31], off
	v_add_co_u32 v30, s0, 0, v25
	v_add_co_ci_u32_e64 v31, null, v3, v24, s0
	v_add_co_u32 v34, s0, s18, v2
	v_add_co_ci_u32_e64 v35, null, s19, 0, s0
	v_add_nc_u32_e32 v31, 32, v31
	v_ashrrev_i64 v[32:33], 29, v[30:31]
	v_ashrrev_i64 v[30:31], 30, v[30:31]
	v_add_co_u32 v32, s0, s4, v32
	v_add_co_ci_u32_e64 v33, null, s5, v33, s0
	v_add_co_u32 v30, s0, s14, v30
	v_add_co_ci_u32_e64 v31, null, s15, v31, s0
	global_store_dwordx2 v[32:33], v[34:35], off
	s_waitcnt vmcnt(0)
	global_store_dword v[30:31], v1, off
	s_or_b32 exec_lo, exec_lo, s20
	s_and_saveexec_b32 s20, s36
	s_cbranch_execz .LBB37_24
.LBB37_39:                              ;   in Loop: Header=BB37_13 Depth=1
	v_add_co_u32 v1, s0, s16, v9
	v_add_co_ci_u32_e64 v30, null, s17, v10, s0
	v_add_co_u32 v32, s0, s16, v17
	v_add_co_ci_u32_e64 v31, null, s17, v18, s0
	v_cndmask_b32_e32 v31, v31, v30, vcc_lo
	v_cndmask_b32_e32 v30, v32, v1, vcc_lo
	global_load_dword v1, v[30:31], off offset:256
	v_add_co_u32 v30, s0, 0, v25
	v_add_co_ci_u32_e64 v31, null, v3, v24, s0
	v_add_co_u32 v34, s0, s18, v4
	v_add_co_ci_u32_e64 v35, null, s19, 0, s0
	v_add_nc_u32_e32 v31, 64, v31
	v_ashrrev_i64 v[32:33], 29, v[30:31]
	v_ashrrev_i64 v[30:31], 30, v[30:31]
	v_add_co_u32 v32, s0, s4, v32
	v_add_co_ci_u32_e64 v33, null, s5, v33, s0
	v_add_co_u32 v30, s0, s14, v30
	v_add_co_ci_u32_e64 v31, null, s15, v31, s0
	global_store_dwordx2 v[32:33], v[34:35], off
	s_waitcnt vmcnt(0)
	global_store_dword v[30:31], v1, off
	s_or_b32 exec_lo, exec_lo, s20
	s_and_saveexec_b32 s20, s1
	s_cbranch_execz .LBB37_25
.LBB37_40:                              ;   in Loop: Header=BB37_13 Depth=1
	v_add_co_u32 v1, s0, s16, v9
	v_add_co_ci_u32_e64 v30, null, s17, v10, s0
	v_add_co_u32 v31, s0, s16, v15
	v_add_co_ci_u32_e64 v32, null, s17, v16, s0
	;; [unrolled: 2-line block ×4, first 2 shown]
	v_cndmask_b32_e32 v31, v31, v30, vcc_lo
	v_cndmask_b32_e32 v30, v33, v1, vcc_lo
	global_load_dword v1, v[30:31], off
	v_add_co_u32 v30, s0, 0, v25
	v_add_co_ci_u32_e64 v31, null, v3, v24, s0
	v_add_co_u32 v34, s0, s18, v6
	v_add_co_ci_u32_e64 v35, null, s19, 0, s0
	v_add_nc_u32_e32 v31, 0x60, v31
	v_ashrrev_i64 v[32:33], 29, v[30:31]
	v_ashrrev_i64 v[30:31], 30, v[30:31]
	v_add_co_u32 v32, s0, s4, v32
	v_add_co_ci_u32_e64 v33, null, s5, v33, s0
	v_add_co_u32 v30, s0, s14, v30
	v_add_co_ci_u32_e64 v31, null, s15, v31, s0
	global_store_dwordx2 v[32:33], v[34:35], off
	s_waitcnt vmcnt(0)
	global_store_dword v[30:31], v1, off
	s_or_b32 exec_lo, exec_lo, s20
	s_and_saveexec_b32 s20, s37
	s_cbranch_execz .LBB37_26
.LBB37_41:                              ;   in Loop: Header=BB37_13 Depth=1
	v_add_co_u32 v1, s0, s16, v21
	v_add_co_ci_u32_e64 v30, null, s17, v22, s0
	v_add_co_u32 v32, s0, s16, v7
	v_add_co_ci_u32_e64 v31, null, s17, v8, s0
	;; [unrolled: 2-line block ×3, first 2 shown]
	v_cndmask_b32_e32 v31, v30, v31, vcc_lo
	v_cndmask_b32_e32 v30, v1, v32, vcc_lo
	global_load_dword v1, v[30:31], off
	v_add_co_u32 v30, s0, 0, v5
	v_add_co_ci_u32_e64 v31, null, v3, v23, s0
	v_add_co_u32 v34, s0, s18, v0
	v_add_co_ci_u32_e64 v35, null, s19, 0, s0
	v_add_nc_u32_e32 v31, 0xffffffa0, v31
	v_ashrrev_i64 v[32:33], 29, v[30:31]
	v_ashrrev_i64 v[30:31], 30, v[30:31]
	v_add_co_u32 v32, s0, s4, v32
	v_add_co_ci_u32_e64 v33, null, s5, v33, s0
	v_add_co_u32 v30, s0, s14, v30
	v_add_co_ci_u32_e64 v31, null, s15, v31, s0
	global_store_dwordx2 v[32:33], v[34:35], off
	s_waitcnt vmcnt(0)
	global_store_dword v[30:31], v1, off
	s_or_b32 exec_lo, exec_lo, s20
	s_and_saveexec_b32 s20, s38
	s_cbranch_execz .LBB37_27
.LBB37_42:                              ;   in Loop: Header=BB37_13 Depth=1
	v_add_co_u32 v1, s0, s16, v7
	v_add_co_ci_u32_e64 v30, null, s17, v8, s0
	v_add_co_u32 v31, s0, s16, v19
	v_add_co_ci_u32_e64 v32, null, s17, v20, s0
	;; [unrolled: 2-line block ×4, first 2 shown]
	v_cndmask_b32_e32 v31, v31, v30, vcc_lo
	v_cndmask_b32_e32 v30, v33, v1, vcc_lo
	global_load_dword v1, v[30:31], off
	v_add_co_u32 v30, s0, 0, v5
	v_add_co_ci_u32_e64 v31, null, v3, v23, s0
	v_add_co_u32 v34, s0, s18, v2
	v_add_co_ci_u32_e64 v35, null, s19, 0, s0
	v_subrev_nc_u32_e32 v31, 64, v31
	v_ashrrev_i64 v[32:33], 29, v[30:31]
	v_ashrrev_i64 v[30:31], 30, v[30:31]
	v_add_co_u32 v32, s0, s4, v32
	v_add_co_ci_u32_e64 v33, null, s5, v33, s0
	v_add_co_u32 v30, s0, s14, v30
	v_add_co_ci_u32_e64 v31, null, s15, v31, s0
	global_store_dwordx2 v[32:33], v[34:35], off
	s_waitcnt vmcnt(0)
	global_store_dword v[30:31], v1, off
	s_or_b32 exec_lo, exec_lo, s20
	s_and_saveexec_b32 s20, s8
	s_cbranch_execz .LBB37_28
.LBB37_43:                              ;   in Loop: Header=BB37_13 Depth=1
	v_add_co_u32 v1, s0, s16, v7
	v_add_co_ci_u32_e64 v30, null, s17, v8, s0
	v_add_co_u32 v31, s0, s16, v17
	v_add_co_ci_u32_e64 v32, null, s17, v18, s0
	;; [unrolled: 2-line block ×4, first 2 shown]
	v_cndmask_b32_e32 v31, v31, v30, vcc_lo
	v_cndmask_b32_e32 v30, v33, v1, vcc_lo
	global_load_dword v1, v[30:31], off
	v_add_co_u32 v30, s0, 0, v5
	v_add_co_ci_u32_e64 v31, null, v3, v23, s0
	v_add_co_u32 v34, s0, s18, v4
	v_add_co_ci_u32_e64 v35, null, s19, 0, s0
	v_subrev_nc_u32_e32 v31, 32, v31
	v_ashrrev_i64 v[32:33], 29, v[30:31]
	v_ashrrev_i64 v[30:31], 30, v[30:31]
	v_add_co_u32 v32, s0, s4, v32
	v_add_co_ci_u32_e64 v33, null, s5, v33, s0
	v_add_co_u32 v30, s0, s14, v30
	v_add_co_ci_u32_e64 v31, null, s15, v31, s0
	global_store_dwordx2 v[32:33], v[34:35], off
	s_waitcnt vmcnt(0)
	global_store_dword v[30:31], v1, off
	s_or_b32 exec_lo, exec_lo, s20
	s_and_saveexec_b32 s20, s9
	s_cbranch_execz .LBB37_12
.LBB37_44:                              ;   in Loop: Header=BB37_13 Depth=1
	v_add_co_u32 v1, s0, s16, v7
	v_add_co_ci_u32_e64 v30, null, s17, v8, s0
	v_add_co_u32 v32, s0, s16, v15
	v_add_co_ci_u32_e64 v31, null, s17, v16, s0
	v_cndmask_b32_e32 v31, v31, v30, vcc_lo
	v_cndmask_b32_e32 v30, v32, v1, vcc_lo
	global_load_dword v1, v[30:31], off offset:384
	v_add_co_u32 v30, s0, 0, v5
	v_add_co_ci_u32_e64 v31, null, v3, v23, s0
	v_add_co_u32 v34, s0, s18, v6
	v_add_co_ci_u32_e64 v35, null, s19, 0, s0
	v_ashrrev_i64 v[32:33], 29, v[30:31]
	v_ashrrev_i64 v[30:31], 30, v[30:31]
	v_add_co_u32 v32, s0, s4, v32
	v_add_co_ci_u32_e64 v33, null, s5, v33, s0
	v_add_co_u32 v30, s0, s14, v30
	v_add_co_ci_u32_e64 v31, null, s15, v31, s0
	global_store_dwordx2 v[32:33], v[34:35], off
	s_waitcnt vmcnt(0)
	global_store_dword v[30:31], v1, off
	s_branch .LBB37_12
.LBB37_45:
	s_endpgm
	.section	.rodata,"a",@progbits
	.p2align	6, 0x0
	.amdhsa_kernel _ZN9rocsparseL35bsr2csr_block_per_row_33_256_kernelILj1024ELj128ELj32EiilEEv20rocsparse_direction_T4_S2_21rocsparse_index_base_PKT2_PKT3_PKS2_S2_S3_PS4_PS7_PS2_
		.amdhsa_group_segment_fixed_size 0
		.amdhsa_private_segment_fixed_size 0
		.amdhsa_kernarg_size 96
		.amdhsa_user_sgpr_count 6
		.amdhsa_user_sgpr_private_segment_buffer 1
		.amdhsa_user_sgpr_dispatch_ptr 0
		.amdhsa_user_sgpr_queue_ptr 0
		.amdhsa_user_sgpr_kernarg_segment_ptr 1
		.amdhsa_user_sgpr_dispatch_id 0
		.amdhsa_user_sgpr_flat_scratch_init 0
		.amdhsa_user_sgpr_private_segment_size 0
		.amdhsa_wavefront_size32 1
		.amdhsa_uses_dynamic_stack 0
		.amdhsa_system_sgpr_private_segment_wavefront_offset 0
		.amdhsa_system_sgpr_workgroup_id_x 1
		.amdhsa_system_sgpr_workgroup_id_y 0
		.amdhsa_system_sgpr_workgroup_id_z 0
		.amdhsa_system_sgpr_workgroup_info 0
		.amdhsa_system_vgpr_workitem_id 0
		.amdhsa_next_free_vgpr 46
		.amdhsa_next_free_sgpr 42
		.amdhsa_reserve_vcc 1
		.amdhsa_reserve_flat_scratch 0
		.amdhsa_float_round_mode_32 0
		.amdhsa_float_round_mode_16_64 0
		.amdhsa_float_denorm_mode_32 3
		.amdhsa_float_denorm_mode_16_64 3
		.amdhsa_dx10_clamp 1
		.amdhsa_ieee_mode 1
		.amdhsa_fp16_overflow 0
		.amdhsa_workgroup_processor_mode 1
		.amdhsa_memory_ordered 1
		.amdhsa_forward_progress 1
		.amdhsa_shared_vgpr_count 0
		.amdhsa_exception_fp_ieee_invalid_op 0
		.amdhsa_exception_fp_denorm_src 0
		.amdhsa_exception_fp_ieee_div_zero 0
		.amdhsa_exception_fp_ieee_overflow 0
		.amdhsa_exception_fp_ieee_underflow 0
		.amdhsa_exception_fp_ieee_inexact 0
		.amdhsa_exception_int_div_zero 0
	.end_amdhsa_kernel
	.section	.text._ZN9rocsparseL35bsr2csr_block_per_row_33_256_kernelILj1024ELj128ELj32EiilEEv20rocsparse_direction_T4_S2_21rocsparse_index_base_PKT2_PKT3_PKS2_S2_S3_PS4_PS7_PS2_,"axG",@progbits,_ZN9rocsparseL35bsr2csr_block_per_row_33_256_kernelILj1024ELj128ELj32EiilEEv20rocsparse_direction_T4_S2_21rocsparse_index_base_PKT2_PKT3_PKS2_S2_S3_PS4_PS7_PS2_,comdat
.Lfunc_end37:
	.size	_ZN9rocsparseL35bsr2csr_block_per_row_33_256_kernelILj1024ELj128ELj32EiilEEv20rocsparse_direction_T4_S2_21rocsparse_index_base_PKT2_PKT3_PKS2_S2_S3_PS4_PS7_PS2_, .Lfunc_end37-_ZN9rocsparseL35bsr2csr_block_per_row_33_256_kernelILj1024ELj128ELj32EiilEEv20rocsparse_direction_T4_S2_21rocsparse_index_base_PKT2_PKT3_PKS2_S2_S3_PS4_PS7_PS2_
                                        ; -- End function
	.set _ZN9rocsparseL35bsr2csr_block_per_row_33_256_kernelILj1024ELj128ELj32EiilEEv20rocsparse_direction_T4_S2_21rocsparse_index_base_PKT2_PKT3_PKS2_S2_S3_PS4_PS7_PS2_.num_vgpr, 46
	.set _ZN9rocsparseL35bsr2csr_block_per_row_33_256_kernelILj1024ELj128ELj32EiilEEv20rocsparse_direction_T4_S2_21rocsparse_index_base_PKT2_PKT3_PKS2_S2_S3_PS4_PS7_PS2_.num_agpr, 0
	.set _ZN9rocsparseL35bsr2csr_block_per_row_33_256_kernelILj1024ELj128ELj32EiilEEv20rocsparse_direction_T4_S2_21rocsparse_index_base_PKT2_PKT3_PKS2_S2_S3_PS4_PS7_PS2_.numbered_sgpr, 42
	.set _ZN9rocsparseL35bsr2csr_block_per_row_33_256_kernelILj1024ELj128ELj32EiilEEv20rocsparse_direction_T4_S2_21rocsparse_index_base_PKT2_PKT3_PKS2_S2_S3_PS4_PS7_PS2_.num_named_barrier, 0
	.set _ZN9rocsparseL35bsr2csr_block_per_row_33_256_kernelILj1024ELj128ELj32EiilEEv20rocsparse_direction_T4_S2_21rocsparse_index_base_PKT2_PKT3_PKS2_S2_S3_PS4_PS7_PS2_.private_seg_size, 0
	.set _ZN9rocsparseL35bsr2csr_block_per_row_33_256_kernelILj1024ELj128ELj32EiilEEv20rocsparse_direction_T4_S2_21rocsparse_index_base_PKT2_PKT3_PKS2_S2_S3_PS4_PS7_PS2_.uses_vcc, 1
	.set _ZN9rocsparseL35bsr2csr_block_per_row_33_256_kernelILj1024ELj128ELj32EiilEEv20rocsparse_direction_T4_S2_21rocsparse_index_base_PKT2_PKT3_PKS2_S2_S3_PS4_PS7_PS2_.uses_flat_scratch, 0
	.set _ZN9rocsparseL35bsr2csr_block_per_row_33_256_kernelILj1024ELj128ELj32EiilEEv20rocsparse_direction_T4_S2_21rocsparse_index_base_PKT2_PKT3_PKS2_S2_S3_PS4_PS7_PS2_.has_dyn_sized_stack, 0
	.set _ZN9rocsparseL35bsr2csr_block_per_row_33_256_kernelILj1024ELj128ELj32EiilEEv20rocsparse_direction_T4_S2_21rocsparse_index_base_PKT2_PKT3_PKS2_S2_S3_PS4_PS7_PS2_.has_recursion, 0
	.set _ZN9rocsparseL35bsr2csr_block_per_row_33_256_kernelILj1024ELj128ELj32EiilEEv20rocsparse_direction_T4_S2_21rocsparse_index_base_PKT2_PKT3_PKS2_S2_S3_PS4_PS7_PS2_.has_indirect_call, 0
	.section	.AMDGPU.csdata,"",@progbits
; Kernel info:
; codeLenInByte = 4484
; TotalNumSgprs: 44
; NumVgprs: 46
; ScratchSize: 0
; MemoryBound: 0
; FloatMode: 240
; IeeeMode: 1
; LDSByteSize: 0 bytes/workgroup (compile time only)
; SGPRBlocks: 0
; VGPRBlocks: 5
; NumSGPRsForWavesPerEU: 44
; NumVGPRsForWavesPerEU: 46
; Occupancy: 16
; WaveLimiterHint : 1
; COMPUTE_PGM_RSRC2:SCRATCH_EN: 0
; COMPUTE_PGM_RSRC2:USER_SGPR: 6
; COMPUTE_PGM_RSRC2:TRAP_HANDLER: 0
; COMPUTE_PGM_RSRC2:TGID_X_EN: 1
; COMPUTE_PGM_RSRC2:TGID_Y_EN: 0
; COMPUTE_PGM_RSRC2:TGID_Z_EN: 0
; COMPUTE_PGM_RSRC2:TIDIG_COMP_CNT: 0
	.section	.text._ZN9rocsparseL35bsr2csr_block_per_row_33_256_kernelILj1024ELj256ELj32EiilEEv20rocsparse_direction_T4_S2_21rocsparse_index_base_PKT2_PKT3_PKS2_S2_S3_PS4_PS7_PS2_,"axG",@progbits,_ZN9rocsparseL35bsr2csr_block_per_row_33_256_kernelILj1024ELj256ELj32EiilEEv20rocsparse_direction_T4_S2_21rocsparse_index_base_PKT2_PKT3_PKS2_S2_S3_PS4_PS7_PS2_,comdat
	.globl	_ZN9rocsparseL35bsr2csr_block_per_row_33_256_kernelILj1024ELj256ELj32EiilEEv20rocsparse_direction_T4_S2_21rocsparse_index_base_PKT2_PKT3_PKS2_S2_S3_PS4_PS7_PS2_ ; -- Begin function _ZN9rocsparseL35bsr2csr_block_per_row_33_256_kernelILj1024ELj256ELj32EiilEEv20rocsparse_direction_T4_S2_21rocsparse_index_base_PKT2_PKT3_PKS2_S2_S3_PS4_PS7_PS2_
	.p2align	8
	.type	_ZN9rocsparseL35bsr2csr_block_per_row_33_256_kernelILj1024ELj256ELj32EiilEEv20rocsparse_direction_T4_S2_21rocsparse_index_base_PKT2_PKT3_PKS2_S2_S3_PS4_PS7_PS2_,@function
_ZN9rocsparseL35bsr2csr_block_per_row_33_256_kernelILj1024ELj256ELj32EiilEEv20rocsparse_direction_T4_S2_21rocsparse_index_base_PKT2_PKT3_PKS2_S2_S3_PS4_PS7_PS2_: ; @_ZN9rocsparseL35bsr2csr_block_per_row_33_256_kernelILj1024ELj256ELj32EiilEEv20rocsparse_direction_T4_S2_21rocsparse_index_base_PKT2_PKT3_PKS2_S2_S3_PS4_PS7_PS2_
; %bb.0:
	s_load_dwordx2 s[0:1], s[4:5], 0x28
	s_mov_b32 s7, 0
	s_clause 0x1
	s_load_dword s30, s[4:5], 0x40
	s_load_dwordx2 s[2:3], s[4:5], 0x50
	s_lshl_b64 s[8:9], s[6:7], 2
	v_or_b32_e32 v1, s6, v0
	s_waitcnt lgkmcnt(0)
	s_add_u32 s0, s0, s8
	s_addc_u32 s1, s1, s9
	s_load_dwordx2 s[10:11], s[0:1], 0x0
	s_mov_b32 s0, exec_lo
	v_cmpx_eq_u32_e32 0, v1
	s_cbranch_execz .LBB38_2
; %bb.1:
	v_mov_b32_e32 v1, 0
	v_mov_b32_e32 v2, s30
	global_store_dword v1, v2, s[2:3]
.LBB38_2:
	s_or_b32 exec_lo, exec_lo, s0
	s_clause 0x1
	s_load_dword s31, s[4:5], 0x18
	s_load_dwordx2 s[18:19], s[4:5], 0x38
	v_mov_b32_e32 v17, 0
	v_lshrrev_b32_e32 v16, 5, v0
	v_lshlrev_b32_e32 v45, 2, v16
	s_waitcnt lgkmcnt(0)
	s_sub_i32 s20, s10, s31
	s_sub_i32 s33, s11, s31
	s_mul_i32 s7, s18, s19
	s_mul_hi_u32 s1, s18, s18
	s_mul_i32 s8, s19, s6
	s_mul_hi_u32 s9, s18, s6
	s_mul_i32 s0, s18, s6
	s_add_i32 s6, s1, s7
	s_sub_i32 s88, s33, s20
	s_add_i32 s1, s9, s8
	s_add_i32 s27, s6, s7
	s_mul_i32 s15, s18, s88
	s_lshl_b64 s[6:7], s[0:1], 2
	v_cmp_gt_i64_e64 s0, s[18:19], v[16:17]
	s_mul_i32 s26, s18, s18
	s_add_i32 s16, s30, s15
	s_add_u32 s12, s2, s6
	s_mul_i32 s14, s26, s20
	s_addc_u32 s13, s3, s7
	s_and_saveexec_b32 s1, s0
	s_cbranch_execz .LBB38_4
; %bb.3:
	v_mul_lo_u32 v1, v16, s15
	v_add3_u32 v1, s16, s14, v1
	global_store_dword v45, v1, s[12:13] offset:4
.LBB38_4:
	s_or_b32 exec_lo, exec_lo, s1
	v_or_b32_e32 v18, 32, v16
	v_mov_b32_e32 v19, v17
	v_cmp_gt_i64_e64 s1, s[18:19], v[18:19]
	s_and_saveexec_b32 s2, s1
	s_cbranch_execz .LBB38_6
; %bb.5:
	v_mul_lo_u32 v1, v18, s15
	v_add3_u32 v1, s16, s14, v1
	global_store_dword v45, v1, s[12:13] offset:132
.LBB38_6:
	s_or_b32 exec_lo, exec_lo, s2
	v_or_b32_e32 v19, 64, v16
	v_mov_b32_e32 v20, v17
	v_cmp_gt_i64_e64 s2, s[18:19], v[19:20]
	s_and_saveexec_b32 s3, s2
	s_cbranch_execz .LBB38_8
; %bb.7:
	v_mul_lo_u32 v1, v19, s15
	v_add3_u32 v1, s16, s14, v1
	global_store_dword v45, v1, s[12:13] offset:260
.LBB38_8:
	s_or_b32 exec_lo, exec_lo, s3
	v_or_b32_e32 v20, 0x60, v16
	v_mov_b32_e32 v21, v17
	v_cmp_gt_i64_e64 s3, s[18:19], v[20:21]
	s_and_saveexec_b32 s6, s3
	s_cbranch_execz .LBB38_10
; %bb.9:
	v_mul_lo_u32 v1, v20, s15
	v_add3_u32 v1, s16, s14, v1
	global_store_dword v45, v1, s[12:13] offset:388
.LBB38_10:
	s_or_b32 exec_lo, exec_lo, s6
	v_or_b32_e32 v21, 0x80, v16
	v_mov_b32_e32 v22, v17
	v_cmp_gt_i64_e64 s6, s[18:19], v[21:22]
	s_and_saveexec_b32 s7, s6
	s_cbranch_execz .LBB38_12
; %bb.11:
	v_mul_lo_u32 v1, v21, s15
	v_add3_u32 v1, s16, s14, v1
	global_store_dword v45, v1, s[12:13] offset:516
.LBB38_12:
	s_or_b32 exec_lo, exec_lo, s7
	v_or_b32_e32 v22, 0xa0, v16
	v_mov_b32_e32 v23, v17
	v_cmp_gt_i64_e64 s7, s[18:19], v[22:23]
	s_and_saveexec_b32 s8, s7
	s_cbranch_execz .LBB38_14
; %bb.13:
	v_mul_lo_u32 v1, v22, s15
	v_add3_u32 v1, s16, s14, v1
	global_store_dword v45, v1, s[12:13] offset:644
.LBB38_14:
	s_or_b32 exec_lo, exec_lo, s8
	v_or_b32_e32 v23, 0xc0, v16
	v_mov_b32_e32 v24, v17
	v_cmp_gt_i64_e64 s8, s[18:19], v[23:24]
	s_and_saveexec_b32 s9, s8
	s_cbranch_execz .LBB38_16
; %bb.15:
	v_mul_lo_u32 v1, v23, s15
	v_add3_u32 v1, s16, s14, v1
	global_store_dword v45, v1, s[12:13] offset:772
.LBB38_16:
	s_or_b32 exec_lo, exec_lo, s9
	v_or_b32_e32 v24, 0xe0, v16
	v_mov_b32_e32 v25, v17
	v_cmp_gt_i64_e64 s9, s[18:19], v[24:25]
	s_and_saveexec_b32 s17, s9
	s_cbranch_execz .LBB38_18
; %bb.17:
	v_mul_lo_u32 v1, v24, s15
	v_add3_u32 v1, s16, s14, v1
	global_store_dword v45, v1, s[12:13] offset:900
.LBB38_18:
	s_or_b32 exec_lo, exec_lo, s17
	s_cmp_lt_i32 s10, s11
	s_cbranch_scc0 .LBB38_149
; %bb.19:
	s_load_dword s12, s[4:5], 0x0
	v_and_b32_e32 v0, 31, v0
	v_mov_b32_e32 v1, 0
	s_clause 0x3
	s_load_dwordx2 s[28:29], s[4:5], 0x30
	s_load_dwordx2 s[22:23], s[4:5], 0x48
	;; [unrolled: 1-line block ×4, first 2 shown]
	v_or_b32_e32 v2, 32, v0
	v_mov_b32_e32 v3, v1
	v_or_b32_e32 v4, 64, v0
	v_mov_b32_e32 v5, v1
	;; [unrolled: 2-line block ×7, first 2 shown]
	v_cmp_gt_i64_e64 s10, s[18:19], v[0:1]
	v_cmp_gt_i64_e64 s11, s[18:19], v[2:3]
	s_waitcnt lgkmcnt(0)
	s_cmp_eq_u32 s12, 0
	v_cmp_gt_i64_e64 s12, s[18:19], v[4:5]
	v_cmp_gt_i64_e64 s13, s[18:19], v[6:7]
	;; [unrolled: 1-line block ×6, first 2 shown]
	s_cselect_b32 vcc_lo, -1, 0
	s_and_b32 s65, s6, s10
	s_and_b32 s66, s6, s11
	;; [unrolled: 1-line block ×8, first 2 shown]
	s_mul_i32 s6, s18, s20
	s_ashr_i32 s21, s20, 31
	v_mad_u64_u32 v[47:48], null, v24, s88, s[6:7]
	v_mad_u64_u32 v[48:49], null, v23, s88, s[6:7]
	;; [unrolled: 1-line block ×5, first 2 shown]
	s_and_b32 s49, s2, s10
	s_and_b32 s50, s2, s11
	;; [unrolled: 1-line block ×16, first 2 shown]
	v_mad_u64_u32 v[52:53], null, v19, s88, s[6:7]
	s_lshl_b64 s[2:3], s[20:21], 3
	s_and_b32 s34, s0, s10
	s_and_b32 s35, s0, s11
	;; [unrolled: 1-line block ×40, first 2 shown]
	v_mad_u64_u32 v[53:54], null, v18, s88, s[6:7]
	s_mul_hi_u32 s0, s18, s20
	s_mul_i32 s7, s18, s21
	s_add_u32 s2, s28, s2
	s_addc_u32 s3, s29, s3
	s_add_i32 s0, s0, s7
	s_mul_i32 s7, s19, s20
	v_lshlrev_b32_e32 v29, 2, v0
	v_mad_u64_u32 v[54:55], null, v16, s88, s[6:7]
	s_add_i32 s7, s0, s7
	v_mov_b32_e32 v30, v1
	s_lshl_b64 s[6:7], s[6:7], 2
	v_mov_b32_e32 v46, v1
	v_add_co_u32 v3, s0, s6, v45
	v_add_co_ci_u32_e64 v5, null, s7, 0, s0
	v_mul_lo_u32 v63, s18, v52
	v_add_co_u32 v7, s0, 0x380, v3
	v_add_co_ci_u32_e64 v9, null, 0, v5, s0
	v_mul_lo_u32 v65, s18, v53
	v_mul_lo_u32 v11, s19, v7
	v_mad_u64_u32 v[15:16], null, s18, v7, v[29:30]
	v_add_co_u32 v7, s0, 0x300, v3
	v_add_co_ci_u32_e64 v13, null, 0, v5, s0
	v_add_co_u32 v19, s0, 0x280, v3
	v_add_co_ci_u32_e64 v20, null, 0, v5, s0
	v_mul_lo_u32 v21, s19, v7
	v_mad_u64_u32 v[17:18], null, s18, v7, v[29:30]
	v_mul_lo_u32 v7, s18, v20
	v_mul_lo_u32 v22, s19, v19
	v_mad_u64_u32 v[19:20], null, s18, v19, v[29:30]
	v_mul_lo_u32 v9, s18, v9
	v_mul_lo_u32 v13, s18, v13
	;; [unrolled: 1-line block ×3, first 2 shown]
	v_mov_b32_e32 v64, v1
	v_mov_b32_e32 v66, v1
	;; [unrolled: 1-line block ×3, first 2 shown]
	v_add3_u32 v20, v22, v20, v7
	v_add_co_u32 v7, s0, 0x200, v3
	v_add3_u32 v16, v11, v16, v9
	v_add_co_ci_u32_e64 v9, null, 0, v5, s0
	v_add_co_u32 v11, s0, 0x180, v3
	v_add3_u32 v18, v21, v18, v13
	v_add_co_ci_u32_e64 v13, null, 0, v5, s0
	v_mul_lo_u32 v31, s19, v7
	v_mad_u64_u32 v[21:22], null, s18, v7, v[29:30]
	v_mul_lo_u32 v7, s18, v13
	v_mul_lo_u32 v13, s19, v11
	v_mad_u64_u32 v[23:24], null, s18, v11, v[29:30]
	v_mul_lo_u32 v9, s18, v9
	v_add_co_u32 v11, s0, 0x100, v3
	v_add_co_ci_u32_e64 v25, null, 0, v5, s0
	v_add_co_u32 v27, s0, 0x80, v3
	v_add_co_ci_u32_e64 v28, null, 0, v5, s0
	v_add3_u32 v24, v13, v24, v7
	v_add_co_u32 v7, s0, s6, v29
	v_add3_u32 v22, v31, v22, v9
	v_add_co_ci_u32_e64 v9, null, s7, 0, s0
	v_mul_lo_u32 v33, s18, v25
	v_mul_lo_u32 v34, s19, v11
	v_mad_u64_u32 v[25:26], null, s18, v11, v[29:30]
	v_mul_lo_u32 v11, s18, v28
	v_mul_lo_u32 v35, s19, v27
	v_mad_u64_u32 v[27:28], null, s18, v27, v[29:30]
	v_mul_lo_u32 v13, s19, v3
	v_mad_u64_u32 v[29:30], null, s18, v3, v[29:30]
	v_mul_lo_u32 v3, s18, v9
	v_mul_lo_u32 v38, s19, v7
	v_mad_u64_u32 v[31:32], null, s18, v7, v[45:46]
	v_mul_lo_u32 v5, s18, v5
	v_add_co_u32 v36, s0, 0x80, v7
	v_add_co_ci_u32_e64 v37, null, 0, v9, s0
	v_add3_u32 v26, v34, v26, v33
	v_add3_u32 v32, v38, v32, v3
	v_add_co_u32 v3, s0, 0x100, v7
	v_mul_lo_u32 v37, s18, v37
	v_mul_lo_u32 v39, s19, v36
	v_mad_u64_u32 v[33:34], null, s18, v36, v[45:46]
	v_add3_u32 v28, v35, v28, v11
	v_add3_u32 v30, v13, v30, v5
	v_add_co_ci_u32_e64 v5, null, 0, v9, s0
	v_add_co_u32 v11, s0, 0x180, v7
	v_add_co_ci_u32_e64 v13, null, 0, v9, s0
	v_add3_u32 v34, v39, v34, v37
	v_mul_lo_u32 v55, s19, v3
	v_mad_u64_u32 v[35:36], null, s18, v3, v[45:46]
	v_mul_lo_u32 v3, s18, v13
	v_mul_lo_u32 v13, s19, v11
	v_mad_u64_u32 v[37:38], null, s18, v11, v[45:46]
	v_add_co_u32 v11, s0, 0x200, v7
	v_add_co_ci_u32_e64 v39, null, 0, v9, s0
	v_add_co_u32 v41, s0, 0x280, v7
	v_add_co_ci_u32_e64 v42, null, 0, v9, s0
	v_add_co_u32 v43, s0, 0x300, v7
	v_add_co_ci_u32_e64 v44, null, 0, v9, s0
	v_add_co_u32 v7, s0, 0x380, v7
	v_add_co_ci_u32_e64 v9, null, 0, v9, s0
	v_mul_lo_u32 v5, s18, v5
	v_mul_lo_u32 v56, s18, v39
	v_mul_lo_u32 v57, s19, v11
	v_mad_u64_u32 v[39:40], null, s18, v11, v[45:46]
	v_mul_lo_u32 v11, s18, v42
	v_mul_lo_u32 v58, s19, v41
	v_mad_u64_u32 v[41:42], null, s18, v41, v[45:46]
	v_mul_lo_u32 v59, s18, v44
	v_mul_lo_u32 v60, s19, v43
	v_mad_u64_u32 v[43:44], null, s18, v43, v[45:46]
	v_mul_lo_u32 v9, s18, v9
	v_mad_u64_u32 v[45:46], null, s18, v7, v[45:46]
	v_mul_lo_u32 v7, s19, v7
	v_add3_u32 v36, v55, v36, v5
	v_add3_u32 v38, v13, v38, v3
	;; [unrolled: 1-line block ×3, first 2 shown]
	v_mul_lo_u32 v3, s18, v47
	v_mul_lo_u32 v5, s18, v48
	v_mul_lo_u32 v11, s18, v51
	v_add3_u32 v40, v57, v40, v56
	v_add3_u32 v46, v7, v46, v9
	v_mul_lo_u32 v7, s18, v49
	v_mul_lo_u32 v9, s18, v50
	v_add3_u32 v44, v60, v44, v59
	v_mov_b32_e32 v13, v0
	v_mov_b32_e32 v69, v1
	;; [unrolled: 1-line block ×5, first 2 shown]
	s_mov_b32 s17, s18
	s_lshl_b64 s[6:7], s[26:27], 2
	s_branch .LBB38_21
.LBB38_20:                              ;   in Loop: Header=BB38_21 Depth=1
	s_or_b32 exec_lo, exec_lo, s21
	v_add_co_u32 v64, s0, v64, 0
	v_add_co_ci_u32_e64 v3, null, s17, v3, s0
	v_add_co_u32 v66, s0, v66, 0
	v_add_co_ci_u32_e64 v5, null, s17, v5, s0
	;; [unrolled: 2-line block ×6, first 2 shown]
	v_add_co_u32 v72, s0, v72, 0
	s_add_i32 s20, s20, 1
	v_add_co_ci_u32_e64 v65, null, s17, v65, s0
	v_add_co_u32 v1, s0, v1, 0
	s_add_u32 s2, s2, 8
	v_add_co_ci_u32_e64 v67, null, s17, v67, s0
	s_addc_u32 s3, s3, 0
	s_add_u32 s24, s24, s6
	s_addc_u32 s25, s25, s7
	s_cmp_ge_i32 s20, s33
	s_cbranch_scc1 .LBB38_149
.LBB38_21:                              ; =>This Inner Loop Header: Depth=1
	s_load_dwordx2 s[26:27], s[2:3], 0x0
	s_waitcnt lgkmcnt(0)
	s_sub_u32 s0, s26, s31
	s_subb_u32 s21, s27, 0
	s_mul_i32 s26, s0, s19
	s_mul_hi_u32 s27, s0, s18
	s_mul_i32 s21, s21, s18
	s_add_i32 s26, s27, s26
	s_mul_i32 s0, s0, s18
	s_add_i32 s26, s26, s21
	s_add_u32 s21, s0, s30
	s_addc_u32 s26, s26, 0
	v_add_co_u32 v59, s0, s21, v0
	v_add_co_ci_u32_e64 v60, null, s26, 0, s0
	s_and_saveexec_b32 s27, s34
	s_cbranch_execz .LBB38_23
; %bb.22:                               ;   in Loop: Header=BB38_21 Depth=1
	v_add_co_u32 v47, s0, s24, v29
	v_add_co_ci_u32_e64 v48, null, s25, v30, s0
	v_add_co_u32 v49, s0, s24, v31
	v_add_co_ci_u32_e64 v50, null, s25, v32, s0
	v_cndmask_b32_e32 v47, v49, v47, vcc_lo
	v_cndmask_b32_e32 v48, v50, v48, vcc_lo
	global_load_dword v51, v[47:48], off
	v_add_co_u32 v47, s0, 0, v1
	v_add_co_ci_u32_e64 v48, null, v13, v67, s0
	v_ashrrev_i64 v[49:50], 29, v[47:48]
	v_ashrrev_i64 v[47:48], 30, v[47:48]
	v_add_co_u32 v49, s0, s4, v49
	v_add_co_ci_u32_e64 v50, null, s5, v50, s0
	v_add_co_u32 v47, s0, s22, v47
	v_add_co_ci_u32_e64 v48, null, s23, v48, s0
	global_store_dwordx2 v[49:50], v[59:60], off
	s_waitcnt vmcnt(0)
	global_store_dword v[47:48], v51, off
.LBB38_23:                              ;   in Loop: Header=BB38_21 Depth=1
	s_or_b32 exec_lo, exec_lo, s27
	v_add_co_u32 v47, s0, s21, v2
	v_add_co_ci_u32_e64 v48, null, s26, 0, s0
	s_and_saveexec_b32 s27, s35
	s_cbranch_execz .LBB38_25
; %bb.24:                               ;   in Loop: Header=BB38_21 Depth=1
	v_add_co_u32 v49, s0, s24, v29
	v_add_co_ci_u32_e64 v50, null, s25, v30, s0
	v_add_co_u32 v49, s0, 0x80, v49
	v_add_co_ci_u32_e64 v50, null, 0, v50, s0
	v_add_co_u32 v51, s0, s24, v33
	v_add_co_ci_u32_e64 v52, null, s25, v34, s0
	v_cndmask_b32_e32 v49, v51, v49, vcc_lo
	v_cndmask_b32_e32 v50, v52, v50, vcc_lo
	global_load_dword v53, v[49:50], off
	v_add_co_u32 v49, s0, 0, v1
	v_add_co_ci_u32_e64 v50, null, v13, v67, s0
	v_add_nc_u32_e32 v50, 32, v50
	v_ashrrev_i64 v[51:52], 29, v[49:50]
	v_ashrrev_i64 v[49:50], 30, v[49:50]
	v_add_co_u32 v51, s0, s4, v51
	v_add_co_ci_u32_e64 v52, null, s5, v52, s0
	v_add_co_u32 v49, s0, s22, v49
	v_add_co_ci_u32_e64 v50, null, s23, v50, s0
	global_store_dwordx2 v[51:52], v[47:48], off
	s_waitcnt vmcnt(0)
	global_store_dword v[49:50], v53, off
.LBB38_25:                              ;   in Loop: Header=BB38_21 Depth=1
	s_or_b32 exec_lo, exec_lo, s27
	v_add_co_u32 v49, s0, s21, v4
	v_add_co_ci_u32_e64 v50, null, s26, 0, s0
	s_and_saveexec_b32 s27, s36
	s_cbranch_execz .LBB38_27
; %bb.26:                               ;   in Loop: Header=BB38_21 Depth=1
	v_add_co_u32 v51, s0, s24, v29
	v_add_co_ci_u32_e64 v52, null, s25, v30, s0
	v_add_co_u32 v51, s0, 0x100, v51
	v_add_co_ci_u32_e64 v52, null, 0, v52, s0
	v_add_co_u32 v53, s0, s24, v35
	v_add_co_ci_u32_e64 v54, null, s25, v36, s0
	v_cndmask_b32_e32 v51, v53, v51, vcc_lo
	v_cndmask_b32_e32 v52, v54, v52, vcc_lo
	global_load_dword v55, v[51:52], off
	v_add_co_u32 v51, s0, 0, v1
	v_add_co_ci_u32_e64 v52, null, v13, v67, s0
	v_add_nc_u32_e32 v52, 64, v52
	v_ashrrev_i64 v[53:54], 29, v[51:52]
	v_ashrrev_i64 v[51:52], 30, v[51:52]
	v_add_co_u32 v53, s0, s4, v53
	v_add_co_ci_u32_e64 v54, null, s5, v54, s0
	v_add_co_u32 v51, s0, s22, v51
	v_add_co_ci_u32_e64 v52, null, s23, v52, s0
	global_store_dwordx2 v[53:54], v[49:50], off
	s_waitcnt vmcnt(0)
	global_store_dword v[51:52], v55, off
.LBB38_27:                              ;   in Loop: Header=BB38_21 Depth=1
	;; [unrolled: 28-line block ×6, first 2 shown]
	s_or_b32 exec_lo, exec_lo, s27
	v_add_co_u32 v61, s0, s21, v14
	v_add_co_ci_u32_e64 v62, null, s26, 0, s0
	s_and_saveexec_b32 s21, s41
	s_cbranch_execnz .LBB38_92
; %bb.36:                               ;   in Loop: Header=BB38_21 Depth=1
	s_or_b32 exec_lo, exec_lo, s21
	s_and_saveexec_b32 s21, s42
	s_cbranch_execnz .LBB38_93
.LBB38_37:                              ;   in Loop: Header=BB38_21 Depth=1
	s_or_b32 exec_lo, exec_lo, s21
	s_and_saveexec_b32 s21, s43
	s_cbranch_execnz .LBB38_94
.LBB38_38:                              ;   in Loop: Header=BB38_21 Depth=1
	s_or_b32 exec_lo, exec_lo, s21
	s_and_saveexec_b32 s21, s44
	s_cbranch_execnz .LBB38_95
.LBB38_39:                              ;   in Loop: Header=BB38_21 Depth=1
	s_or_b32 exec_lo, exec_lo, s21
	s_and_saveexec_b32 s21, s45
	s_cbranch_execnz .LBB38_96
.LBB38_40:                              ;   in Loop: Header=BB38_21 Depth=1
	s_or_b32 exec_lo, exec_lo, s21
	s_and_saveexec_b32 s21, s46
	s_cbranch_execnz .LBB38_97
.LBB38_41:                              ;   in Loop: Header=BB38_21 Depth=1
	s_or_b32 exec_lo, exec_lo, s21
	s_and_saveexec_b32 s21, s47
	s_cbranch_execnz .LBB38_98
.LBB38_42:                              ;   in Loop: Header=BB38_21 Depth=1
	s_or_b32 exec_lo, exec_lo, s21
	s_and_saveexec_b32 s21, s48
	s_cbranch_execnz .LBB38_99
.LBB38_43:                              ;   in Loop: Header=BB38_21 Depth=1
	s_or_b32 exec_lo, exec_lo, s21
	s_and_saveexec_b32 s21, s1
	s_cbranch_execnz .LBB38_100
.LBB38_44:                              ;   in Loop: Header=BB38_21 Depth=1
	s_or_b32 exec_lo, exec_lo, s21
	s_and_saveexec_b32 s21, s49
	s_cbranch_execnz .LBB38_101
.LBB38_45:                              ;   in Loop: Header=BB38_21 Depth=1
	s_or_b32 exec_lo, exec_lo, s21
	s_and_saveexec_b32 s21, s50
	s_cbranch_execnz .LBB38_102
.LBB38_46:                              ;   in Loop: Header=BB38_21 Depth=1
	s_or_b32 exec_lo, exec_lo, s21
	s_and_saveexec_b32 s21, s51
	s_cbranch_execnz .LBB38_103
.LBB38_47:                              ;   in Loop: Header=BB38_21 Depth=1
	s_or_b32 exec_lo, exec_lo, s21
	s_and_saveexec_b32 s21, s52
	s_cbranch_execnz .LBB38_104
.LBB38_48:                              ;   in Loop: Header=BB38_21 Depth=1
	s_or_b32 exec_lo, exec_lo, s21
	s_and_saveexec_b32 s21, s53
	s_cbranch_execnz .LBB38_105
.LBB38_49:                              ;   in Loop: Header=BB38_21 Depth=1
	s_or_b32 exec_lo, exec_lo, s21
	s_and_saveexec_b32 s21, s54
	s_cbranch_execnz .LBB38_106
.LBB38_50:                              ;   in Loop: Header=BB38_21 Depth=1
	s_or_b32 exec_lo, exec_lo, s21
	s_and_saveexec_b32 s21, s55
	s_cbranch_execnz .LBB38_107
.LBB38_51:                              ;   in Loop: Header=BB38_21 Depth=1
	s_or_b32 exec_lo, exec_lo, s21
	s_and_saveexec_b32 s21, s56
	s_cbranch_execnz .LBB38_108
.LBB38_52:                              ;   in Loop: Header=BB38_21 Depth=1
	s_or_b32 exec_lo, exec_lo, s21
	s_and_saveexec_b32 s21, s57
	s_cbranch_execnz .LBB38_109
.LBB38_53:                              ;   in Loop: Header=BB38_21 Depth=1
	s_or_b32 exec_lo, exec_lo, s21
	s_and_saveexec_b32 s21, s58
	s_cbranch_execnz .LBB38_110
.LBB38_54:                              ;   in Loop: Header=BB38_21 Depth=1
	s_or_b32 exec_lo, exec_lo, s21
	s_and_saveexec_b32 s21, s59
	s_cbranch_execnz .LBB38_111
.LBB38_55:                              ;   in Loop: Header=BB38_21 Depth=1
	s_or_b32 exec_lo, exec_lo, s21
	s_and_saveexec_b32 s21, s60
	s_cbranch_execnz .LBB38_112
.LBB38_56:                              ;   in Loop: Header=BB38_21 Depth=1
	s_or_b32 exec_lo, exec_lo, s21
	s_and_saveexec_b32 s21, s61
	s_cbranch_execnz .LBB38_113
.LBB38_57:                              ;   in Loop: Header=BB38_21 Depth=1
	s_or_b32 exec_lo, exec_lo, s21
	s_and_saveexec_b32 s21, s62
	s_cbranch_execnz .LBB38_114
.LBB38_58:                              ;   in Loop: Header=BB38_21 Depth=1
	s_or_b32 exec_lo, exec_lo, s21
	s_and_saveexec_b32 s21, s63
	s_cbranch_execnz .LBB38_115
.LBB38_59:                              ;   in Loop: Header=BB38_21 Depth=1
	s_or_b32 exec_lo, exec_lo, s21
	s_and_saveexec_b32 s21, s64
	s_cbranch_execnz .LBB38_116
.LBB38_60:                              ;   in Loop: Header=BB38_21 Depth=1
	s_or_b32 exec_lo, exec_lo, s21
	s_and_saveexec_b32 s21, s65
	s_cbranch_execnz .LBB38_117
.LBB38_61:                              ;   in Loop: Header=BB38_21 Depth=1
	s_or_b32 exec_lo, exec_lo, s21
	s_and_saveexec_b32 s21, s66
	s_cbranch_execnz .LBB38_118
.LBB38_62:                              ;   in Loop: Header=BB38_21 Depth=1
	s_or_b32 exec_lo, exec_lo, s21
	s_and_saveexec_b32 s21, s67
	s_cbranch_execnz .LBB38_119
.LBB38_63:                              ;   in Loop: Header=BB38_21 Depth=1
	s_or_b32 exec_lo, exec_lo, s21
	s_and_saveexec_b32 s21, s68
	s_cbranch_execnz .LBB38_120
.LBB38_64:                              ;   in Loop: Header=BB38_21 Depth=1
	s_or_b32 exec_lo, exec_lo, s21
	s_and_saveexec_b32 s21, s69
	s_cbranch_execnz .LBB38_121
.LBB38_65:                              ;   in Loop: Header=BB38_21 Depth=1
	s_or_b32 exec_lo, exec_lo, s21
	s_and_saveexec_b32 s21, s70
	s_cbranch_execnz .LBB38_122
.LBB38_66:                              ;   in Loop: Header=BB38_21 Depth=1
	s_or_b32 exec_lo, exec_lo, s21
	s_and_saveexec_b32 s21, s71
	s_cbranch_execnz .LBB38_123
.LBB38_67:                              ;   in Loop: Header=BB38_21 Depth=1
	s_or_b32 exec_lo, exec_lo, s21
	s_and_saveexec_b32 s21, s72
	s_cbranch_execnz .LBB38_124
.LBB38_68:                              ;   in Loop: Header=BB38_21 Depth=1
	s_or_b32 exec_lo, exec_lo, s21
	s_and_saveexec_b32 s21, s73
	s_cbranch_execnz .LBB38_125
.LBB38_69:                              ;   in Loop: Header=BB38_21 Depth=1
	s_or_b32 exec_lo, exec_lo, s21
	s_and_saveexec_b32 s21, s74
	s_cbranch_execnz .LBB38_126
.LBB38_70:                              ;   in Loop: Header=BB38_21 Depth=1
	s_or_b32 exec_lo, exec_lo, s21
	s_and_saveexec_b32 s21, s75
	s_cbranch_execnz .LBB38_127
.LBB38_71:                              ;   in Loop: Header=BB38_21 Depth=1
	s_or_b32 exec_lo, exec_lo, s21
	s_and_saveexec_b32 s21, s76
	s_cbranch_execnz .LBB38_128
.LBB38_72:                              ;   in Loop: Header=BB38_21 Depth=1
	s_or_b32 exec_lo, exec_lo, s21
	s_and_saveexec_b32 s21, s77
	s_cbranch_execnz .LBB38_129
.LBB38_73:                              ;   in Loop: Header=BB38_21 Depth=1
	s_or_b32 exec_lo, exec_lo, s21
	s_and_saveexec_b32 s21, s78
	s_cbranch_execnz .LBB38_130
.LBB38_74:                              ;   in Loop: Header=BB38_21 Depth=1
	s_or_b32 exec_lo, exec_lo, s21
	s_and_saveexec_b32 s21, s79
	s_cbranch_execnz .LBB38_131
.LBB38_75:                              ;   in Loop: Header=BB38_21 Depth=1
	s_or_b32 exec_lo, exec_lo, s21
	s_and_saveexec_b32 s21, s80
	s_cbranch_execnz .LBB38_132
.LBB38_76:                              ;   in Loop: Header=BB38_21 Depth=1
	s_or_b32 exec_lo, exec_lo, s21
	s_and_saveexec_b32 s21, s81
	s_cbranch_execnz .LBB38_133
.LBB38_77:                              ;   in Loop: Header=BB38_21 Depth=1
	s_or_b32 exec_lo, exec_lo, s21
	s_and_saveexec_b32 s21, s82
	s_cbranch_execnz .LBB38_134
.LBB38_78:                              ;   in Loop: Header=BB38_21 Depth=1
	s_or_b32 exec_lo, exec_lo, s21
	s_and_saveexec_b32 s21, s83
	s_cbranch_execnz .LBB38_135
.LBB38_79:                              ;   in Loop: Header=BB38_21 Depth=1
	s_or_b32 exec_lo, exec_lo, s21
	s_and_saveexec_b32 s21, s84
	s_cbranch_execnz .LBB38_136
.LBB38_80:                              ;   in Loop: Header=BB38_21 Depth=1
	s_or_b32 exec_lo, exec_lo, s21
	s_and_saveexec_b32 s21, s85
	s_cbranch_execnz .LBB38_137
.LBB38_81:                              ;   in Loop: Header=BB38_21 Depth=1
	s_or_b32 exec_lo, exec_lo, s21
	s_and_saveexec_b32 s21, s86
	s_cbranch_execnz .LBB38_138
.LBB38_82:                              ;   in Loop: Header=BB38_21 Depth=1
	s_or_b32 exec_lo, exec_lo, s21
	s_and_saveexec_b32 s21, s87
	s_cbranch_execnz .LBB38_139
.LBB38_83:                              ;   in Loop: Header=BB38_21 Depth=1
	s_or_b32 exec_lo, exec_lo, s21
	s_and_saveexec_b32 s21, s8
	s_cbranch_execnz .LBB38_140
.LBB38_84:                              ;   in Loop: Header=BB38_21 Depth=1
	s_or_b32 exec_lo, exec_lo, s21
	s_and_saveexec_b32 s21, s10
	s_cbranch_execnz .LBB38_141
.LBB38_85:                              ;   in Loop: Header=BB38_21 Depth=1
	s_or_b32 exec_lo, exec_lo, s21
	s_and_saveexec_b32 s21, s11
	s_cbranch_execnz .LBB38_142
.LBB38_86:                              ;   in Loop: Header=BB38_21 Depth=1
	s_or_b32 exec_lo, exec_lo, s21
	s_and_saveexec_b32 s21, s12
	s_cbranch_execnz .LBB38_143
.LBB38_87:                              ;   in Loop: Header=BB38_21 Depth=1
	s_or_b32 exec_lo, exec_lo, s21
	s_and_saveexec_b32 s21, s13
	s_cbranch_execnz .LBB38_144
.LBB38_88:                              ;   in Loop: Header=BB38_21 Depth=1
	s_or_b32 exec_lo, exec_lo, s21
	s_and_saveexec_b32 s21, s14
	s_cbranch_execnz .LBB38_145
.LBB38_89:                              ;   in Loop: Header=BB38_21 Depth=1
	s_or_b32 exec_lo, exec_lo, s21
	s_and_saveexec_b32 s21, s15
	s_cbranch_execnz .LBB38_146
.LBB38_90:                              ;   in Loop: Header=BB38_21 Depth=1
	s_or_b32 exec_lo, exec_lo, s21
	s_and_saveexec_b32 s21, s16
	s_cbranch_execnz .LBB38_147
.LBB38_91:                              ;   in Loop: Header=BB38_21 Depth=1
	s_or_b32 exec_lo, exec_lo, s21
	s_and_saveexec_b32 s21, s9
	s_cbranch_execz .LBB38_20
	s_branch .LBB38_148
.LBB38_92:                              ;   in Loop: Header=BB38_21 Depth=1
	v_add_co_u32 v73, s0, s24, v29
	v_add_co_ci_u32_e64 v74, null, s25, v30, s0
	v_add_co_u32 v73, s0, 0x380, v73
	v_add_co_ci_u32_e64 v74, null, 0, v74, s0
	;; [unrolled: 2-line block ×3, first 2 shown]
	v_cndmask_b32_e32 v73, v75, v73, vcc_lo
	v_cndmask_b32_e32 v74, v76, v74, vcc_lo
	global_load_dword v77, v[73:74], off
	v_add_co_u32 v73, s0, 0, v1
	v_add_co_ci_u32_e64 v74, null, v13, v67, s0
	v_add_nc_u32_e32 v74, 0xe0, v74
	v_ashrrev_i64 v[75:76], 29, v[73:74]
	v_ashrrev_i64 v[73:74], 30, v[73:74]
	v_add_co_u32 v75, s0, s4, v75
	v_add_co_ci_u32_e64 v76, null, s5, v76, s0
	v_add_co_u32 v73, s0, s22, v73
	v_add_co_ci_u32_e64 v74, null, s23, v74, s0
	global_store_dwordx2 v[75:76], v[61:62], off
	s_waitcnt vmcnt(0)
	global_store_dword v[73:74], v77, off
	s_or_b32 exec_lo, exec_lo, s21
	s_and_saveexec_b32 s21, s42
	s_cbranch_execz .LBB38_37
.LBB38_93:                              ;   in Loop: Header=BB38_21 Depth=1
	v_add_co_u32 v73, s0, s24, v31
	v_add_co_ci_u32_e64 v74, null, s25, v32, s0
	v_add_co_u32 v75, s0, s24, v27
	v_add_co_ci_u32_e64 v76, null, s25, v28, s0
	;; [unrolled: 2-line block ×3, first 2 shown]
	v_cndmask_b32_e32 v73, v73, v75, vcc_lo
	v_cndmask_b32_e32 v74, v74, v76, vcc_lo
	global_load_dword v77, v[73:74], off
	v_add_co_u32 v73, s0, 0, v72
	v_add_co_ci_u32_e64 v74, null, v13, v65, s0
	v_ashrrev_i64 v[75:76], 29, v[73:74]
	v_ashrrev_i64 v[73:74], 30, v[73:74]
	v_add_co_u32 v75, s0, s4, v75
	v_add_co_ci_u32_e64 v76, null, s5, v76, s0
	v_add_co_u32 v73, s0, s22, v73
	v_add_co_ci_u32_e64 v74, null, s23, v74, s0
	global_store_dwordx2 v[75:76], v[59:60], off
	s_waitcnt vmcnt(0)
	global_store_dword v[73:74], v77, off
	s_or_b32 exec_lo, exec_lo, s21
	s_and_saveexec_b32 s21, s43
	s_cbranch_execz .LBB38_38
.LBB38_94:                              ;   in Loop: Header=BB38_21 Depth=1
	v_add_co_u32 v73, s0, s24, v27
	v_add_co_ci_u32_e64 v74, null, s25, v28, s0
	v_add_co_u32 v75, s0, s24, v33
	v_add_co_ci_u32_e64 v76, null, s25, v34, s0
	v_cndmask_b32_e32 v73, v75, v73, vcc_lo
	v_cndmask_b32_e32 v74, v76, v74, vcc_lo
	global_load_dword v77, v[73:74], off offset:128
	v_add_co_u32 v73, s0, 0, v72
	v_add_co_ci_u32_e64 v74, null, v13, v65, s0
	v_add_nc_u32_e32 v74, 32, v74
	v_ashrrev_i64 v[75:76], 29, v[73:74]
	v_ashrrev_i64 v[73:74], 30, v[73:74]
	v_add_co_u32 v75, s0, s4, v75
	v_add_co_ci_u32_e64 v76, null, s5, v76, s0
	v_add_co_u32 v73, s0, s22, v73
	v_add_co_ci_u32_e64 v74, null, s23, v74, s0
	global_store_dwordx2 v[75:76], v[47:48], off
	s_waitcnt vmcnt(0)
	global_store_dword v[73:74], v77, off
	s_or_b32 exec_lo, exec_lo, s21
	s_and_saveexec_b32 s21, s44
	s_cbranch_execz .LBB38_39
.LBB38_95:                              ;   in Loop: Header=BB38_21 Depth=1
	v_add_co_u32 v73, s0, s24, v27
	v_add_co_ci_u32_e64 v74, null, s25, v28, s0
	v_add_co_u32 v75, s0, s24, v35
	v_add_co_ci_u32_e64 v76, null, s25, v36, s0
	;; [unrolled: 2-line block ×4, first 2 shown]
	v_cndmask_b32_e32 v73, v75, v73, vcc_lo
	v_cndmask_b32_e32 v74, v76, v74, vcc_lo
	global_load_dword v77, v[73:74], off
	v_add_co_u32 v73, s0, 0, v72
	v_add_co_ci_u32_e64 v74, null, v13, v65, s0
	v_add_nc_u32_e32 v74, 64, v74
	v_ashrrev_i64 v[75:76], 29, v[73:74]
	v_ashrrev_i64 v[73:74], 30, v[73:74]
	v_add_co_u32 v75, s0, s4, v75
	v_add_co_ci_u32_e64 v76, null, s5, v76, s0
	v_add_co_u32 v73, s0, s22, v73
	v_add_co_ci_u32_e64 v74, null, s23, v74, s0
	global_store_dwordx2 v[75:76], v[49:50], off
	s_waitcnt vmcnt(0)
	global_store_dword v[73:74], v77, off
	s_or_b32 exec_lo, exec_lo, s21
	s_and_saveexec_b32 s21, s45
	s_cbranch_execz .LBB38_40
.LBB38_96:                              ;   in Loop: Header=BB38_21 Depth=1
	v_add_co_u32 v73, s0, s24, v27
	v_add_co_ci_u32_e64 v74, null, s25, v28, s0
	v_add_co_u32 v75, s0, s24, v37
	v_add_co_ci_u32_e64 v76, null, s25, v38, s0
	;; [unrolled: 2-line block ×4, first 2 shown]
	v_cndmask_b32_e32 v73, v75, v73, vcc_lo
	v_cndmask_b32_e32 v74, v76, v74, vcc_lo
	global_load_dword v77, v[73:74], off
	v_add_co_u32 v73, s0, 0, v72
	v_add_co_ci_u32_e64 v74, null, v13, v65, s0
	v_add_nc_u32_e32 v74, 0x60, v74
	v_ashrrev_i64 v[75:76], 29, v[73:74]
	v_ashrrev_i64 v[73:74], 30, v[73:74]
	v_add_co_u32 v75, s0, s4, v75
	v_add_co_ci_u32_e64 v76, null, s5, v76, s0
	v_add_co_u32 v73, s0, s22, v73
	v_add_co_ci_u32_e64 v74, null, s23, v74, s0
	global_store_dwordx2 v[75:76], v[51:52], off
	s_waitcnt vmcnt(0)
	global_store_dword v[73:74], v77, off
	s_or_b32 exec_lo, exec_lo, s21
	s_and_saveexec_b32 s21, s46
	s_cbranch_execz .LBB38_41
.LBB38_97:                              ;   in Loop: Header=BB38_21 Depth=1
	v_add_co_u32 v73, s0, s24, v27
	v_add_co_ci_u32_e64 v74, null, s25, v28, s0
	v_add_co_u32 v75, s0, s24, v39
	v_add_co_ci_u32_e64 v76, null, s25, v40, s0
	;; [unrolled: 2-line block ×4, first 2 shown]
	v_cndmask_b32_e32 v73, v75, v73, vcc_lo
	v_cndmask_b32_e32 v74, v76, v74, vcc_lo
	global_load_dword v77, v[73:74], off
	v_add_co_u32 v73, s0, 0, v72
	v_add_co_ci_u32_e64 v74, null, v13, v65, s0
	v_add_nc_u32_e32 v74, 0x80, v74
	v_ashrrev_i64 v[75:76], 29, v[73:74]
	v_ashrrev_i64 v[73:74], 30, v[73:74]
	v_add_co_u32 v75, s0, s4, v75
	v_add_co_ci_u32_e64 v76, null, s5, v76, s0
	v_add_co_u32 v73, s0, s22, v73
	v_add_co_ci_u32_e64 v74, null, s23, v74, s0
	global_store_dwordx2 v[75:76], v[53:54], off
	s_waitcnt vmcnt(0)
	global_store_dword v[73:74], v77, off
	s_or_b32 exec_lo, exec_lo, s21
	s_and_saveexec_b32 s21, s47
	s_cbranch_execz .LBB38_42
.LBB38_98:                              ;   in Loop: Header=BB38_21 Depth=1
	v_add_co_u32 v73, s0, s24, v27
	v_add_co_ci_u32_e64 v74, null, s25, v28, s0
	v_add_co_u32 v75, s0, s24, v41
	v_add_co_ci_u32_e64 v76, null, s25, v42, s0
	;; [unrolled: 2-line block ×4, first 2 shown]
	v_cndmask_b32_e32 v73, v75, v73, vcc_lo
	v_cndmask_b32_e32 v74, v76, v74, vcc_lo
	global_load_dword v77, v[73:74], off
	v_add_co_u32 v73, s0, 0, v72
	v_add_co_ci_u32_e64 v74, null, v13, v65, s0
	v_add_nc_u32_e32 v74, 0xa0, v74
	v_ashrrev_i64 v[75:76], 29, v[73:74]
	v_ashrrev_i64 v[73:74], 30, v[73:74]
	v_add_co_u32 v75, s0, s4, v75
	v_add_co_ci_u32_e64 v76, null, s5, v76, s0
	v_add_co_u32 v73, s0, s22, v73
	v_add_co_ci_u32_e64 v74, null, s23, v74, s0
	global_store_dwordx2 v[75:76], v[55:56], off
	s_waitcnt vmcnt(0)
	global_store_dword v[73:74], v77, off
	s_or_b32 exec_lo, exec_lo, s21
	s_and_saveexec_b32 s21, s48
	s_cbranch_execz .LBB38_43
.LBB38_99:                              ;   in Loop: Header=BB38_21 Depth=1
	v_add_co_u32 v73, s0, s24, v27
	v_add_co_ci_u32_e64 v74, null, s25, v28, s0
	v_add_co_u32 v75, s0, s24, v43
	v_add_co_ci_u32_e64 v76, null, s25, v44, s0
	;; [unrolled: 2-line block ×4, first 2 shown]
	v_cndmask_b32_e32 v73, v75, v73, vcc_lo
	v_cndmask_b32_e32 v74, v76, v74, vcc_lo
	global_load_dword v77, v[73:74], off
	v_add_co_u32 v73, s0, 0, v72
	v_add_co_ci_u32_e64 v74, null, v13, v65, s0
	v_add_nc_u32_e32 v74, 0xc0, v74
	v_ashrrev_i64 v[75:76], 29, v[73:74]
	v_ashrrev_i64 v[73:74], 30, v[73:74]
	v_add_co_u32 v75, s0, s4, v75
	v_add_co_ci_u32_e64 v76, null, s5, v76, s0
	v_add_co_u32 v73, s0, s22, v73
	v_add_co_ci_u32_e64 v74, null, s23, v74, s0
	global_store_dwordx2 v[75:76], v[57:58], off
	s_waitcnt vmcnt(0)
	global_store_dword v[73:74], v77, off
	s_or_b32 exec_lo, exec_lo, s21
	s_and_saveexec_b32 s21, s1
	s_cbranch_execz .LBB38_44
.LBB38_100:                             ;   in Loop: Header=BB38_21 Depth=1
	v_add_co_u32 v73, s0, s24, v27
	v_add_co_ci_u32_e64 v74, null, s25, v28, s0
	v_add_co_u32 v75, s0, s24, v45
	v_add_co_ci_u32_e64 v76, null, s25, v46, s0
	;; [unrolled: 2-line block ×4, first 2 shown]
	v_cndmask_b32_e32 v73, v75, v73, vcc_lo
	v_cndmask_b32_e32 v74, v76, v74, vcc_lo
	global_load_dword v77, v[73:74], off
	v_add_co_u32 v73, s0, 0, v72
	v_add_co_ci_u32_e64 v74, null, v13, v65, s0
	v_add_nc_u32_e32 v74, 0xe0, v74
	v_ashrrev_i64 v[75:76], 29, v[73:74]
	v_ashrrev_i64 v[73:74], 30, v[73:74]
	v_add_co_u32 v75, s0, s4, v75
	v_add_co_ci_u32_e64 v76, null, s5, v76, s0
	v_add_co_u32 v73, s0, s22, v73
	v_add_co_ci_u32_e64 v74, null, s23, v74, s0
	global_store_dwordx2 v[75:76], v[61:62], off
	s_waitcnt vmcnt(0)
	global_store_dword v[73:74], v77, off
	s_or_b32 exec_lo, exec_lo, s21
	s_and_saveexec_b32 s21, s49
	s_cbranch_execz .LBB38_45
.LBB38_101:                             ;   in Loop: Header=BB38_21 Depth=1
	v_add_co_u32 v73, s0, s24, v31
	v_add_co_ci_u32_e64 v74, null, s25, v32, s0
	v_add_co_u32 v75, s0, s24, v25
	v_add_co_ci_u32_e64 v76, null, s25, v26, s0
	;; [unrolled: 2-line block ×3, first 2 shown]
	v_cndmask_b32_e32 v73, v73, v75, vcc_lo
	v_cndmask_b32_e32 v74, v74, v76, vcc_lo
	global_load_dword v77, v[73:74], off
	v_add_co_u32 v73, s0, 0, v71
	v_add_co_ci_u32_e64 v74, null, v13, v63, s0
	v_ashrrev_i64 v[75:76], 29, v[73:74]
	v_ashrrev_i64 v[73:74], 30, v[73:74]
	v_add_co_u32 v75, s0, s4, v75
	v_add_co_ci_u32_e64 v76, null, s5, v76, s0
	v_add_co_u32 v73, s0, s22, v73
	v_add_co_ci_u32_e64 v74, null, s23, v74, s0
	global_store_dwordx2 v[75:76], v[59:60], off
	s_waitcnt vmcnt(0)
	global_store_dword v[73:74], v77, off
	s_or_b32 exec_lo, exec_lo, s21
	s_and_saveexec_b32 s21, s50
	s_cbranch_execz .LBB38_46
.LBB38_102:                             ;   in Loop: Header=BB38_21 Depth=1
	v_add_co_u32 v73, s0, s24, v25
	v_add_co_ci_u32_e64 v74, null, s25, v26, s0
	v_add_co_u32 v75, s0, s24, v33
	v_add_co_ci_u32_e64 v76, null, s25, v34, s0
	;; [unrolled: 2-line block ×4, first 2 shown]
	v_cndmask_b32_e32 v73, v75, v73, vcc_lo
	v_cndmask_b32_e32 v74, v76, v74, vcc_lo
	global_load_dword v77, v[73:74], off
	v_add_co_u32 v73, s0, 0, v71
	v_add_co_ci_u32_e64 v74, null, v13, v63, s0
	v_add_nc_u32_e32 v74, 32, v74
	v_ashrrev_i64 v[75:76], 29, v[73:74]
	v_ashrrev_i64 v[73:74], 30, v[73:74]
	v_add_co_u32 v75, s0, s4, v75
	v_add_co_ci_u32_e64 v76, null, s5, v76, s0
	v_add_co_u32 v73, s0, s22, v73
	v_add_co_ci_u32_e64 v74, null, s23, v74, s0
	global_store_dwordx2 v[75:76], v[47:48], off
	s_waitcnt vmcnt(0)
	global_store_dword v[73:74], v77, off
	s_or_b32 exec_lo, exec_lo, s21
	s_and_saveexec_b32 s21, s51
	s_cbranch_execz .LBB38_47
.LBB38_103:                             ;   in Loop: Header=BB38_21 Depth=1
	v_add_co_u32 v73, s0, s24, v25
	v_add_co_ci_u32_e64 v74, null, s25, v26, s0
	v_add_co_u32 v75, s0, s24, v35
	v_add_co_ci_u32_e64 v76, null, s25, v36, s0
	v_cndmask_b32_e32 v73, v75, v73, vcc_lo
	v_cndmask_b32_e32 v74, v76, v74, vcc_lo
	global_load_dword v77, v[73:74], off offset:256
	v_add_co_u32 v73, s0, 0, v71
	v_add_co_ci_u32_e64 v74, null, v13, v63, s0
	v_add_nc_u32_e32 v74, 64, v74
	v_ashrrev_i64 v[75:76], 29, v[73:74]
	v_ashrrev_i64 v[73:74], 30, v[73:74]
	v_add_co_u32 v75, s0, s4, v75
	v_add_co_ci_u32_e64 v76, null, s5, v76, s0
	v_add_co_u32 v73, s0, s22, v73
	v_add_co_ci_u32_e64 v74, null, s23, v74, s0
	global_store_dwordx2 v[75:76], v[49:50], off
	s_waitcnt vmcnt(0)
	global_store_dword v[73:74], v77, off
	s_or_b32 exec_lo, exec_lo, s21
	s_and_saveexec_b32 s21, s52
	s_cbranch_execz .LBB38_48
.LBB38_104:                             ;   in Loop: Header=BB38_21 Depth=1
	v_add_co_u32 v73, s0, s24, v25
	v_add_co_ci_u32_e64 v74, null, s25, v26, s0
	v_add_co_u32 v75, s0, s24, v37
	v_add_co_ci_u32_e64 v76, null, s25, v38, s0
	;; [unrolled: 2-line block ×4, first 2 shown]
	v_cndmask_b32_e32 v73, v75, v73, vcc_lo
	v_cndmask_b32_e32 v74, v76, v74, vcc_lo
	global_load_dword v77, v[73:74], off
	v_add_co_u32 v73, s0, 0, v71
	v_add_co_ci_u32_e64 v74, null, v13, v63, s0
	v_add_nc_u32_e32 v74, 0x60, v74
	v_ashrrev_i64 v[75:76], 29, v[73:74]
	v_ashrrev_i64 v[73:74], 30, v[73:74]
	v_add_co_u32 v75, s0, s4, v75
	v_add_co_ci_u32_e64 v76, null, s5, v76, s0
	v_add_co_u32 v73, s0, s22, v73
	v_add_co_ci_u32_e64 v74, null, s23, v74, s0
	global_store_dwordx2 v[75:76], v[51:52], off
	s_waitcnt vmcnt(0)
	global_store_dword v[73:74], v77, off
	s_or_b32 exec_lo, exec_lo, s21
	s_and_saveexec_b32 s21, s53
	s_cbranch_execz .LBB38_49
.LBB38_105:                             ;   in Loop: Header=BB38_21 Depth=1
	v_add_co_u32 v73, s0, s24, v25
	v_add_co_ci_u32_e64 v74, null, s25, v26, s0
	v_add_co_u32 v75, s0, s24, v39
	v_add_co_ci_u32_e64 v76, null, s25, v40, s0
	;; [unrolled: 2-line block ×4, first 2 shown]
	v_cndmask_b32_e32 v73, v75, v73, vcc_lo
	v_cndmask_b32_e32 v74, v76, v74, vcc_lo
	global_load_dword v77, v[73:74], off
	v_add_co_u32 v73, s0, 0, v71
	v_add_co_ci_u32_e64 v74, null, v13, v63, s0
	v_add_nc_u32_e32 v74, 0x80, v74
	v_ashrrev_i64 v[75:76], 29, v[73:74]
	v_ashrrev_i64 v[73:74], 30, v[73:74]
	v_add_co_u32 v75, s0, s4, v75
	v_add_co_ci_u32_e64 v76, null, s5, v76, s0
	v_add_co_u32 v73, s0, s22, v73
	v_add_co_ci_u32_e64 v74, null, s23, v74, s0
	global_store_dwordx2 v[75:76], v[53:54], off
	s_waitcnt vmcnt(0)
	global_store_dword v[73:74], v77, off
	s_or_b32 exec_lo, exec_lo, s21
	s_and_saveexec_b32 s21, s54
	s_cbranch_execz .LBB38_50
.LBB38_106:                             ;   in Loop: Header=BB38_21 Depth=1
	v_add_co_u32 v73, s0, s24, v25
	v_add_co_ci_u32_e64 v74, null, s25, v26, s0
	v_add_co_u32 v75, s0, s24, v41
	v_add_co_ci_u32_e64 v76, null, s25, v42, s0
	;; [unrolled: 2-line block ×4, first 2 shown]
	v_cndmask_b32_e32 v73, v75, v73, vcc_lo
	v_cndmask_b32_e32 v74, v76, v74, vcc_lo
	global_load_dword v77, v[73:74], off
	v_add_co_u32 v73, s0, 0, v71
	v_add_co_ci_u32_e64 v74, null, v13, v63, s0
	v_add_nc_u32_e32 v74, 0xa0, v74
	v_ashrrev_i64 v[75:76], 29, v[73:74]
	v_ashrrev_i64 v[73:74], 30, v[73:74]
	v_add_co_u32 v75, s0, s4, v75
	v_add_co_ci_u32_e64 v76, null, s5, v76, s0
	v_add_co_u32 v73, s0, s22, v73
	v_add_co_ci_u32_e64 v74, null, s23, v74, s0
	global_store_dwordx2 v[75:76], v[55:56], off
	s_waitcnt vmcnt(0)
	global_store_dword v[73:74], v77, off
	s_or_b32 exec_lo, exec_lo, s21
	s_and_saveexec_b32 s21, s55
	s_cbranch_execz .LBB38_51
.LBB38_107:                             ;   in Loop: Header=BB38_21 Depth=1
	v_add_co_u32 v73, s0, s24, v25
	v_add_co_ci_u32_e64 v74, null, s25, v26, s0
	v_add_co_u32 v75, s0, s24, v43
	v_add_co_ci_u32_e64 v76, null, s25, v44, s0
	;; [unrolled: 2-line block ×4, first 2 shown]
	v_cndmask_b32_e32 v73, v75, v73, vcc_lo
	v_cndmask_b32_e32 v74, v76, v74, vcc_lo
	global_load_dword v77, v[73:74], off
	v_add_co_u32 v73, s0, 0, v71
	v_add_co_ci_u32_e64 v74, null, v13, v63, s0
	v_add_nc_u32_e32 v74, 0xc0, v74
	v_ashrrev_i64 v[75:76], 29, v[73:74]
	v_ashrrev_i64 v[73:74], 30, v[73:74]
	v_add_co_u32 v75, s0, s4, v75
	v_add_co_ci_u32_e64 v76, null, s5, v76, s0
	v_add_co_u32 v73, s0, s22, v73
	v_add_co_ci_u32_e64 v74, null, s23, v74, s0
	global_store_dwordx2 v[75:76], v[57:58], off
	s_waitcnt vmcnt(0)
	global_store_dword v[73:74], v77, off
	s_or_b32 exec_lo, exec_lo, s21
	s_and_saveexec_b32 s21, s56
	s_cbranch_execz .LBB38_52
.LBB38_108:                             ;   in Loop: Header=BB38_21 Depth=1
	v_add_co_u32 v73, s0, s24, v25
	v_add_co_ci_u32_e64 v74, null, s25, v26, s0
	v_add_co_u32 v75, s0, s24, v45
	v_add_co_ci_u32_e64 v76, null, s25, v46, s0
	;; [unrolled: 2-line block ×4, first 2 shown]
	v_cndmask_b32_e32 v73, v75, v73, vcc_lo
	v_cndmask_b32_e32 v74, v76, v74, vcc_lo
	global_load_dword v77, v[73:74], off
	v_add_co_u32 v73, s0, 0, v71
	v_add_co_ci_u32_e64 v74, null, v13, v63, s0
	v_add_nc_u32_e32 v74, 0xe0, v74
	v_ashrrev_i64 v[75:76], 29, v[73:74]
	v_ashrrev_i64 v[73:74], 30, v[73:74]
	v_add_co_u32 v75, s0, s4, v75
	v_add_co_ci_u32_e64 v76, null, s5, v76, s0
	v_add_co_u32 v73, s0, s22, v73
	v_add_co_ci_u32_e64 v74, null, s23, v74, s0
	global_store_dwordx2 v[75:76], v[61:62], off
	s_waitcnt vmcnt(0)
	global_store_dword v[73:74], v77, off
	s_or_b32 exec_lo, exec_lo, s21
	s_and_saveexec_b32 s21, s57
	s_cbranch_execz .LBB38_53
.LBB38_109:                             ;   in Loop: Header=BB38_21 Depth=1
	v_add_co_u32 v73, s0, s24, v31
	v_add_co_ci_u32_e64 v74, null, s25, v32, s0
	v_add_co_u32 v75, s0, s24, v23
	v_add_co_ci_u32_e64 v76, null, s25, v24, s0
	;; [unrolled: 2-line block ×3, first 2 shown]
	v_cndmask_b32_e32 v73, v73, v75, vcc_lo
	v_cndmask_b32_e32 v74, v74, v76, vcc_lo
	global_load_dword v77, v[73:74], off
	v_add_co_u32 v73, s0, 0, v70
	v_add_co_ci_u32_e64 v74, null, v13, v11, s0
	v_ashrrev_i64 v[75:76], 29, v[73:74]
	v_ashrrev_i64 v[73:74], 30, v[73:74]
	v_add_co_u32 v75, s0, s4, v75
	v_add_co_ci_u32_e64 v76, null, s5, v76, s0
	v_add_co_u32 v73, s0, s22, v73
	v_add_co_ci_u32_e64 v74, null, s23, v74, s0
	global_store_dwordx2 v[75:76], v[59:60], off
	s_waitcnt vmcnt(0)
	global_store_dword v[73:74], v77, off
	s_or_b32 exec_lo, exec_lo, s21
	s_and_saveexec_b32 s21, s58
	s_cbranch_execz .LBB38_54
.LBB38_110:                             ;   in Loop: Header=BB38_21 Depth=1
	v_add_co_u32 v73, s0, s24, v23
	v_add_co_ci_u32_e64 v74, null, s25, v24, s0
	v_add_co_u32 v75, s0, s24, v33
	v_add_co_ci_u32_e64 v76, null, s25, v34, s0
	;; [unrolled: 2-line block ×4, first 2 shown]
	v_cndmask_b32_e32 v73, v75, v73, vcc_lo
	v_cndmask_b32_e32 v74, v76, v74, vcc_lo
	global_load_dword v77, v[73:74], off
	v_add_co_u32 v73, s0, 0, v70
	v_add_co_ci_u32_e64 v74, null, v13, v11, s0
	v_add_nc_u32_e32 v74, 32, v74
	v_ashrrev_i64 v[75:76], 29, v[73:74]
	v_ashrrev_i64 v[73:74], 30, v[73:74]
	v_add_co_u32 v75, s0, s4, v75
	v_add_co_ci_u32_e64 v76, null, s5, v76, s0
	v_add_co_u32 v73, s0, s22, v73
	v_add_co_ci_u32_e64 v74, null, s23, v74, s0
	global_store_dwordx2 v[75:76], v[47:48], off
	s_waitcnt vmcnt(0)
	global_store_dword v[73:74], v77, off
	s_or_b32 exec_lo, exec_lo, s21
	s_and_saveexec_b32 s21, s59
	s_cbranch_execz .LBB38_55
.LBB38_111:                             ;   in Loop: Header=BB38_21 Depth=1
	v_add_co_u32 v73, s0, s24, v23
	v_add_co_ci_u32_e64 v74, null, s25, v24, s0
	v_add_co_u32 v75, s0, s24, v35
	v_add_co_ci_u32_e64 v76, null, s25, v36, s0
	;; [unrolled: 2-line block ×4, first 2 shown]
	v_cndmask_b32_e32 v73, v75, v73, vcc_lo
	v_cndmask_b32_e32 v74, v76, v74, vcc_lo
	global_load_dword v77, v[73:74], off
	v_add_co_u32 v73, s0, 0, v70
	v_add_co_ci_u32_e64 v74, null, v13, v11, s0
	v_add_nc_u32_e32 v74, 64, v74
	v_ashrrev_i64 v[75:76], 29, v[73:74]
	v_ashrrev_i64 v[73:74], 30, v[73:74]
	v_add_co_u32 v75, s0, s4, v75
	v_add_co_ci_u32_e64 v76, null, s5, v76, s0
	v_add_co_u32 v73, s0, s22, v73
	v_add_co_ci_u32_e64 v74, null, s23, v74, s0
	global_store_dwordx2 v[75:76], v[49:50], off
	s_waitcnt vmcnt(0)
	global_store_dword v[73:74], v77, off
	s_or_b32 exec_lo, exec_lo, s21
	s_and_saveexec_b32 s21, s60
	s_cbranch_execz .LBB38_56
.LBB38_112:                             ;   in Loop: Header=BB38_21 Depth=1
	v_add_co_u32 v73, s0, s24, v23
	v_add_co_ci_u32_e64 v74, null, s25, v24, s0
	v_add_co_u32 v75, s0, s24, v37
	v_add_co_ci_u32_e64 v76, null, s25, v38, s0
	v_cndmask_b32_e32 v73, v75, v73, vcc_lo
	v_cndmask_b32_e32 v74, v76, v74, vcc_lo
	global_load_dword v77, v[73:74], off offset:384
	v_add_co_u32 v73, s0, 0, v70
	v_add_co_ci_u32_e64 v74, null, v13, v11, s0
	v_add_nc_u32_e32 v74, 0x60, v74
	v_ashrrev_i64 v[75:76], 29, v[73:74]
	v_ashrrev_i64 v[73:74], 30, v[73:74]
	v_add_co_u32 v75, s0, s4, v75
	v_add_co_ci_u32_e64 v76, null, s5, v76, s0
	v_add_co_u32 v73, s0, s22, v73
	v_add_co_ci_u32_e64 v74, null, s23, v74, s0
	global_store_dwordx2 v[75:76], v[51:52], off
	s_waitcnt vmcnt(0)
	global_store_dword v[73:74], v77, off
	s_or_b32 exec_lo, exec_lo, s21
	s_and_saveexec_b32 s21, s61
	s_cbranch_execz .LBB38_57
.LBB38_113:                             ;   in Loop: Header=BB38_21 Depth=1
	v_add_co_u32 v73, s0, s24, v23
	v_add_co_ci_u32_e64 v74, null, s25, v24, s0
	v_add_co_u32 v75, s0, s24, v39
	v_add_co_ci_u32_e64 v76, null, s25, v40, s0
	;; [unrolled: 2-line block ×4, first 2 shown]
	v_cndmask_b32_e32 v73, v75, v73, vcc_lo
	v_cndmask_b32_e32 v74, v76, v74, vcc_lo
	global_load_dword v77, v[73:74], off
	v_add_co_u32 v73, s0, 0, v70
	v_add_co_ci_u32_e64 v74, null, v13, v11, s0
	v_add_nc_u32_e32 v74, 0x80, v74
	v_ashrrev_i64 v[75:76], 29, v[73:74]
	v_ashrrev_i64 v[73:74], 30, v[73:74]
	v_add_co_u32 v75, s0, s4, v75
	v_add_co_ci_u32_e64 v76, null, s5, v76, s0
	v_add_co_u32 v73, s0, s22, v73
	v_add_co_ci_u32_e64 v74, null, s23, v74, s0
	global_store_dwordx2 v[75:76], v[53:54], off
	s_waitcnt vmcnt(0)
	global_store_dword v[73:74], v77, off
	s_or_b32 exec_lo, exec_lo, s21
	s_and_saveexec_b32 s21, s62
	s_cbranch_execz .LBB38_58
.LBB38_114:                             ;   in Loop: Header=BB38_21 Depth=1
	v_add_co_u32 v73, s0, s24, v23
	v_add_co_ci_u32_e64 v74, null, s25, v24, s0
	v_add_co_u32 v75, s0, s24, v41
	v_add_co_ci_u32_e64 v76, null, s25, v42, s0
	;; [unrolled: 2-line block ×4, first 2 shown]
	v_cndmask_b32_e32 v73, v75, v73, vcc_lo
	v_cndmask_b32_e32 v74, v76, v74, vcc_lo
	global_load_dword v77, v[73:74], off
	v_add_co_u32 v73, s0, 0, v70
	v_add_co_ci_u32_e64 v74, null, v13, v11, s0
	v_add_nc_u32_e32 v74, 0xa0, v74
	v_ashrrev_i64 v[75:76], 29, v[73:74]
	v_ashrrev_i64 v[73:74], 30, v[73:74]
	v_add_co_u32 v75, s0, s4, v75
	v_add_co_ci_u32_e64 v76, null, s5, v76, s0
	v_add_co_u32 v73, s0, s22, v73
	v_add_co_ci_u32_e64 v74, null, s23, v74, s0
	global_store_dwordx2 v[75:76], v[55:56], off
	s_waitcnt vmcnt(0)
	global_store_dword v[73:74], v77, off
	s_or_b32 exec_lo, exec_lo, s21
	s_and_saveexec_b32 s21, s63
	s_cbranch_execz .LBB38_59
.LBB38_115:                             ;   in Loop: Header=BB38_21 Depth=1
	v_add_co_u32 v73, s0, s24, v23
	v_add_co_ci_u32_e64 v74, null, s25, v24, s0
	v_add_co_u32 v75, s0, s24, v43
	v_add_co_ci_u32_e64 v76, null, s25, v44, s0
	;; [unrolled: 2-line block ×4, first 2 shown]
	v_cndmask_b32_e32 v73, v75, v73, vcc_lo
	v_cndmask_b32_e32 v74, v76, v74, vcc_lo
	global_load_dword v77, v[73:74], off
	v_add_co_u32 v73, s0, 0, v70
	v_add_co_ci_u32_e64 v74, null, v13, v11, s0
	v_add_nc_u32_e32 v74, 0xc0, v74
	v_ashrrev_i64 v[75:76], 29, v[73:74]
	v_ashrrev_i64 v[73:74], 30, v[73:74]
	v_add_co_u32 v75, s0, s4, v75
	v_add_co_ci_u32_e64 v76, null, s5, v76, s0
	v_add_co_u32 v73, s0, s22, v73
	v_add_co_ci_u32_e64 v74, null, s23, v74, s0
	global_store_dwordx2 v[75:76], v[57:58], off
	s_waitcnt vmcnt(0)
	global_store_dword v[73:74], v77, off
	s_or_b32 exec_lo, exec_lo, s21
	s_and_saveexec_b32 s21, s64
	s_cbranch_execz .LBB38_60
.LBB38_116:                             ;   in Loop: Header=BB38_21 Depth=1
	v_add_co_u32 v73, s0, s24, v23
	v_add_co_ci_u32_e64 v74, null, s25, v24, s0
	v_add_co_u32 v75, s0, s24, v45
	v_add_co_ci_u32_e64 v76, null, s25, v46, s0
	;; [unrolled: 2-line block ×4, first 2 shown]
	v_cndmask_b32_e32 v73, v75, v73, vcc_lo
	v_cndmask_b32_e32 v74, v76, v74, vcc_lo
	global_load_dword v77, v[73:74], off
	v_add_co_u32 v73, s0, 0, v70
	v_add_co_ci_u32_e64 v74, null, v13, v11, s0
	v_add_nc_u32_e32 v74, 0xe0, v74
	v_ashrrev_i64 v[75:76], 29, v[73:74]
	v_ashrrev_i64 v[73:74], 30, v[73:74]
	v_add_co_u32 v75, s0, s4, v75
	v_add_co_ci_u32_e64 v76, null, s5, v76, s0
	v_add_co_u32 v73, s0, s22, v73
	v_add_co_ci_u32_e64 v74, null, s23, v74, s0
	global_store_dwordx2 v[75:76], v[61:62], off
	s_waitcnt vmcnt(0)
	global_store_dword v[73:74], v77, off
	s_or_b32 exec_lo, exec_lo, s21
	s_and_saveexec_b32 s21, s65
	s_cbranch_execz .LBB38_61
.LBB38_117:                             ;   in Loop: Header=BB38_21 Depth=1
	v_add_co_u32 v73, s0, s24, v31
	v_add_co_ci_u32_e64 v74, null, s25, v32, s0
	v_add_co_u32 v75, s0, s24, v21
	v_add_co_ci_u32_e64 v76, null, s25, v22, s0
	;; [unrolled: 2-line block ×3, first 2 shown]
	v_cndmask_b32_e32 v73, v73, v75, vcc_lo
	v_cndmask_b32_e32 v74, v74, v76, vcc_lo
	global_load_dword v77, v[73:74], off
	v_add_co_u32 v73, s0, 0, v69
	v_add_co_ci_u32_e64 v74, null, v13, v9, s0
	v_ashrrev_i64 v[75:76], 29, v[73:74]
	v_ashrrev_i64 v[73:74], 30, v[73:74]
	v_add_co_u32 v75, s0, s4, v75
	v_add_co_ci_u32_e64 v76, null, s5, v76, s0
	v_add_co_u32 v73, s0, s22, v73
	v_add_co_ci_u32_e64 v74, null, s23, v74, s0
	global_store_dwordx2 v[75:76], v[59:60], off
	s_waitcnt vmcnt(0)
	global_store_dword v[73:74], v77, off
	s_or_b32 exec_lo, exec_lo, s21
	s_and_saveexec_b32 s21, s66
	s_cbranch_execz .LBB38_62
.LBB38_118:                             ;   in Loop: Header=BB38_21 Depth=1
	v_add_co_u32 v73, s0, s24, v21
	v_add_co_ci_u32_e64 v74, null, s25, v22, s0
	v_add_co_u32 v75, s0, s24, v33
	v_add_co_ci_u32_e64 v76, null, s25, v34, s0
	;; [unrolled: 2-line block ×4, first 2 shown]
	v_cndmask_b32_e32 v73, v75, v73, vcc_lo
	v_cndmask_b32_e32 v74, v76, v74, vcc_lo
	global_load_dword v77, v[73:74], off
	v_add_co_u32 v73, s0, 0, v69
	v_add_co_ci_u32_e64 v74, null, v13, v9, s0
	v_add_nc_u32_e32 v74, 32, v74
	v_ashrrev_i64 v[75:76], 29, v[73:74]
	v_ashrrev_i64 v[73:74], 30, v[73:74]
	v_add_co_u32 v75, s0, s4, v75
	v_add_co_ci_u32_e64 v76, null, s5, v76, s0
	v_add_co_u32 v73, s0, s22, v73
	v_add_co_ci_u32_e64 v74, null, s23, v74, s0
	global_store_dwordx2 v[75:76], v[47:48], off
	s_waitcnt vmcnt(0)
	global_store_dword v[73:74], v77, off
	s_or_b32 exec_lo, exec_lo, s21
	s_and_saveexec_b32 s21, s67
	s_cbranch_execz .LBB38_63
.LBB38_119:                             ;   in Loop: Header=BB38_21 Depth=1
	v_add_co_u32 v73, s0, s24, v21
	v_add_co_ci_u32_e64 v74, null, s25, v22, s0
	v_add_co_u32 v75, s0, s24, v35
	v_add_co_ci_u32_e64 v76, null, s25, v36, s0
	;; [unrolled: 2-line block ×4, first 2 shown]
	v_cndmask_b32_e32 v73, v75, v73, vcc_lo
	v_cndmask_b32_e32 v74, v76, v74, vcc_lo
	global_load_dword v77, v[73:74], off
	v_add_co_u32 v73, s0, 0, v69
	v_add_co_ci_u32_e64 v74, null, v13, v9, s0
	v_add_nc_u32_e32 v74, 64, v74
	v_ashrrev_i64 v[75:76], 29, v[73:74]
	v_ashrrev_i64 v[73:74], 30, v[73:74]
	v_add_co_u32 v75, s0, s4, v75
	v_add_co_ci_u32_e64 v76, null, s5, v76, s0
	v_add_co_u32 v73, s0, s22, v73
	v_add_co_ci_u32_e64 v74, null, s23, v74, s0
	global_store_dwordx2 v[75:76], v[49:50], off
	s_waitcnt vmcnt(0)
	global_store_dword v[73:74], v77, off
	s_or_b32 exec_lo, exec_lo, s21
	s_and_saveexec_b32 s21, s68
	s_cbranch_execz .LBB38_64
.LBB38_120:                             ;   in Loop: Header=BB38_21 Depth=1
	v_add_co_u32 v73, s0, s24, v21
	v_add_co_ci_u32_e64 v74, null, s25, v22, s0
	v_add_co_u32 v75, s0, s24, v37
	v_add_co_ci_u32_e64 v76, null, s25, v38, s0
	;; [unrolled: 2-line block ×4, first 2 shown]
	v_cndmask_b32_e32 v73, v75, v73, vcc_lo
	v_cndmask_b32_e32 v74, v76, v74, vcc_lo
	global_load_dword v77, v[73:74], off
	v_add_co_u32 v73, s0, 0, v69
	v_add_co_ci_u32_e64 v74, null, v13, v9, s0
	v_add_nc_u32_e32 v74, 0x60, v74
	v_ashrrev_i64 v[75:76], 29, v[73:74]
	v_ashrrev_i64 v[73:74], 30, v[73:74]
	v_add_co_u32 v75, s0, s4, v75
	v_add_co_ci_u32_e64 v76, null, s5, v76, s0
	v_add_co_u32 v73, s0, s22, v73
	v_add_co_ci_u32_e64 v74, null, s23, v74, s0
	global_store_dwordx2 v[75:76], v[51:52], off
	s_waitcnt vmcnt(0)
	global_store_dword v[73:74], v77, off
	s_or_b32 exec_lo, exec_lo, s21
	s_and_saveexec_b32 s21, s69
	s_cbranch_execz .LBB38_65
.LBB38_121:                             ;   in Loop: Header=BB38_21 Depth=1
	v_add_co_u32 v73, s0, s24, v21
	v_add_co_ci_u32_e64 v74, null, s25, v22, s0
	v_add_co_u32 v75, s0, s24, v39
	v_add_co_ci_u32_e64 v76, null, s25, v40, s0
	v_cndmask_b32_e32 v73, v75, v73, vcc_lo
	v_cndmask_b32_e32 v74, v76, v74, vcc_lo
	global_load_dword v77, v[73:74], off offset:512
	v_add_co_u32 v73, s0, 0, v69
	v_add_co_ci_u32_e64 v74, null, v13, v9, s0
	v_add_nc_u32_e32 v74, 0x80, v74
	v_ashrrev_i64 v[75:76], 29, v[73:74]
	v_ashrrev_i64 v[73:74], 30, v[73:74]
	v_add_co_u32 v75, s0, s4, v75
	v_add_co_ci_u32_e64 v76, null, s5, v76, s0
	v_add_co_u32 v73, s0, s22, v73
	v_add_co_ci_u32_e64 v74, null, s23, v74, s0
	global_store_dwordx2 v[75:76], v[53:54], off
	s_waitcnt vmcnt(0)
	global_store_dword v[73:74], v77, off
	s_or_b32 exec_lo, exec_lo, s21
	s_and_saveexec_b32 s21, s70
	s_cbranch_execz .LBB38_66
.LBB38_122:                             ;   in Loop: Header=BB38_21 Depth=1
	v_add_co_u32 v73, s0, s24, v21
	v_add_co_ci_u32_e64 v74, null, s25, v22, s0
	v_add_co_u32 v75, s0, s24, v41
	v_add_co_ci_u32_e64 v76, null, s25, v42, s0
	;; [unrolled: 2-line block ×4, first 2 shown]
	v_cndmask_b32_e32 v73, v75, v73, vcc_lo
	v_cndmask_b32_e32 v74, v76, v74, vcc_lo
	global_load_dword v77, v[73:74], off
	v_add_co_u32 v73, s0, 0, v69
	v_add_co_ci_u32_e64 v74, null, v13, v9, s0
	v_add_nc_u32_e32 v74, 0xa0, v74
	v_ashrrev_i64 v[75:76], 29, v[73:74]
	v_ashrrev_i64 v[73:74], 30, v[73:74]
	v_add_co_u32 v75, s0, s4, v75
	v_add_co_ci_u32_e64 v76, null, s5, v76, s0
	v_add_co_u32 v73, s0, s22, v73
	v_add_co_ci_u32_e64 v74, null, s23, v74, s0
	global_store_dwordx2 v[75:76], v[55:56], off
	s_waitcnt vmcnt(0)
	global_store_dword v[73:74], v77, off
	s_or_b32 exec_lo, exec_lo, s21
	s_and_saveexec_b32 s21, s71
	s_cbranch_execz .LBB38_67
.LBB38_123:                             ;   in Loop: Header=BB38_21 Depth=1
	v_add_co_u32 v73, s0, s24, v21
	v_add_co_ci_u32_e64 v74, null, s25, v22, s0
	v_add_co_u32 v75, s0, s24, v43
	v_add_co_ci_u32_e64 v76, null, s25, v44, s0
	;; [unrolled: 2-line block ×4, first 2 shown]
	v_cndmask_b32_e32 v73, v75, v73, vcc_lo
	v_cndmask_b32_e32 v74, v76, v74, vcc_lo
	global_load_dword v77, v[73:74], off
	v_add_co_u32 v73, s0, 0, v69
	v_add_co_ci_u32_e64 v74, null, v13, v9, s0
	v_add_nc_u32_e32 v74, 0xc0, v74
	v_ashrrev_i64 v[75:76], 29, v[73:74]
	v_ashrrev_i64 v[73:74], 30, v[73:74]
	v_add_co_u32 v75, s0, s4, v75
	v_add_co_ci_u32_e64 v76, null, s5, v76, s0
	v_add_co_u32 v73, s0, s22, v73
	v_add_co_ci_u32_e64 v74, null, s23, v74, s0
	global_store_dwordx2 v[75:76], v[57:58], off
	s_waitcnt vmcnt(0)
	global_store_dword v[73:74], v77, off
	s_or_b32 exec_lo, exec_lo, s21
	s_and_saveexec_b32 s21, s72
	s_cbranch_execz .LBB38_68
.LBB38_124:                             ;   in Loop: Header=BB38_21 Depth=1
	v_add_co_u32 v73, s0, s24, v21
	v_add_co_ci_u32_e64 v74, null, s25, v22, s0
	v_add_co_u32 v75, s0, s24, v45
	v_add_co_ci_u32_e64 v76, null, s25, v46, s0
	;; [unrolled: 2-line block ×4, first 2 shown]
	v_cndmask_b32_e32 v73, v75, v73, vcc_lo
	v_cndmask_b32_e32 v74, v76, v74, vcc_lo
	global_load_dword v77, v[73:74], off
	v_add_co_u32 v73, s0, 0, v69
	v_add_co_ci_u32_e64 v74, null, v13, v9, s0
	v_add_nc_u32_e32 v74, 0xe0, v74
	v_ashrrev_i64 v[75:76], 29, v[73:74]
	v_ashrrev_i64 v[73:74], 30, v[73:74]
	v_add_co_u32 v75, s0, s4, v75
	v_add_co_ci_u32_e64 v76, null, s5, v76, s0
	v_add_co_u32 v73, s0, s22, v73
	v_add_co_ci_u32_e64 v74, null, s23, v74, s0
	global_store_dwordx2 v[75:76], v[61:62], off
	s_waitcnt vmcnt(0)
	global_store_dword v[73:74], v77, off
	s_or_b32 exec_lo, exec_lo, s21
	s_and_saveexec_b32 s21, s73
	s_cbranch_execz .LBB38_69
.LBB38_125:                             ;   in Loop: Header=BB38_21 Depth=1
	v_add_co_u32 v73, s0, s24, v31
	v_add_co_ci_u32_e64 v74, null, s25, v32, s0
	v_add_co_u32 v75, s0, s24, v19
	v_add_co_ci_u32_e64 v76, null, s25, v20, s0
	v_add_co_u32 v73, s0, 0x280, v73
	v_add_co_ci_u32_e64 v74, null, 0, v74, s0
	v_cndmask_b32_e32 v73, v73, v75, vcc_lo
	v_cndmask_b32_e32 v74, v74, v76, vcc_lo
	global_load_dword v77, v[73:74], off
	v_add_co_u32 v73, s0, 0, v68
	v_add_co_ci_u32_e64 v74, null, v13, v7, s0
	v_ashrrev_i64 v[75:76], 29, v[73:74]
	v_ashrrev_i64 v[73:74], 30, v[73:74]
	v_add_co_u32 v75, s0, s4, v75
	v_add_co_ci_u32_e64 v76, null, s5, v76, s0
	v_add_co_u32 v73, s0, s22, v73
	v_add_co_ci_u32_e64 v74, null, s23, v74, s0
	global_store_dwordx2 v[75:76], v[59:60], off
	s_waitcnt vmcnt(0)
	global_store_dword v[73:74], v77, off
	s_or_b32 exec_lo, exec_lo, s21
	s_and_saveexec_b32 s21, s74
	s_cbranch_execz .LBB38_70
.LBB38_126:                             ;   in Loop: Header=BB38_21 Depth=1
	v_add_co_u32 v73, s0, s24, v19
	v_add_co_ci_u32_e64 v74, null, s25, v20, s0
	v_add_co_u32 v75, s0, s24, v33
	v_add_co_ci_u32_e64 v76, null, s25, v34, s0
	;; [unrolled: 2-line block ×4, first 2 shown]
	v_cndmask_b32_e32 v73, v75, v73, vcc_lo
	v_cndmask_b32_e32 v74, v76, v74, vcc_lo
	global_load_dword v77, v[73:74], off
	v_add_co_u32 v73, s0, 0, v68
	v_add_co_ci_u32_e64 v74, null, v13, v7, s0
	v_add_nc_u32_e32 v74, 32, v74
	v_ashrrev_i64 v[75:76], 29, v[73:74]
	v_ashrrev_i64 v[73:74], 30, v[73:74]
	v_add_co_u32 v75, s0, s4, v75
	v_add_co_ci_u32_e64 v76, null, s5, v76, s0
	v_add_co_u32 v73, s0, s22, v73
	v_add_co_ci_u32_e64 v74, null, s23, v74, s0
	global_store_dwordx2 v[75:76], v[47:48], off
	s_waitcnt vmcnt(0)
	global_store_dword v[73:74], v77, off
	s_or_b32 exec_lo, exec_lo, s21
	s_and_saveexec_b32 s21, s75
	s_cbranch_execz .LBB38_71
.LBB38_127:                             ;   in Loop: Header=BB38_21 Depth=1
	v_add_co_u32 v73, s0, s24, v19
	v_add_co_ci_u32_e64 v74, null, s25, v20, s0
	v_add_co_u32 v75, s0, s24, v35
	v_add_co_ci_u32_e64 v76, null, s25, v36, s0
	;; [unrolled: 2-line block ×4, first 2 shown]
	v_cndmask_b32_e32 v73, v75, v73, vcc_lo
	v_cndmask_b32_e32 v74, v76, v74, vcc_lo
	global_load_dword v77, v[73:74], off
	v_add_co_u32 v73, s0, 0, v68
	v_add_co_ci_u32_e64 v74, null, v13, v7, s0
	v_add_nc_u32_e32 v74, 64, v74
	v_ashrrev_i64 v[75:76], 29, v[73:74]
	v_ashrrev_i64 v[73:74], 30, v[73:74]
	v_add_co_u32 v75, s0, s4, v75
	v_add_co_ci_u32_e64 v76, null, s5, v76, s0
	v_add_co_u32 v73, s0, s22, v73
	v_add_co_ci_u32_e64 v74, null, s23, v74, s0
	global_store_dwordx2 v[75:76], v[49:50], off
	s_waitcnt vmcnt(0)
	global_store_dword v[73:74], v77, off
	s_or_b32 exec_lo, exec_lo, s21
	s_and_saveexec_b32 s21, s76
	s_cbranch_execz .LBB38_72
.LBB38_128:                             ;   in Loop: Header=BB38_21 Depth=1
	v_add_co_u32 v73, s0, s24, v19
	v_add_co_ci_u32_e64 v74, null, s25, v20, s0
	v_add_co_u32 v75, s0, s24, v37
	v_add_co_ci_u32_e64 v76, null, s25, v38, s0
	;; [unrolled: 2-line block ×4, first 2 shown]
	v_cndmask_b32_e32 v73, v75, v73, vcc_lo
	v_cndmask_b32_e32 v74, v76, v74, vcc_lo
	global_load_dword v77, v[73:74], off
	v_add_co_u32 v73, s0, 0, v68
	v_add_co_ci_u32_e64 v74, null, v13, v7, s0
	v_add_nc_u32_e32 v74, 0x60, v74
	v_ashrrev_i64 v[75:76], 29, v[73:74]
	v_ashrrev_i64 v[73:74], 30, v[73:74]
	v_add_co_u32 v75, s0, s4, v75
	v_add_co_ci_u32_e64 v76, null, s5, v76, s0
	v_add_co_u32 v73, s0, s22, v73
	v_add_co_ci_u32_e64 v74, null, s23, v74, s0
	global_store_dwordx2 v[75:76], v[51:52], off
	s_waitcnt vmcnt(0)
	global_store_dword v[73:74], v77, off
	s_or_b32 exec_lo, exec_lo, s21
	s_and_saveexec_b32 s21, s77
	s_cbranch_execz .LBB38_73
.LBB38_129:                             ;   in Loop: Header=BB38_21 Depth=1
	v_add_co_u32 v73, s0, s24, v19
	v_add_co_ci_u32_e64 v74, null, s25, v20, s0
	v_add_co_u32 v75, s0, s24, v39
	v_add_co_ci_u32_e64 v76, null, s25, v40, s0
	;; [unrolled: 2-line block ×4, first 2 shown]
	v_cndmask_b32_e32 v73, v75, v73, vcc_lo
	v_cndmask_b32_e32 v74, v76, v74, vcc_lo
	global_load_dword v77, v[73:74], off
	v_add_co_u32 v73, s0, 0, v68
	v_add_co_ci_u32_e64 v74, null, v13, v7, s0
	v_add_nc_u32_e32 v74, 0x80, v74
	v_ashrrev_i64 v[75:76], 29, v[73:74]
	v_ashrrev_i64 v[73:74], 30, v[73:74]
	v_add_co_u32 v75, s0, s4, v75
	v_add_co_ci_u32_e64 v76, null, s5, v76, s0
	v_add_co_u32 v73, s0, s22, v73
	v_add_co_ci_u32_e64 v74, null, s23, v74, s0
	global_store_dwordx2 v[75:76], v[53:54], off
	s_waitcnt vmcnt(0)
	global_store_dword v[73:74], v77, off
	s_or_b32 exec_lo, exec_lo, s21
	s_and_saveexec_b32 s21, s78
	s_cbranch_execz .LBB38_74
.LBB38_130:                             ;   in Loop: Header=BB38_21 Depth=1
	v_add_co_u32 v73, s0, s24, v19
	v_add_co_ci_u32_e64 v74, null, s25, v20, s0
	v_add_co_u32 v75, s0, s24, v41
	v_add_co_ci_u32_e64 v76, null, s25, v42, s0
	v_cndmask_b32_e32 v73, v75, v73, vcc_lo
	v_cndmask_b32_e32 v74, v76, v74, vcc_lo
	global_load_dword v77, v[73:74], off offset:640
	v_add_co_u32 v73, s0, 0, v68
	v_add_co_ci_u32_e64 v74, null, v13, v7, s0
	v_add_nc_u32_e32 v74, 0xa0, v74
	v_ashrrev_i64 v[75:76], 29, v[73:74]
	v_ashrrev_i64 v[73:74], 30, v[73:74]
	v_add_co_u32 v75, s0, s4, v75
	v_add_co_ci_u32_e64 v76, null, s5, v76, s0
	v_add_co_u32 v73, s0, s22, v73
	v_add_co_ci_u32_e64 v74, null, s23, v74, s0
	global_store_dwordx2 v[75:76], v[55:56], off
	s_waitcnt vmcnt(0)
	global_store_dword v[73:74], v77, off
	s_or_b32 exec_lo, exec_lo, s21
	s_and_saveexec_b32 s21, s79
	s_cbranch_execz .LBB38_75
.LBB38_131:                             ;   in Loop: Header=BB38_21 Depth=1
	v_add_co_u32 v73, s0, s24, v19
	v_add_co_ci_u32_e64 v74, null, s25, v20, s0
	v_add_co_u32 v75, s0, s24, v43
	v_add_co_ci_u32_e64 v76, null, s25, v44, s0
	;; [unrolled: 2-line block ×4, first 2 shown]
	v_cndmask_b32_e32 v73, v75, v73, vcc_lo
	v_cndmask_b32_e32 v74, v76, v74, vcc_lo
	global_load_dword v77, v[73:74], off
	v_add_co_u32 v73, s0, 0, v68
	v_add_co_ci_u32_e64 v74, null, v13, v7, s0
	v_add_nc_u32_e32 v74, 0xc0, v74
	v_ashrrev_i64 v[75:76], 29, v[73:74]
	v_ashrrev_i64 v[73:74], 30, v[73:74]
	v_add_co_u32 v75, s0, s4, v75
	v_add_co_ci_u32_e64 v76, null, s5, v76, s0
	v_add_co_u32 v73, s0, s22, v73
	v_add_co_ci_u32_e64 v74, null, s23, v74, s0
	global_store_dwordx2 v[75:76], v[57:58], off
	s_waitcnt vmcnt(0)
	global_store_dword v[73:74], v77, off
	s_or_b32 exec_lo, exec_lo, s21
	s_and_saveexec_b32 s21, s80
	s_cbranch_execz .LBB38_76
.LBB38_132:                             ;   in Loop: Header=BB38_21 Depth=1
	v_add_co_u32 v73, s0, s24, v19
	v_add_co_ci_u32_e64 v74, null, s25, v20, s0
	v_add_co_u32 v75, s0, s24, v45
	v_add_co_ci_u32_e64 v76, null, s25, v46, s0
	;; [unrolled: 2-line block ×4, first 2 shown]
	v_cndmask_b32_e32 v73, v75, v73, vcc_lo
	v_cndmask_b32_e32 v74, v76, v74, vcc_lo
	global_load_dword v77, v[73:74], off
	v_add_co_u32 v73, s0, 0, v68
	v_add_co_ci_u32_e64 v74, null, v13, v7, s0
	v_add_nc_u32_e32 v74, 0xe0, v74
	v_ashrrev_i64 v[75:76], 29, v[73:74]
	v_ashrrev_i64 v[73:74], 30, v[73:74]
	v_add_co_u32 v75, s0, s4, v75
	v_add_co_ci_u32_e64 v76, null, s5, v76, s0
	v_add_co_u32 v73, s0, s22, v73
	v_add_co_ci_u32_e64 v74, null, s23, v74, s0
	global_store_dwordx2 v[75:76], v[61:62], off
	s_waitcnt vmcnt(0)
	global_store_dword v[73:74], v77, off
	s_or_b32 exec_lo, exec_lo, s21
	s_and_saveexec_b32 s21, s81
	s_cbranch_execz .LBB38_77
.LBB38_133:                             ;   in Loop: Header=BB38_21 Depth=1
	v_add_co_u32 v73, s0, s24, v31
	v_add_co_ci_u32_e64 v74, null, s25, v32, s0
	v_add_co_u32 v75, s0, s24, v17
	v_add_co_ci_u32_e64 v76, null, s25, v18, s0
	v_add_co_u32 v73, s0, 0x300, v73
	v_add_co_ci_u32_e64 v74, null, 0, v74, s0
	v_cndmask_b32_e32 v73, v73, v75, vcc_lo
	v_cndmask_b32_e32 v74, v74, v76, vcc_lo
	global_load_dword v77, v[73:74], off
	v_add_co_u32 v73, s0, 0, v66
	v_add_co_ci_u32_e64 v74, null, v13, v5, s0
	v_ashrrev_i64 v[75:76], 29, v[73:74]
	v_ashrrev_i64 v[73:74], 30, v[73:74]
	v_add_co_u32 v75, s0, s4, v75
	v_add_co_ci_u32_e64 v76, null, s5, v76, s0
	v_add_co_u32 v73, s0, s22, v73
	v_add_co_ci_u32_e64 v74, null, s23, v74, s0
	global_store_dwordx2 v[75:76], v[59:60], off
	s_waitcnt vmcnt(0)
	global_store_dword v[73:74], v77, off
	s_or_b32 exec_lo, exec_lo, s21
	s_and_saveexec_b32 s21, s82
	s_cbranch_execz .LBB38_78
.LBB38_134:                             ;   in Loop: Header=BB38_21 Depth=1
	v_add_co_u32 v73, s0, s24, v17
	v_add_co_ci_u32_e64 v74, null, s25, v18, s0
	v_add_co_u32 v75, s0, s24, v33
	v_add_co_ci_u32_e64 v76, null, s25, v34, s0
	;; [unrolled: 2-line block ×4, first 2 shown]
	v_cndmask_b32_e32 v73, v75, v73, vcc_lo
	v_cndmask_b32_e32 v74, v76, v74, vcc_lo
	global_load_dword v77, v[73:74], off
	v_add_co_u32 v73, s0, 0, v66
	v_add_co_ci_u32_e64 v74, null, v13, v5, s0
	v_add_nc_u32_e32 v74, 32, v74
	v_ashrrev_i64 v[75:76], 29, v[73:74]
	v_ashrrev_i64 v[73:74], 30, v[73:74]
	v_add_co_u32 v75, s0, s4, v75
	v_add_co_ci_u32_e64 v76, null, s5, v76, s0
	v_add_co_u32 v73, s0, s22, v73
	v_add_co_ci_u32_e64 v74, null, s23, v74, s0
	global_store_dwordx2 v[75:76], v[47:48], off
	s_waitcnt vmcnt(0)
	global_store_dword v[73:74], v77, off
	s_or_b32 exec_lo, exec_lo, s21
	s_and_saveexec_b32 s21, s83
	s_cbranch_execz .LBB38_79
.LBB38_135:                             ;   in Loop: Header=BB38_21 Depth=1
	v_add_co_u32 v73, s0, s24, v17
	v_add_co_ci_u32_e64 v74, null, s25, v18, s0
	v_add_co_u32 v75, s0, s24, v35
	v_add_co_ci_u32_e64 v76, null, s25, v36, s0
	;; [unrolled: 2-line block ×4, first 2 shown]
	v_cndmask_b32_e32 v73, v75, v73, vcc_lo
	v_cndmask_b32_e32 v74, v76, v74, vcc_lo
	global_load_dword v77, v[73:74], off
	v_add_co_u32 v73, s0, 0, v66
	v_add_co_ci_u32_e64 v74, null, v13, v5, s0
	v_add_nc_u32_e32 v74, 64, v74
	v_ashrrev_i64 v[75:76], 29, v[73:74]
	v_ashrrev_i64 v[73:74], 30, v[73:74]
	v_add_co_u32 v75, s0, s4, v75
	v_add_co_ci_u32_e64 v76, null, s5, v76, s0
	v_add_co_u32 v73, s0, s22, v73
	v_add_co_ci_u32_e64 v74, null, s23, v74, s0
	global_store_dwordx2 v[75:76], v[49:50], off
	s_waitcnt vmcnt(0)
	global_store_dword v[73:74], v77, off
	s_or_b32 exec_lo, exec_lo, s21
	s_and_saveexec_b32 s21, s84
	s_cbranch_execz .LBB38_80
.LBB38_136:                             ;   in Loop: Header=BB38_21 Depth=1
	v_add_co_u32 v73, s0, s24, v17
	v_add_co_ci_u32_e64 v74, null, s25, v18, s0
	v_add_co_u32 v75, s0, s24, v37
	v_add_co_ci_u32_e64 v76, null, s25, v38, s0
	;; [unrolled: 2-line block ×4, first 2 shown]
	v_cndmask_b32_e32 v73, v75, v73, vcc_lo
	v_cndmask_b32_e32 v74, v76, v74, vcc_lo
	global_load_dword v77, v[73:74], off
	v_add_co_u32 v73, s0, 0, v66
	v_add_co_ci_u32_e64 v74, null, v13, v5, s0
	v_add_nc_u32_e32 v74, 0x60, v74
	v_ashrrev_i64 v[75:76], 29, v[73:74]
	v_ashrrev_i64 v[73:74], 30, v[73:74]
	v_add_co_u32 v75, s0, s4, v75
	v_add_co_ci_u32_e64 v76, null, s5, v76, s0
	v_add_co_u32 v73, s0, s22, v73
	v_add_co_ci_u32_e64 v74, null, s23, v74, s0
	global_store_dwordx2 v[75:76], v[51:52], off
	s_waitcnt vmcnt(0)
	global_store_dword v[73:74], v77, off
	s_or_b32 exec_lo, exec_lo, s21
	s_and_saveexec_b32 s21, s85
	s_cbranch_execz .LBB38_81
.LBB38_137:                             ;   in Loop: Header=BB38_21 Depth=1
	v_add_co_u32 v73, s0, s24, v17
	v_add_co_ci_u32_e64 v74, null, s25, v18, s0
	v_add_co_u32 v75, s0, s24, v39
	v_add_co_ci_u32_e64 v76, null, s25, v40, s0
	;; [unrolled: 2-line block ×4, first 2 shown]
	v_cndmask_b32_e32 v73, v75, v73, vcc_lo
	v_cndmask_b32_e32 v74, v76, v74, vcc_lo
	global_load_dword v77, v[73:74], off
	v_add_co_u32 v73, s0, 0, v66
	v_add_co_ci_u32_e64 v74, null, v13, v5, s0
	v_add_nc_u32_e32 v74, 0x80, v74
	v_ashrrev_i64 v[75:76], 29, v[73:74]
	v_ashrrev_i64 v[73:74], 30, v[73:74]
	v_add_co_u32 v75, s0, s4, v75
	v_add_co_ci_u32_e64 v76, null, s5, v76, s0
	v_add_co_u32 v73, s0, s22, v73
	v_add_co_ci_u32_e64 v74, null, s23, v74, s0
	global_store_dwordx2 v[75:76], v[53:54], off
	s_waitcnt vmcnt(0)
	global_store_dword v[73:74], v77, off
	s_or_b32 exec_lo, exec_lo, s21
	s_and_saveexec_b32 s21, s86
	s_cbranch_execz .LBB38_82
.LBB38_138:                             ;   in Loop: Header=BB38_21 Depth=1
	v_add_co_u32 v73, s0, s24, v17
	v_add_co_ci_u32_e64 v74, null, s25, v18, s0
	v_add_co_u32 v75, s0, s24, v41
	v_add_co_ci_u32_e64 v76, null, s25, v42, s0
	;; [unrolled: 2-line block ×4, first 2 shown]
	v_cndmask_b32_e32 v73, v75, v73, vcc_lo
	v_cndmask_b32_e32 v74, v76, v74, vcc_lo
	global_load_dword v77, v[73:74], off
	v_add_co_u32 v73, s0, 0, v66
	v_add_co_ci_u32_e64 v74, null, v13, v5, s0
	v_add_nc_u32_e32 v74, 0xa0, v74
	v_ashrrev_i64 v[75:76], 29, v[73:74]
	v_ashrrev_i64 v[73:74], 30, v[73:74]
	v_add_co_u32 v75, s0, s4, v75
	v_add_co_ci_u32_e64 v76, null, s5, v76, s0
	v_add_co_u32 v73, s0, s22, v73
	v_add_co_ci_u32_e64 v74, null, s23, v74, s0
	global_store_dwordx2 v[75:76], v[55:56], off
	s_waitcnt vmcnt(0)
	global_store_dword v[73:74], v77, off
	s_or_b32 exec_lo, exec_lo, s21
	s_and_saveexec_b32 s21, s87
	s_cbranch_execz .LBB38_83
.LBB38_139:                             ;   in Loop: Header=BB38_21 Depth=1
	v_add_co_u32 v73, s0, s24, v17
	v_add_co_ci_u32_e64 v74, null, s25, v18, s0
	v_add_co_u32 v75, s0, s24, v43
	v_add_co_ci_u32_e64 v76, null, s25, v44, s0
	v_cndmask_b32_e32 v73, v75, v73, vcc_lo
	v_cndmask_b32_e32 v74, v76, v74, vcc_lo
	global_load_dword v77, v[73:74], off offset:768
	v_add_co_u32 v73, s0, 0, v66
	v_add_co_ci_u32_e64 v74, null, v13, v5, s0
	v_add_nc_u32_e32 v74, 0xc0, v74
	v_ashrrev_i64 v[75:76], 29, v[73:74]
	v_ashrrev_i64 v[73:74], 30, v[73:74]
	v_add_co_u32 v75, s0, s4, v75
	v_add_co_ci_u32_e64 v76, null, s5, v76, s0
	v_add_co_u32 v73, s0, s22, v73
	v_add_co_ci_u32_e64 v74, null, s23, v74, s0
	global_store_dwordx2 v[75:76], v[57:58], off
	s_waitcnt vmcnt(0)
	global_store_dword v[73:74], v77, off
	s_or_b32 exec_lo, exec_lo, s21
	s_and_saveexec_b32 s21, s8
	s_cbranch_execz .LBB38_84
.LBB38_140:                             ;   in Loop: Header=BB38_21 Depth=1
	v_add_co_u32 v73, s0, s24, v17
	v_add_co_ci_u32_e64 v74, null, s25, v18, s0
	v_add_co_u32 v75, s0, s24, v45
	v_add_co_ci_u32_e64 v76, null, s25, v46, s0
	;; [unrolled: 2-line block ×4, first 2 shown]
	v_cndmask_b32_e32 v73, v75, v73, vcc_lo
	v_cndmask_b32_e32 v74, v76, v74, vcc_lo
	global_load_dword v77, v[73:74], off
	v_add_co_u32 v73, s0, 0, v66
	v_add_co_ci_u32_e64 v74, null, v13, v5, s0
	v_add_nc_u32_e32 v74, 0xe0, v74
	v_ashrrev_i64 v[75:76], 29, v[73:74]
	v_ashrrev_i64 v[73:74], 30, v[73:74]
	v_add_co_u32 v75, s0, s4, v75
	v_add_co_ci_u32_e64 v76, null, s5, v76, s0
	v_add_co_u32 v73, s0, s22, v73
	v_add_co_ci_u32_e64 v74, null, s23, v74, s0
	global_store_dwordx2 v[75:76], v[61:62], off
	s_waitcnt vmcnt(0)
	global_store_dword v[73:74], v77, off
	s_or_b32 exec_lo, exec_lo, s21
	s_and_saveexec_b32 s21, s10
	s_cbranch_execz .LBB38_85
.LBB38_141:                             ;   in Loop: Header=BB38_21 Depth=1
	v_add_co_u32 v73, s0, s24, v31
	v_add_co_ci_u32_e64 v74, null, s25, v32, s0
	v_add_co_u32 v75, s0, s24, v15
	v_add_co_ci_u32_e64 v76, null, s25, v16, s0
	;; [unrolled: 2-line block ×3, first 2 shown]
	v_cndmask_b32_e32 v73, v73, v75, vcc_lo
	v_cndmask_b32_e32 v74, v74, v76, vcc_lo
	global_load_dword v77, v[73:74], off
	v_add_co_u32 v73, s0, 0, v64
	v_add_co_ci_u32_e64 v74, null, v13, v3, s0
	v_ashrrev_i64 v[75:76], 29, v[73:74]
	v_ashrrev_i64 v[73:74], 30, v[73:74]
	v_add_co_u32 v75, s0, s4, v75
	v_add_co_ci_u32_e64 v76, null, s5, v76, s0
	v_add_co_u32 v73, s0, s22, v73
	v_add_co_ci_u32_e64 v74, null, s23, v74, s0
	global_store_dwordx2 v[75:76], v[59:60], off
	s_waitcnt vmcnt(0)
	global_store_dword v[73:74], v77, off
	s_or_b32 exec_lo, exec_lo, s21
	s_and_saveexec_b32 s21, s11
	s_cbranch_execz .LBB38_86
.LBB38_142:                             ;   in Loop: Header=BB38_21 Depth=1
	v_add_co_u32 v59, s0, s24, v15
	v_add_co_ci_u32_e64 v60, null, s25, v16, s0
	v_add_co_u32 v73, s0, s24, v33
	v_add_co_ci_u32_e64 v74, null, s25, v34, s0
	;; [unrolled: 2-line block ×4, first 2 shown]
	v_cndmask_b32_e32 v59, v73, v59, vcc_lo
	v_cndmask_b32_e32 v60, v74, v60, vcc_lo
	global_load_dword v75, v[59:60], off
	v_add_co_u32 v59, s0, 0, v64
	v_add_co_ci_u32_e64 v60, null, v13, v3, s0
	v_add_nc_u32_e32 v60, 32, v60
	v_ashrrev_i64 v[73:74], 29, v[59:60]
	v_ashrrev_i64 v[59:60], 30, v[59:60]
	v_add_co_u32 v73, s0, s4, v73
	v_add_co_ci_u32_e64 v74, null, s5, v74, s0
	v_add_co_u32 v59, s0, s22, v59
	v_add_co_ci_u32_e64 v60, null, s23, v60, s0
	global_store_dwordx2 v[73:74], v[47:48], off
	s_waitcnt vmcnt(0)
	global_store_dword v[59:60], v75, off
	s_or_b32 exec_lo, exec_lo, s21
	s_and_saveexec_b32 s21, s12
	s_cbranch_execz .LBB38_87
.LBB38_143:                             ;   in Loop: Header=BB38_21 Depth=1
	v_add_co_u32 v47, s0, s24, v15
	v_add_co_ci_u32_e64 v48, null, s25, v16, s0
	v_add_co_u32 v59, s0, s24, v35
	v_add_co_ci_u32_e64 v60, null, s25, v36, s0
	;; [unrolled: 2-line block ×4, first 2 shown]
	v_cndmask_b32_e32 v47, v59, v47, vcc_lo
	v_cndmask_b32_e32 v48, v60, v48, vcc_lo
	global_load_dword v73, v[47:48], off
	v_add_co_u32 v47, s0, 0, v64
	v_add_co_ci_u32_e64 v48, null, v13, v3, s0
	v_add_nc_u32_e32 v48, 64, v48
	v_ashrrev_i64 v[59:60], 29, v[47:48]
	v_ashrrev_i64 v[47:48], 30, v[47:48]
	v_add_co_u32 v59, s0, s4, v59
	v_add_co_ci_u32_e64 v60, null, s5, v60, s0
	v_add_co_u32 v47, s0, s22, v47
	v_add_co_ci_u32_e64 v48, null, s23, v48, s0
	global_store_dwordx2 v[59:60], v[49:50], off
	s_waitcnt vmcnt(0)
	global_store_dword v[47:48], v73, off
	s_or_b32 exec_lo, exec_lo, s21
	s_and_saveexec_b32 s21, s13
	s_cbranch_execz .LBB38_88
.LBB38_144:                             ;   in Loop: Header=BB38_21 Depth=1
	v_add_co_u32 v47, s0, s24, v15
	v_add_co_ci_u32_e64 v48, null, s25, v16, s0
	v_add_co_u32 v49, s0, s24, v37
	v_add_co_ci_u32_e64 v50, null, s25, v38, s0
	;; [unrolled: 2-line block ×4, first 2 shown]
	v_cndmask_b32_e32 v47, v49, v47, vcc_lo
	v_cndmask_b32_e32 v48, v50, v48, vcc_lo
	global_load_dword v59, v[47:48], off
	v_add_co_u32 v47, s0, 0, v64
	v_add_co_ci_u32_e64 v48, null, v13, v3, s0
	v_add_nc_u32_e32 v48, 0x60, v48
	v_ashrrev_i64 v[49:50], 29, v[47:48]
	v_ashrrev_i64 v[47:48], 30, v[47:48]
	v_add_co_u32 v49, s0, s4, v49
	v_add_co_ci_u32_e64 v50, null, s5, v50, s0
	v_add_co_u32 v47, s0, s22, v47
	v_add_co_ci_u32_e64 v48, null, s23, v48, s0
	global_store_dwordx2 v[49:50], v[51:52], off
	s_waitcnt vmcnt(0)
	global_store_dword v[47:48], v59, off
	s_or_b32 exec_lo, exec_lo, s21
	s_and_saveexec_b32 s21, s14
	s_cbranch_execz .LBB38_89
.LBB38_145:                             ;   in Loop: Header=BB38_21 Depth=1
	v_add_co_u32 v47, s0, s24, v15
	v_add_co_ci_u32_e64 v48, null, s25, v16, s0
	v_add_co_u32 v49, s0, s24, v39
	v_add_co_ci_u32_e64 v50, null, s25, v40, s0
	;; [unrolled: 2-line block ×4, first 2 shown]
	v_cndmask_b32_e32 v47, v49, v47, vcc_lo
	v_cndmask_b32_e32 v48, v50, v48, vcc_lo
	global_load_dword v51, v[47:48], off
	v_add_co_u32 v47, s0, 0, v64
	v_add_co_ci_u32_e64 v48, null, v13, v3, s0
	v_add_nc_u32_e32 v48, 0x80, v48
	v_ashrrev_i64 v[49:50], 29, v[47:48]
	v_ashrrev_i64 v[47:48], 30, v[47:48]
	v_add_co_u32 v49, s0, s4, v49
	v_add_co_ci_u32_e64 v50, null, s5, v50, s0
	v_add_co_u32 v47, s0, s22, v47
	v_add_co_ci_u32_e64 v48, null, s23, v48, s0
	global_store_dwordx2 v[49:50], v[53:54], off
	s_waitcnt vmcnt(0)
	global_store_dword v[47:48], v51, off
	s_or_b32 exec_lo, exec_lo, s21
	s_and_saveexec_b32 s21, s15
	s_cbranch_execz .LBB38_90
.LBB38_146:                             ;   in Loop: Header=BB38_21 Depth=1
	v_add_co_u32 v47, s0, s24, v15
	v_add_co_ci_u32_e64 v48, null, s25, v16, s0
	v_add_co_u32 v49, s0, s24, v41
	v_add_co_ci_u32_e64 v50, null, s25, v42, s0
	;; [unrolled: 2-line block ×4, first 2 shown]
	v_cndmask_b32_e32 v47, v49, v47, vcc_lo
	v_cndmask_b32_e32 v48, v50, v48, vcc_lo
	global_load_dword v51, v[47:48], off
	v_add_co_u32 v47, s0, 0, v64
	v_add_co_ci_u32_e64 v48, null, v13, v3, s0
	v_add_nc_u32_e32 v48, 0xa0, v48
	v_ashrrev_i64 v[49:50], 29, v[47:48]
	v_ashrrev_i64 v[47:48], 30, v[47:48]
	v_add_co_u32 v49, s0, s4, v49
	v_add_co_ci_u32_e64 v50, null, s5, v50, s0
	v_add_co_u32 v47, s0, s22, v47
	v_add_co_ci_u32_e64 v48, null, s23, v48, s0
	global_store_dwordx2 v[49:50], v[55:56], off
	s_waitcnt vmcnt(0)
	global_store_dword v[47:48], v51, off
	s_or_b32 exec_lo, exec_lo, s21
	s_and_saveexec_b32 s21, s16
	s_cbranch_execz .LBB38_91
.LBB38_147:                             ;   in Loop: Header=BB38_21 Depth=1
	v_add_co_u32 v47, s0, s24, v15
	v_add_co_ci_u32_e64 v48, null, s25, v16, s0
	v_add_co_u32 v49, s0, s24, v43
	v_add_co_ci_u32_e64 v50, null, s25, v44, s0
	;; [unrolled: 2-line block ×4, first 2 shown]
	v_cndmask_b32_e32 v47, v49, v47, vcc_lo
	v_cndmask_b32_e32 v48, v50, v48, vcc_lo
	global_load_dword v51, v[47:48], off
	v_add_co_u32 v47, s0, 0, v64
	v_add_co_ci_u32_e64 v48, null, v13, v3, s0
	v_add_nc_u32_e32 v48, 0xc0, v48
	v_ashrrev_i64 v[49:50], 29, v[47:48]
	v_ashrrev_i64 v[47:48], 30, v[47:48]
	v_add_co_u32 v49, s0, s4, v49
	v_add_co_ci_u32_e64 v50, null, s5, v50, s0
	v_add_co_u32 v47, s0, s22, v47
	v_add_co_ci_u32_e64 v48, null, s23, v48, s0
	global_store_dwordx2 v[49:50], v[57:58], off
	s_waitcnt vmcnt(0)
	global_store_dword v[47:48], v51, off
	s_or_b32 exec_lo, exec_lo, s21
	s_and_saveexec_b32 s21, s9
	s_cbranch_execz .LBB38_20
.LBB38_148:                             ;   in Loop: Header=BB38_21 Depth=1
	v_add_co_u32 v47, s0, s24, v15
	v_add_co_ci_u32_e64 v48, null, s25, v16, s0
	v_add_co_u32 v49, s0, s24, v45
	v_add_co_ci_u32_e64 v50, null, s25, v46, s0
	v_cndmask_b32_e32 v47, v49, v47, vcc_lo
	v_cndmask_b32_e32 v48, v50, v48, vcc_lo
	global_load_dword v51, v[47:48], off offset:896
	v_add_co_u32 v47, s0, 0, v64
	v_add_co_ci_u32_e64 v48, null, v13, v3, s0
	v_add_nc_u32_e32 v48, 0xe0, v48
	v_ashrrev_i64 v[49:50], 29, v[47:48]
	v_ashrrev_i64 v[47:48], 30, v[47:48]
	v_add_co_u32 v49, s0, s4, v49
	v_add_co_ci_u32_e64 v50, null, s5, v50, s0
	v_add_co_u32 v47, s0, s22, v47
	v_add_co_ci_u32_e64 v48, null, s23, v48, s0
	global_store_dwordx2 v[49:50], v[61:62], off
	s_waitcnt vmcnt(0)
	global_store_dword v[47:48], v51, off
	s_branch .LBB38_20
.LBB38_149:
	s_endpgm
	.section	.rodata,"a",@progbits
	.p2align	6, 0x0
	.amdhsa_kernel _ZN9rocsparseL35bsr2csr_block_per_row_33_256_kernelILj1024ELj256ELj32EiilEEv20rocsparse_direction_T4_S2_21rocsparse_index_base_PKT2_PKT3_PKS2_S2_S3_PS4_PS7_PS2_
		.amdhsa_group_segment_fixed_size 0
		.amdhsa_private_segment_fixed_size 0
		.amdhsa_kernarg_size 96
		.amdhsa_user_sgpr_count 6
		.amdhsa_user_sgpr_private_segment_buffer 1
		.amdhsa_user_sgpr_dispatch_ptr 0
		.amdhsa_user_sgpr_queue_ptr 0
		.amdhsa_user_sgpr_kernarg_segment_ptr 1
		.amdhsa_user_sgpr_dispatch_id 0
		.amdhsa_user_sgpr_flat_scratch_init 0
		.amdhsa_user_sgpr_private_segment_size 0
		.amdhsa_wavefront_size32 1
		.amdhsa_uses_dynamic_stack 0
		.amdhsa_system_sgpr_private_segment_wavefront_offset 0
		.amdhsa_system_sgpr_workgroup_id_x 1
		.amdhsa_system_sgpr_workgroup_id_y 0
		.amdhsa_system_sgpr_workgroup_id_z 0
		.amdhsa_system_sgpr_workgroup_info 0
		.amdhsa_system_vgpr_workitem_id 0
		.amdhsa_next_free_vgpr 78
		.amdhsa_next_free_sgpr 89
		.amdhsa_reserve_vcc 1
		.amdhsa_reserve_flat_scratch 0
		.amdhsa_float_round_mode_32 0
		.amdhsa_float_round_mode_16_64 0
		.amdhsa_float_denorm_mode_32 3
		.amdhsa_float_denorm_mode_16_64 3
		.amdhsa_dx10_clamp 1
		.amdhsa_ieee_mode 1
		.amdhsa_fp16_overflow 0
		.amdhsa_workgroup_processor_mode 1
		.amdhsa_memory_ordered 1
		.amdhsa_forward_progress 1
		.amdhsa_shared_vgpr_count 0
		.amdhsa_exception_fp_ieee_invalid_op 0
		.amdhsa_exception_fp_denorm_src 0
		.amdhsa_exception_fp_ieee_div_zero 0
		.amdhsa_exception_fp_ieee_overflow 0
		.amdhsa_exception_fp_ieee_underflow 0
		.amdhsa_exception_fp_ieee_inexact 0
		.amdhsa_exception_int_div_zero 0
	.end_amdhsa_kernel
	.section	.text._ZN9rocsparseL35bsr2csr_block_per_row_33_256_kernelILj1024ELj256ELj32EiilEEv20rocsparse_direction_T4_S2_21rocsparse_index_base_PKT2_PKT3_PKS2_S2_S3_PS4_PS7_PS2_,"axG",@progbits,_ZN9rocsparseL35bsr2csr_block_per_row_33_256_kernelILj1024ELj256ELj32EiilEEv20rocsparse_direction_T4_S2_21rocsparse_index_base_PKT2_PKT3_PKS2_S2_S3_PS4_PS7_PS2_,comdat
.Lfunc_end38:
	.size	_ZN9rocsparseL35bsr2csr_block_per_row_33_256_kernelILj1024ELj256ELj32EiilEEv20rocsparse_direction_T4_S2_21rocsparse_index_base_PKT2_PKT3_PKS2_S2_S3_PS4_PS7_PS2_, .Lfunc_end38-_ZN9rocsparseL35bsr2csr_block_per_row_33_256_kernelILj1024ELj256ELj32EiilEEv20rocsparse_direction_T4_S2_21rocsparse_index_base_PKT2_PKT3_PKS2_S2_S3_PS4_PS7_PS2_
                                        ; -- End function
	.set _ZN9rocsparseL35bsr2csr_block_per_row_33_256_kernelILj1024ELj256ELj32EiilEEv20rocsparse_direction_T4_S2_21rocsparse_index_base_PKT2_PKT3_PKS2_S2_S3_PS4_PS7_PS2_.num_vgpr, 78
	.set _ZN9rocsparseL35bsr2csr_block_per_row_33_256_kernelILj1024ELj256ELj32EiilEEv20rocsparse_direction_T4_S2_21rocsparse_index_base_PKT2_PKT3_PKS2_S2_S3_PS4_PS7_PS2_.num_agpr, 0
	.set _ZN9rocsparseL35bsr2csr_block_per_row_33_256_kernelILj1024ELj256ELj32EiilEEv20rocsparse_direction_T4_S2_21rocsparse_index_base_PKT2_PKT3_PKS2_S2_S3_PS4_PS7_PS2_.numbered_sgpr, 89
	.set _ZN9rocsparseL35bsr2csr_block_per_row_33_256_kernelILj1024ELj256ELj32EiilEEv20rocsparse_direction_T4_S2_21rocsparse_index_base_PKT2_PKT3_PKS2_S2_S3_PS4_PS7_PS2_.num_named_barrier, 0
	.set _ZN9rocsparseL35bsr2csr_block_per_row_33_256_kernelILj1024ELj256ELj32EiilEEv20rocsparse_direction_T4_S2_21rocsparse_index_base_PKT2_PKT3_PKS2_S2_S3_PS4_PS7_PS2_.private_seg_size, 0
	.set _ZN9rocsparseL35bsr2csr_block_per_row_33_256_kernelILj1024ELj256ELj32EiilEEv20rocsparse_direction_T4_S2_21rocsparse_index_base_PKT2_PKT3_PKS2_S2_S3_PS4_PS7_PS2_.uses_vcc, 1
	.set _ZN9rocsparseL35bsr2csr_block_per_row_33_256_kernelILj1024ELj256ELj32EiilEEv20rocsparse_direction_T4_S2_21rocsparse_index_base_PKT2_PKT3_PKS2_S2_S3_PS4_PS7_PS2_.uses_flat_scratch, 0
	.set _ZN9rocsparseL35bsr2csr_block_per_row_33_256_kernelILj1024ELj256ELj32EiilEEv20rocsparse_direction_T4_S2_21rocsparse_index_base_PKT2_PKT3_PKS2_S2_S3_PS4_PS7_PS2_.has_dyn_sized_stack, 0
	.set _ZN9rocsparseL35bsr2csr_block_per_row_33_256_kernelILj1024ELj256ELj32EiilEEv20rocsparse_direction_T4_S2_21rocsparse_index_base_PKT2_PKT3_PKS2_S2_S3_PS4_PS7_PS2_.has_recursion, 0
	.set _ZN9rocsparseL35bsr2csr_block_per_row_33_256_kernelILj1024ELj256ELj32EiilEEv20rocsparse_direction_T4_S2_21rocsparse_index_base_PKT2_PKT3_PKS2_S2_S3_PS4_PS7_PS2_.has_indirect_call, 0
	.section	.AMDGPU.csdata,"",@progbits
; Kernel info:
; codeLenInByte = 14728
; TotalNumSgprs: 91
; NumVgprs: 78
; ScratchSize: 0
; MemoryBound: 0
; FloatMode: 240
; IeeeMode: 1
; LDSByteSize: 0 bytes/workgroup (compile time only)
; SGPRBlocks: 0
; VGPRBlocks: 9
; NumSGPRsForWavesPerEU: 91
; NumVGPRsForWavesPerEU: 78
; Occupancy: 12
; WaveLimiterHint : 1
; COMPUTE_PGM_RSRC2:SCRATCH_EN: 0
; COMPUTE_PGM_RSRC2:USER_SGPR: 6
; COMPUTE_PGM_RSRC2:TRAP_HANDLER: 0
; COMPUTE_PGM_RSRC2:TGID_X_EN: 1
; COMPUTE_PGM_RSRC2:TGID_Y_EN: 0
; COMPUTE_PGM_RSRC2:TGID_Z_EN: 0
; COMPUTE_PGM_RSRC2:TIDIG_COMP_CNT: 0
	.section	.text._ZN9rocsparseL35bsr2csr_block_dim_equals_one_kernelILj1024EillEEvT2_S1_21rocsparse_index_base_PKT0_PKT1_PKS1_S2_PS3_PS6_PS1_,"axG",@progbits,_ZN9rocsparseL35bsr2csr_block_dim_equals_one_kernelILj1024EillEEvT2_S1_21rocsparse_index_base_PKT0_PKT1_PKS1_S2_PS3_PS6_PS1_,comdat
	.globl	_ZN9rocsparseL35bsr2csr_block_dim_equals_one_kernelILj1024EillEEvT2_S1_21rocsparse_index_base_PKT0_PKT1_PKS1_S2_PS3_PS6_PS1_ ; -- Begin function _ZN9rocsparseL35bsr2csr_block_dim_equals_one_kernelILj1024EillEEvT2_S1_21rocsparse_index_base_PKT0_PKT1_PKS1_S2_PS3_PS6_PS1_
	.p2align	8
	.type	_ZN9rocsparseL35bsr2csr_block_dim_equals_one_kernelILj1024EillEEvT2_S1_21rocsparse_index_base_PKT0_PKT1_PKS1_S2_PS3_PS6_PS1_,@function
_ZN9rocsparseL35bsr2csr_block_dim_equals_one_kernelILj1024EillEEvT2_S1_21rocsparse_index_base_PKT0_PKT1_PKS1_S2_PS3_PS6_PS1_: ; @_ZN9rocsparseL35bsr2csr_block_dim_equals_one_kernelILj1024EillEEvT2_S1_21rocsparse_index_base_PKT0_PKT1_PKS1_S2_PS3_PS6_PS1_
; %bb.0:
	s_clause 0x6
	s_load_dwordx2 s[0:1], s[4:5], 0x0
	s_load_dword s18, s[4:5], 0x10
	s_load_dwordx4 s[8:11], s[4:5], 0x18
	s_load_dwordx2 s[2:3], s[4:5], 0x28
	s_load_dwordx2 s[12:13], s[4:5], 0x48
	s_load_dword s19, s[4:5], 0x30
	s_load_dwordx2 s[14:15], s[4:5], 0x38
	v_lshl_or_b32 v0, s6, 10, v0
	v_mov_b32_e32 v1, 0
	s_mov_b32 s20, exec_lo
	s_waitcnt lgkmcnt(0)
	v_cmpx_gt_i64_e64 s[0:1], v[0:1]
	s_cbranch_execz .LBB39_6
; %bb.1:
	s_load_dwordx2 s[6:7], s[4:5], 0x40
	s_mov_b32 s21, exec_lo
                                        ; implicit-def: $sgpr16_sgpr17
	v_cmpx_ne_u32_e32 0, v0
	s_xor_b32 s21, exec_lo, s21
; %bb.2:
	s_sub_u32 s16, s19, s18
	s_subb_u32 s17, 0, 0
; %bb.3:
	s_or_saveexec_b32 s21, s21
	v_mov_b32_e32 v2, s16
	v_mov_b32_e32 v3, s17
	s_xor_b32 exec_lo, exec_lo, s21
	s_cbranch_execz .LBB39_5
; %bb.4:
	s_load_dwordx2 s[16:17], s[10:11], 0x0
	s_sub_u32 s22, s19, s18
	s_subb_u32 s23, 0, 0
	v_mov_b32_e32 v2, s22
	v_mov_b32_e32 v6, 0
	;; [unrolled: 1-line block ×3, first 2 shown]
	s_waitcnt lgkmcnt(0)
	s_add_u32 s16, s22, s16
	s_addc_u32 s17, s23, s17
	v_mov_b32_e32 v4, s16
	v_mov_b32_e32 v5, s17
	global_store_dwordx2 v6, v[4:5], s[6:7]
.LBB39_5:
	s_or_b32 exec_lo, exec_lo, s21
	v_lshlrev_b64 v[4:5], 3, v[0:1]
	v_add_co_u32 v6, vcc_lo, s10, v4
	v_add_co_ci_u32_e64 v7, null, s11, v5, vcc_lo
	global_load_dwordx2 v[6:7], v[6:7], off offset:8
	s_waitcnt vmcnt(0)
	v_add_co_u32 v2, vcc_lo, v2, v6
	v_add_co_ci_u32_e64 v3, null, v3, v7, vcc_lo
	s_waitcnt lgkmcnt(0)
	v_add_co_u32 v4, vcc_lo, s6, v4
	v_add_co_ci_u32_e64 v5, null, s7, v5, vcc_lo
	global_store_dwordx2 v[4:5], v[2:3], off offset:8
.LBB39_6:
	s_or_b32 exec_lo, exec_lo, s20
	s_lshl_b64 s[0:1], s[0:1], 3
	s_add_u32 s0, s10, s0
	s_addc_u32 s1, s11, s1
	s_clause 0x1
	s_load_dwordx2 s[0:1], s[0:1], 0x0
	s_load_dwordx2 s[6:7], s[10:11], 0x0
	s_waitcnt lgkmcnt(0)
	s_sub_u32 s6, s0, s6
	s_subb_u32 s7, s1, s7
	s_mov_b32 s0, exec_lo
	v_cmpx_gt_i64_e64 s[6:7], v[0:1]
	s_cbranch_execz .LBB39_9
; %bb.7:
	s_load_dword s0, s[4:5], 0x50
	v_lshlrev_b64 v[2:3], 2, v[0:1]
	v_lshlrev_b64 v[4:5], 3, v[0:1]
	s_sub_u32 s18, s19, s18
	s_mov_b32 s5, 0
	s_subb_u32 s19, 0, 0
	s_waitcnt lgkmcnt(0)
	s_lshl_b32 s4, s0, 10
	s_lshl_b64 s[10:11], s[4:5], 2
	s_lshl_b64 s[16:17], s[4:5], 3
	s_inst_prefetch 0x1
	.p2align	6
.LBB39_8:                               ; =>This Inner Loop Header: Depth=1
	v_add_co_u32 v6, vcc_lo, s2, v4
	v_add_co_ci_u32_e64 v7, null, s3, v5, vcc_lo
	v_add_co_u32 v8, vcc_lo, s8, v2
	v_add_co_ci_u32_e64 v9, null, s9, v3, vcc_lo
	global_load_dwordx2 v[6:7], v[6:7], off
	global_load_dword v12, v[8:9], off
	v_add_co_u32 v8, vcc_lo, s12, v4
	v_add_co_ci_u32_e64 v9, null, s13, v5, vcc_lo
	v_add_co_u32 v10, vcc_lo, s14, v2
	v_add_co_ci_u32_e64 v11, null, s15, v3, vcc_lo
	;; [unrolled: 2-line block ×4, first 2 shown]
	v_cmp_le_i64_e64 s0, s[6:7], v[0:1]
	v_add_co_u32 v4, vcc_lo, v4, s16
	v_add_co_ci_u32_e64 v5, null, s17, v5, vcc_lo
	s_or_b32 s5, s0, s5
	s_waitcnt vmcnt(1)
	v_add_co_u32 v6, s1, s18, v6
	v_add_co_ci_u32_e64 v7, null, s19, v7, s1
	s_waitcnt vmcnt(0)
	global_store_dword v[10:11], v12, off
	global_store_dwordx2 v[8:9], v[6:7], off
	s_andn2_b32 exec_lo, exec_lo, s5
	s_cbranch_execnz .LBB39_8
.LBB39_9:
	s_inst_prefetch 0x2
	s_endpgm
	.section	.rodata,"a",@progbits
	.p2align	6, 0x0
	.amdhsa_kernel _ZN9rocsparseL35bsr2csr_block_dim_equals_one_kernelILj1024EillEEvT2_S1_21rocsparse_index_base_PKT0_PKT1_PKS1_S2_PS3_PS6_PS1_
		.amdhsa_group_segment_fixed_size 0
		.amdhsa_private_segment_fixed_size 0
		.amdhsa_kernarg_size 336
		.amdhsa_user_sgpr_count 6
		.amdhsa_user_sgpr_private_segment_buffer 1
		.amdhsa_user_sgpr_dispatch_ptr 0
		.amdhsa_user_sgpr_queue_ptr 0
		.amdhsa_user_sgpr_kernarg_segment_ptr 1
		.amdhsa_user_sgpr_dispatch_id 0
		.amdhsa_user_sgpr_flat_scratch_init 0
		.amdhsa_user_sgpr_private_segment_size 0
		.amdhsa_wavefront_size32 1
		.amdhsa_uses_dynamic_stack 0
		.amdhsa_system_sgpr_private_segment_wavefront_offset 0
		.amdhsa_system_sgpr_workgroup_id_x 1
		.amdhsa_system_sgpr_workgroup_id_y 0
		.amdhsa_system_sgpr_workgroup_id_z 0
		.amdhsa_system_sgpr_workgroup_info 0
		.amdhsa_system_vgpr_workitem_id 0
		.amdhsa_next_free_vgpr 13
		.amdhsa_next_free_sgpr 24
		.amdhsa_reserve_vcc 1
		.amdhsa_reserve_flat_scratch 0
		.amdhsa_float_round_mode_32 0
		.amdhsa_float_round_mode_16_64 0
		.amdhsa_float_denorm_mode_32 3
		.amdhsa_float_denorm_mode_16_64 3
		.amdhsa_dx10_clamp 1
		.amdhsa_ieee_mode 1
		.amdhsa_fp16_overflow 0
		.amdhsa_workgroup_processor_mode 1
		.amdhsa_memory_ordered 1
		.amdhsa_forward_progress 1
		.amdhsa_shared_vgpr_count 0
		.amdhsa_exception_fp_ieee_invalid_op 0
		.amdhsa_exception_fp_denorm_src 0
		.amdhsa_exception_fp_ieee_div_zero 0
		.amdhsa_exception_fp_ieee_overflow 0
		.amdhsa_exception_fp_ieee_underflow 0
		.amdhsa_exception_fp_ieee_inexact 0
		.amdhsa_exception_int_div_zero 0
	.end_amdhsa_kernel
	.section	.text._ZN9rocsparseL35bsr2csr_block_dim_equals_one_kernelILj1024EillEEvT2_S1_21rocsparse_index_base_PKT0_PKT1_PKS1_S2_PS3_PS6_PS1_,"axG",@progbits,_ZN9rocsparseL35bsr2csr_block_dim_equals_one_kernelILj1024EillEEvT2_S1_21rocsparse_index_base_PKT0_PKT1_PKS1_S2_PS3_PS6_PS1_,comdat
.Lfunc_end39:
	.size	_ZN9rocsparseL35bsr2csr_block_dim_equals_one_kernelILj1024EillEEvT2_S1_21rocsparse_index_base_PKT0_PKT1_PKS1_S2_PS3_PS6_PS1_, .Lfunc_end39-_ZN9rocsparseL35bsr2csr_block_dim_equals_one_kernelILj1024EillEEvT2_S1_21rocsparse_index_base_PKT0_PKT1_PKS1_S2_PS3_PS6_PS1_
                                        ; -- End function
	.set _ZN9rocsparseL35bsr2csr_block_dim_equals_one_kernelILj1024EillEEvT2_S1_21rocsparse_index_base_PKT0_PKT1_PKS1_S2_PS3_PS6_PS1_.num_vgpr, 13
	.set _ZN9rocsparseL35bsr2csr_block_dim_equals_one_kernelILj1024EillEEvT2_S1_21rocsparse_index_base_PKT0_PKT1_PKS1_S2_PS3_PS6_PS1_.num_agpr, 0
	.set _ZN9rocsparseL35bsr2csr_block_dim_equals_one_kernelILj1024EillEEvT2_S1_21rocsparse_index_base_PKT0_PKT1_PKS1_S2_PS3_PS6_PS1_.numbered_sgpr, 24
	.set _ZN9rocsparseL35bsr2csr_block_dim_equals_one_kernelILj1024EillEEvT2_S1_21rocsparse_index_base_PKT0_PKT1_PKS1_S2_PS3_PS6_PS1_.num_named_barrier, 0
	.set _ZN9rocsparseL35bsr2csr_block_dim_equals_one_kernelILj1024EillEEvT2_S1_21rocsparse_index_base_PKT0_PKT1_PKS1_S2_PS3_PS6_PS1_.private_seg_size, 0
	.set _ZN9rocsparseL35bsr2csr_block_dim_equals_one_kernelILj1024EillEEvT2_S1_21rocsparse_index_base_PKT0_PKT1_PKS1_S2_PS3_PS6_PS1_.uses_vcc, 1
	.set _ZN9rocsparseL35bsr2csr_block_dim_equals_one_kernelILj1024EillEEvT2_S1_21rocsparse_index_base_PKT0_PKT1_PKS1_S2_PS3_PS6_PS1_.uses_flat_scratch, 0
	.set _ZN9rocsparseL35bsr2csr_block_dim_equals_one_kernelILj1024EillEEvT2_S1_21rocsparse_index_base_PKT0_PKT1_PKS1_S2_PS3_PS6_PS1_.has_dyn_sized_stack, 0
	.set _ZN9rocsparseL35bsr2csr_block_dim_equals_one_kernelILj1024EillEEvT2_S1_21rocsparse_index_base_PKT0_PKT1_PKS1_S2_PS3_PS6_PS1_.has_recursion, 0
	.set _ZN9rocsparseL35bsr2csr_block_dim_equals_one_kernelILj1024EillEEvT2_S1_21rocsparse_index_base_PKT0_PKT1_PKS1_S2_PS3_PS6_PS1_.has_indirect_call, 0
	.section	.AMDGPU.csdata,"",@progbits
; Kernel info:
; codeLenInByte = 644
; TotalNumSgprs: 26
; NumVgprs: 13
; ScratchSize: 0
; MemoryBound: 0
; FloatMode: 240
; IeeeMode: 1
; LDSByteSize: 0 bytes/workgroup (compile time only)
; SGPRBlocks: 0
; VGPRBlocks: 1
; NumSGPRsForWavesPerEU: 26
; NumVGPRsForWavesPerEU: 13
; Occupancy: 16
; WaveLimiterHint : 0
; COMPUTE_PGM_RSRC2:SCRATCH_EN: 0
; COMPUTE_PGM_RSRC2:USER_SGPR: 6
; COMPUTE_PGM_RSRC2:TRAP_HANDLER: 0
; COMPUTE_PGM_RSRC2:TGID_X_EN: 1
; COMPUTE_PGM_RSRC2:TGID_Y_EN: 0
; COMPUTE_PGM_RSRC2:TGID_Z_EN: 0
; COMPUTE_PGM_RSRC2:TIDIG_COMP_CNT: 0
	.section	.text._ZN9rocsparseL32bsr2csr_block_per_row_2_7_kernelILj256ELj2EillEEv20rocsparse_direction_T3_S2_21rocsparse_index_base_PKT1_PKT2_PKS2_S2_S3_PS4_PS7_PS2_,"axG",@progbits,_ZN9rocsparseL32bsr2csr_block_per_row_2_7_kernelILj256ELj2EillEEv20rocsparse_direction_T3_S2_21rocsparse_index_base_PKT1_PKT2_PKS2_S2_S3_PS4_PS7_PS2_,comdat
	.globl	_ZN9rocsparseL32bsr2csr_block_per_row_2_7_kernelILj256ELj2EillEEv20rocsparse_direction_T3_S2_21rocsparse_index_base_PKT1_PKT2_PKS2_S2_S3_PS4_PS7_PS2_ ; -- Begin function _ZN9rocsparseL32bsr2csr_block_per_row_2_7_kernelILj256ELj2EillEEv20rocsparse_direction_T3_S2_21rocsparse_index_base_PKT1_PKT2_PKS2_S2_S3_PS4_PS7_PS2_
	.p2align	8
	.type	_ZN9rocsparseL32bsr2csr_block_per_row_2_7_kernelILj256ELj2EillEEv20rocsparse_direction_T3_S2_21rocsparse_index_base_PKT1_PKT2_PKS2_S2_S3_PS4_PS7_PS2_,@function
_ZN9rocsparseL32bsr2csr_block_per_row_2_7_kernelILj256ELj2EillEEv20rocsparse_direction_T3_S2_21rocsparse_index_base_PKT1_PKT2_PKS2_S2_S3_PS4_PS7_PS2_: ; @_ZN9rocsparseL32bsr2csr_block_per_row_2_7_kernelILj256ELj2EillEEv20rocsparse_direction_T3_S2_21rocsparse_index_base_PKT1_PKT2_PKS2_S2_S3_PS4_PS7_PS2_
; %bb.0:
	s_load_dwordx2 s[2:3], s[4:5], 0x28
	s_mov_b32 s13, 0
	s_clause 0x1
	s_load_dword s14, s[4:5], 0x40
	s_load_dwordx2 s[0:1], s[4:5], 0x50
	s_mov_b32 s7, s13
	v_or_b32_e32 v1, s6, v0
	s_lshl_b64 s[8:9], s[6:7], 3
	s_waitcnt lgkmcnt(0)
	s_add_u32 s2, s2, s8
	s_addc_u32 s3, s3, s9
	s_load_dwordx4 s[8:11], s[2:3], 0x0
	s_mov_b32 s2, exec_lo
	v_cmpx_eq_u32_e32 0, v1
	s_cbranch_execz .LBB40_2
; %bb.1:
	s_mov_b32 s15, s13
	v_mov_b32_e32 v1, s14
	v_mov_b32_e32 v3, 0
	;; [unrolled: 1-line block ×3, first 2 shown]
	global_store_dwordx2 v3, v[1:2], s[0:1]
.LBB40_2:
	s_or_b32 exec_lo, exec_lo, s2
	s_load_dword s12, s[4:5], 0x18
	v_lshrrev_b32_e32 v4, 1, v0
	v_and_b32_e32 v6, 1, v0
	v_lshlrev_b32_e32 v5, 3, v6
	s_waitcnt lgkmcnt(0)
	s_sub_u32 s2, s8, s12
	s_subb_u32 s3, s9, 0
	s_sub_u32 s10, s10, s12
	s_subb_u32 s11, s11, 0
	s_lshl_b64 s[16:17], s[2:3], 2
	s_sub_u32 s18, s10, s2
	s_subb_u32 s19, s11, s3
	v_add_co_u32 v0, s2, s2, v4
	v_add_co_ci_u32_e64 v1, null, s3, 0, s2
	s_lshl_b64 s[2:3], s[18:19], 1
	s_lshr_b64 s[18:19], s[18:19], 31
	v_mul_lo_u32 v2, s2, v6
	v_mul_lo_u32 v3, s18, v6
	s_add_u32 s2, s2, s14
	s_addc_u32 s3, s3, 0
	s_add_u32 s15, s2, s16
	s_addc_u32 s16, s3, s17
	s_lshl_b64 s[2:3], s[6:7], 4
	v_add_co_u32 v7, vcc_lo, s15, v2
	v_add_co_ci_u32_e64 v8, null, s16, v3, vcc_lo
	s_add_u32 s0, s0, s2
	s_addc_u32 s1, s1, s3
	global_store_dwordx2 v5, v[7:8], s[0:1] offset:8
	s_mov_b32 s0, exec_lo
	v_cmpx_gt_i64_e64 s[10:11], v[0:1]
	s_cbranch_execz .LBB40_5
; %bb.3:
	s_clause 0x4
	s_load_dwordx2 s[2:3], s[4:5], 0x30
	s_load_dwordx2 s[6:7], s[4:5], 0x48
	s_load_dword s0, s[4:5], 0x0
	s_load_dwordx2 s[16:17], s[4:5], 0x20
	s_load_dwordx2 s[4:5], s[4:5], 0x58
	v_lshlrev_b32_e32 v5, 1, v4
	v_lshlrev_b64 v[12:13], 3, v[2:3]
	v_lshlrev_b64 v[10:11], 4, v[0:1]
	v_lshlrev_b32_e32 v9, 4, v4
	v_lshlrev_b64 v[7:8], 3, v[0:1]
	v_lshl_or_b32 v14, v6, 2, v10
	v_lshl_or_b32 v10, v6, 3, v10
	s_waitcnt lgkmcnt(0)
	s_cmp_eq_u32 s0, 0
	s_cselect_b32 vcc_lo, -1, 0
	s_lshl_b64 s[0:1], s[8:9], 2
	v_add_co_u32 v2, s0, v2, s0
	v_add_co_ci_u32_e64 v3, null, s1, v3, s0
	v_add_co_u32 v2, s0, v2, v5
	v_add_co_ci_u32_e64 v3, null, 0, v3, s0
	s_lshl_b64 s[0:1], s[12:13], 2
	v_sub_co_u32 v4, s0, v2, s0
	v_subrev_co_ci_u32_e64 v5, null, s1, v3, s0
	v_add_co_u32 v2, s0, s2, v7
	v_add_co_ci_u32_e64 v3, null, s3, v8, s0
	v_lshlrev_b64 v[4:5], 2, v[4:5]
	v_add_co_u32 v7, s0, s16, v14
	v_add_co_ci_u32_e64 v8, null, s17, v11, s0
	s_lshl_b64 s[2:3], s[8:9], 5
	v_add_co_u32 v4, s0, s6, v4
	v_add_co_ci_u32_e64 v5, null, s7, v5, s0
	v_add_co_u32 v12, s0, v12, s2
	v_add_co_ci_u32_e64 v13, null, s3, v13, s0
	;; [unrolled: 2-line block ×4, first 2 shown]
	s_lshl_b64 s[0:1], s[12:13], 5
	s_mov_b32 s3, 0
	v_sub_co_u32 v9, s0, v9, s0
	v_subrev_co_ci_u32_e64 v12, null, s1, v12, s0
	v_add_co_u32 v6, s0, s4, v9
	v_add_co_ci_u32_e64 v9, null, s5, v12, s0
	v_add_co_u32 v10, s0, s16, v10
	v_add_co_ci_u32_e64 v11, null, s17, v11, s0
	s_mov_b64 s[4:5], 0
.LBB40_4:                               ; =>This Inner Loop Header: Depth=1
	global_load_dwordx2 v[12:13], v[2:3], off
	v_add_co_u32 v14, s0, v10, s4
	v_add_co_ci_u32_e64 v15, null, s5, v11, s0
	v_add_co_u32 v16, s0, v7, s4
	v_add_co_ci_u32_e64 v17, null, s5, v8, s0
	;; [unrolled: 2-line block ×4, first 2 shown]
	v_cndmask_b32_e32 v15, v17, v15, vcc_lo
	v_cndmask_b32_e32 v14, v16, v14, vcc_lo
	;; [unrolled: 1-line block ×4, first 2 shown]
	global_load_dword v14, v[14:15], off
	global_load_dword v15, v[16:17], off
	v_add_co_u32 v16, s0, v6, s4
	v_add_co_ci_u32_e64 v17, null, s5, v9, s0
	v_add_co_u32 v0, s0, 0x80, v0
	v_add_co_ci_u32_e64 v1, null, 0, v1, s0
	;; [unrolled: 2-line block ×3, first 2 shown]
	v_cmp_le_i64_e64 s0, s[10:11], v[0:1]
	s_add_u32 s4, s4, 0x800
	s_addc_u32 s5, s5, 0
	s_or_b32 s3, s0, s3
	s_waitcnt vmcnt(2)
	v_sub_co_u32 v12, s1, v12, s12
	v_subrev_co_ci_u32_e64 v13, null, 0, v13, s1
	v_lshlrev_b64 v[12:13], 1, v[12:13]
	v_add_co_u32 v12, s1, v12, s14
	v_add_co_ci_u32_e64 v13, null, 0, v13, s1
	s_waitcnt vmcnt(0)
	global_store_dwordx2 v[4:5], v[14:15], off offset:-4
	v_add_co_u32 v4, s1, 0x400, v4
	v_add_co_u32 v14, s2, v12, 1
	v_add_co_ci_u32_e64 v15, null, 0, v13, s2
	v_add_co_ci_u32_e64 v5, null, 0, v5, s1
	global_store_dwordx4 v[16:17], v[12:15], off
	s_andn2_b32 exec_lo, exec_lo, s3
	s_cbranch_execnz .LBB40_4
.LBB40_5:
	s_endpgm
	.section	.rodata,"a",@progbits
	.p2align	6, 0x0
	.amdhsa_kernel _ZN9rocsparseL32bsr2csr_block_per_row_2_7_kernelILj256ELj2EillEEv20rocsparse_direction_T3_S2_21rocsparse_index_base_PKT1_PKT2_PKS2_S2_S3_PS4_PS7_PS2_
		.amdhsa_group_segment_fixed_size 0
		.amdhsa_private_segment_fixed_size 0
		.amdhsa_kernarg_size 96
		.amdhsa_user_sgpr_count 6
		.amdhsa_user_sgpr_private_segment_buffer 1
		.amdhsa_user_sgpr_dispatch_ptr 0
		.amdhsa_user_sgpr_queue_ptr 0
		.amdhsa_user_sgpr_kernarg_segment_ptr 1
		.amdhsa_user_sgpr_dispatch_id 0
		.amdhsa_user_sgpr_flat_scratch_init 0
		.amdhsa_user_sgpr_private_segment_size 0
		.amdhsa_wavefront_size32 1
		.amdhsa_uses_dynamic_stack 0
		.amdhsa_system_sgpr_private_segment_wavefront_offset 0
		.amdhsa_system_sgpr_workgroup_id_x 1
		.amdhsa_system_sgpr_workgroup_id_y 0
		.amdhsa_system_sgpr_workgroup_id_z 0
		.amdhsa_system_sgpr_workgroup_info 0
		.amdhsa_system_vgpr_workitem_id 0
		.amdhsa_next_free_vgpr 22
		.amdhsa_next_free_sgpr 20
		.amdhsa_reserve_vcc 1
		.amdhsa_reserve_flat_scratch 0
		.amdhsa_float_round_mode_32 0
		.amdhsa_float_round_mode_16_64 0
		.amdhsa_float_denorm_mode_32 3
		.amdhsa_float_denorm_mode_16_64 3
		.amdhsa_dx10_clamp 1
		.amdhsa_ieee_mode 1
		.amdhsa_fp16_overflow 0
		.amdhsa_workgroup_processor_mode 1
		.amdhsa_memory_ordered 1
		.amdhsa_forward_progress 1
		.amdhsa_shared_vgpr_count 0
		.amdhsa_exception_fp_ieee_invalid_op 0
		.amdhsa_exception_fp_denorm_src 0
		.amdhsa_exception_fp_ieee_div_zero 0
		.amdhsa_exception_fp_ieee_overflow 0
		.amdhsa_exception_fp_ieee_underflow 0
		.amdhsa_exception_fp_ieee_inexact 0
		.amdhsa_exception_int_div_zero 0
	.end_amdhsa_kernel
	.section	.text._ZN9rocsparseL32bsr2csr_block_per_row_2_7_kernelILj256ELj2EillEEv20rocsparse_direction_T3_S2_21rocsparse_index_base_PKT1_PKT2_PKS2_S2_S3_PS4_PS7_PS2_,"axG",@progbits,_ZN9rocsparseL32bsr2csr_block_per_row_2_7_kernelILj256ELj2EillEEv20rocsparse_direction_T3_S2_21rocsparse_index_base_PKT1_PKT2_PKS2_S2_S3_PS4_PS7_PS2_,comdat
.Lfunc_end40:
	.size	_ZN9rocsparseL32bsr2csr_block_per_row_2_7_kernelILj256ELj2EillEEv20rocsparse_direction_T3_S2_21rocsparse_index_base_PKT1_PKT2_PKS2_S2_S3_PS4_PS7_PS2_, .Lfunc_end40-_ZN9rocsparseL32bsr2csr_block_per_row_2_7_kernelILj256ELj2EillEEv20rocsparse_direction_T3_S2_21rocsparse_index_base_PKT1_PKT2_PKS2_S2_S3_PS4_PS7_PS2_
                                        ; -- End function
	.set _ZN9rocsparseL32bsr2csr_block_per_row_2_7_kernelILj256ELj2EillEEv20rocsparse_direction_T3_S2_21rocsparse_index_base_PKT1_PKT2_PKS2_S2_S3_PS4_PS7_PS2_.num_vgpr, 22
	.set _ZN9rocsparseL32bsr2csr_block_per_row_2_7_kernelILj256ELj2EillEEv20rocsparse_direction_T3_S2_21rocsparse_index_base_PKT1_PKT2_PKS2_S2_S3_PS4_PS7_PS2_.num_agpr, 0
	.set _ZN9rocsparseL32bsr2csr_block_per_row_2_7_kernelILj256ELj2EillEEv20rocsparse_direction_T3_S2_21rocsparse_index_base_PKT1_PKT2_PKS2_S2_S3_PS4_PS7_PS2_.numbered_sgpr, 20
	.set _ZN9rocsparseL32bsr2csr_block_per_row_2_7_kernelILj256ELj2EillEEv20rocsparse_direction_T3_S2_21rocsparse_index_base_PKT1_PKT2_PKS2_S2_S3_PS4_PS7_PS2_.num_named_barrier, 0
	.set _ZN9rocsparseL32bsr2csr_block_per_row_2_7_kernelILj256ELj2EillEEv20rocsparse_direction_T3_S2_21rocsparse_index_base_PKT1_PKT2_PKS2_S2_S3_PS4_PS7_PS2_.private_seg_size, 0
	.set _ZN9rocsparseL32bsr2csr_block_per_row_2_7_kernelILj256ELj2EillEEv20rocsparse_direction_T3_S2_21rocsparse_index_base_PKT1_PKT2_PKS2_S2_S3_PS4_PS7_PS2_.uses_vcc, 1
	.set _ZN9rocsparseL32bsr2csr_block_per_row_2_7_kernelILj256ELj2EillEEv20rocsparse_direction_T3_S2_21rocsparse_index_base_PKT1_PKT2_PKS2_S2_S3_PS4_PS7_PS2_.uses_flat_scratch, 0
	.set _ZN9rocsparseL32bsr2csr_block_per_row_2_7_kernelILj256ELj2EillEEv20rocsparse_direction_T3_S2_21rocsparse_index_base_PKT1_PKT2_PKS2_S2_S3_PS4_PS7_PS2_.has_dyn_sized_stack, 0
	.set _ZN9rocsparseL32bsr2csr_block_per_row_2_7_kernelILj256ELj2EillEEv20rocsparse_direction_T3_S2_21rocsparse_index_base_PKT1_PKT2_PKS2_S2_S3_PS4_PS7_PS2_.has_recursion, 0
	.set _ZN9rocsparseL32bsr2csr_block_per_row_2_7_kernelILj256ELj2EillEEv20rocsparse_direction_T3_S2_21rocsparse_index_base_PKT1_PKT2_PKS2_S2_S3_PS4_PS7_PS2_.has_indirect_call, 0
	.section	.AMDGPU.csdata,"",@progbits
; Kernel info:
; codeLenInByte = 888
; TotalNumSgprs: 22
; NumVgprs: 22
; ScratchSize: 0
; MemoryBound: 0
; FloatMode: 240
; IeeeMode: 1
; LDSByteSize: 0 bytes/workgroup (compile time only)
; SGPRBlocks: 0
; VGPRBlocks: 2
; NumSGPRsForWavesPerEU: 22
; NumVGPRsForWavesPerEU: 22
; Occupancy: 16
; WaveLimiterHint : 1
; COMPUTE_PGM_RSRC2:SCRATCH_EN: 0
; COMPUTE_PGM_RSRC2:USER_SGPR: 6
; COMPUTE_PGM_RSRC2:TRAP_HANDLER: 0
; COMPUTE_PGM_RSRC2:TGID_X_EN: 1
; COMPUTE_PGM_RSRC2:TGID_Y_EN: 0
; COMPUTE_PGM_RSRC2:TGID_Z_EN: 0
; COMPUTE_PGM_RSRC2:TIDIG_COMP_CNT: 0
	.section	.text._ZN9rocsparseL32bsr2csr_block_per_row_2_7_kernelILj256ELj3EillEEv20rocsparse_direction_T3_S2_21rocsparse_index_base_PKT1_PKT2_PKS2_S2_S3_PS4_PS7_PS2_,"axG",@progbits,_ZN9rocsparseL32bsr2csr_block_per_row_2_7_kernelILj256ELj3EillEEv20rocsparse_direction_T3_S2_21rocsparse_index_base_PKT1_PKT2_PKS2_S2_S3_PS4_PS7_PS2_,comdat
	.globl	_ZN9rocsparseL32bsr2csr_block_per_row_2_7_kernelILj256ELj3EillEEv20rocsparse_direction_T3_S2_21rocsparse_index_base_PKT1_PKT2_PKS2_S2_S3_PS4_PS7_PS2_ ; -- Begin function _ZN9rocsparseL32bsr2csr_block_per_row_2_7_kernelILj256ELj3EillEEv20rocsparse_direction_T3_S2_21rocsparse_index_base_PKT1_PKT2_PKS2_S2_S3_PS4_PS7_PS2_
	.p2align	8
	.type	_ZN9rocsparseL32bsr2csr_block_per_row_2_7_kernelILj256ELj3EillEEv20rocsparse_direction_T3_S2_21rocsparse_index_base_PKT1_PKT2_PKS2_S2_S3_PS4_PS7_PS2_,@function
_ZN9rocsparseL32bsr2csr_block_per_row_2_7_kernelILj256ELj3EillEEv20rocsparse_direction_T3_S2_21rocsparse_index_base_PKT1_PKT2_PKS2_S2_S3_PS4_PS7_PS2_: ; @_ZN9rocsparseL32bsr2csr_block_per_row_2_7_kernelILj256ELj3EillEEv20rocsparse_direction_T3_S2_21rocsparse_index_base_PKT1_PKT2_PKS2_S2_S3_PS4_PS7_PS2_
; %bb.0:
	s_clause 0x2
	s_load_dwordx2 s[0:1], s[4:5], 0x28
	s_load_dword s8, s[4:5], 0x40
	s_load_dwordx2 s[12:13], s[4:5], 0x50
	s_mov_b32 s7, 0
	v_or_b32_e32 v1, s6, v0
	s_lshl_b64 s[2:3], s[6:7], 3
	s_waitcnt lgkmcnt(0)
	s_add_u32 s0, s0, s2
	s_addc_u32 s1, s1, s3
	s_mov_b32 s2, exec_lo
	v_cmpx_eq_u32_e32 0, v1
	s_cbranch_execz .LBB41_2
; %bb.1:
	v_mov_b32_e32 v1, s8
	v_mov_b32_e32 v2, 0
	global_store_dwordx2 v2, v[1:2], s[12:13]
.LBB41_2:
	s_or_b32 exec_lo, exec_lo, s2
	v_and_b32_e32 v9, 3, v0
	s_mov_b32 s2, exec_lo
	v_cmpx_ne_u32_e32 3, v9
	s_cbranch_execz .LBB41_6
; %bb.3:
	s_load_dwordx4 s[0:3], s[0:1], 0x0
	s_load_dword s7, s[4:5], 0x18
	v_lshrrev_b32_e32 v4, 2, v0
	s_mul_i32 s16, s6, 24
	v_lshlrev_b32_e32 v8, 3, v9
	s_waitcnt lgkmcnt(0)
	s_sub_u32 s9, s0, s7
	s_subb_u32 s14, s1, 0
	s_sub_u32 s10, s2, s7
	s_mul_hi_u32 s2, s9, 9
	s_mul_i32 s15, s14, 9
	s_subb_u32 s11, s3, 0
	s_add_i32 s2, s2, s15
	s_sub_u32 s3, s10, s9
	s_subb_u32 s17, s11, s14
	s_mul_i32 s15, s3, 3
	s_mul_hi_u32 s3, s3, 3
	v_mad_u64_u32 v[2:3], null, s15, v9, 0
	s_mul_i32 s17, s17, 3
	s_mul_i32 s18, s9, 9
	s_add_i32 s3, s3, s17
	v_mov_b32_e32 v0, v3
	v_mad_u64_u32 v[5:6], null, s3, v9, v[0:1]
	v_add_co_u32 v0, s9, s9, v4
	v_add_co_ci_u32_e64 v1, null, s14, 0, s9
	s_add_u32 s9, s15, s8
	s_addc_u32 s3, s3, 0
	s_add_u32 s9, s9, s18
	s_addc_u32 s2, s3, s2
	v_add_co_u32 v6, vcc_lo, s9, v2
	v_add_co_ci_u32_e64 v7, null, s2, v5, vcc_lo
	v_cmp_gt_i64_e32 vcc_lo, s[10:11], v[0:1]
	v_mov_b32_e32 v3, v5
	s_mul_hi_u32 s3, s6, 24
	s_add_u32 s2, s12, s16
	s_addc_u32 s3, s13, s3
	s_mov_b32 s9, 0
	global_store_dwordx2 v8, v[6:7], s[2:3] offset:8
	s_and_b32 exec_lo, exec_lo, vcc_lo
	s_cbranch_execz .LBB41_6
; %bb.4:
	v_mad_u64_u32 v[5:6], null, s0, 9, v[2:3]
	s_clause 0x2
	s_load_dwordx2 s[2:3], s[4:5], 0x48
	s_load_dwordx2 s[12:13], s[4:5], 0x20
	s_load_dword s6, s[4:5], 0x0
	v_lshlrev_b32_e32 v10, 2, v9
	v_mul_hi_u32_u24_e32 v11, 12, v9
	v_mul_u32_u24_e32 v9, 12, v9
	v_mov_b32_e32 v2, v6
	v_mad_u64_u32 v[2:3], null, s1, 9, v[2:3]
	s_clause 0x1
	s_load_dwordx2 s[0:1], s[4:5], 0x30
	s_load_dwordx2 s[4:5], s[4:5], 0x58
	v_mov_b32_e32 v6, v2
	s_waitcnt lgkmcnt(0)
	v_mad_u64_u32 v[2:3], null, v0, 36, s[12:13]
	s_mul_i32 s13, s7, 9
	s_mul_hi_u32 s12, s7, 9
	v_mad_u64_u32 v[4:5], null, v4, 3, v[5:6]
	v_lshlrev_b64 v[6:7], 3, v[0:1]
	s_cmp_eq_u32 s6, 0
	v_sub_co_u32 v12, vcc_lo, v4, s13
	v_subrev_co_ci_u32_e64 v13, null, s12, v5, vcc_lo
	v_mad_u64_u32 v[14:15], null, v1, 36, v[3:4]
	v_add_co_u32 v3, vcc_lo, s0, v6
	v_lshlrev_b64 v[15:16], 2, v[12:13]
	v_lshlrev_b64 v[5:6], 3, v[12:13]
	v_add_co_ci_u32_e64 v4, null, s1, v7, vcc_lo
	v_mov_b32_e32 v12, v14
	v_add_co_u32 v7, vcc_lo, s2, v15
	v_add_co_ci_u32_e64 v8, null, s3, v16, vcc_lo
	v_add_co_u32 v13, vcc_lo, s4, v5
	v_add_co_ci_u32_e64 v14, null, s5, v6, vcc_lo
	;; [unrolled: 2-line block ×4, first 2 shown]
	s_cselect_b32 vcc_lo, -1, 0
	s_mov_b32 s3, s9
.LBB41_5:                               ; =>This Inner Loop Header: Depth=1
	v_add_co_u32 v15, s0, v2, v9
	v_add_co_ci_u32_e64 v16, null, v12, v11, s0
	v_add_co_u32 v17, s0, v2, v10
	v_add_co_ci_u32_e64 v18, null, 0, v12, s0
	;; [unrolled: 2-line block ×3, first 2 shown]
	v_add_co_u32 v21, s0, v17, 12
	global_load_dwordx2 v[13:14], v[3:4], off
	v_add_co_ci_u32_e64 v22, null, 0, v18, s0
	v_add_co_u32 v23, s0, v15, 8
	v_add_co_ci_u32_e64 v24, null, 0, v16, s0
	v_add_co_u32 v25, s0, v17, 24
	v_add_co_ci_u32_e64 v26, null, 0, v18, s0
	v_cndmask_b32_e32 v16, v18, v16, vcc_lo
	v_cndmask_b32_e32 v15, v17, v15, vcc_lo
	;; [unrolled: 1-line block ×6, first 2 shown]
	global_load_dword v15, v[15:16], off
	global_load_dword v16, v[17:18], off
	;; [unrolled: 1-line block ×3, first 2 shown]
	v_add_co_u32 v0, s0, v0, 64
	v_add_co_ci_u32_e64 v1, null, 0, v1, s0
	v_add_co_u32 v3, s0, 0x200, v3
	v_add_co_ci_u32_e64 v4, null, 0, v4, s0
	;; [unrolled: 2-line block ×3, first 2 shown]
	v_cmp_le_i64_e64 s0, s[10:11], v[0:1]
	s_or_b32 s3, s0, s3
	s_waitcnt vmcnt(3)
	v_sub_co_u32 v13, s1, v13, s7
	v_subrev_co_ci_u32_e64 v18, null, 0, v14, s1
	v_mad_u64_u32 v[13:14], null, v13, 3, s[8:9]
	s_waitcnt vmcnt(0)
	global_store_dwordx3 v[5:6], v[15:17], off offset:-4
	v_mad_u64_u32 v[14:15], null, v18, 3, v[14:15]
	v_add_co_u32 v5, s1, 0x300, v5
	v_add_co_u32 v15, s2, v13, 1
	v_add_co_ci_u32_e64 v6, null, 0, v6, s1
	v_add_co_u32 v17, s1, v13, 2
	v_add_co_ci_u32_e64 v16, null, 0, v14, s2
	v_add_co_ci_u32_e64 v18, null, 0, v14, s1
	global_store_dwordx4 v[7:8], v[13:16], off offset:-8
	global_store_dwordx2 v[7:8], v[17:18], off offset:8
	v_add_co_u32 v7, s1, 0x600, v7
	v_add_co_ci_u32_e64 v8, null, 0, v8, s1
	s_andn2_b32 exec_lo, exec_lo, s3
	s_cbranch_execnz .LBB41_5
.LBB41_6:
	s_endpgm
	.section	.rodata,"a",@progbits
	.p2align	6, 0x0
	.amdhsa_kernel _ZN9rocsparseL32bsr2csr_block_per_row_2_7_kernelILj256ELj3EillEEv20rocsparse_direction_T3_S2_21rocsparse_index_base_PKT1_PKT2_PKS2_S2_S3_PS4_PS7_PS2_
		.amdhsa_group_segment_fixed_size 0
		.amdhsa_private_segment_fixed_size 0
		.amdhsa_kernarg_size 96
		.amdhsa_user_sgpr_count 6
		.amdhsa_user_sgpr_private_segment_buffer 1
		.amdhsa_user_sgpr_dispatch_ptr 0
		.amdhsa_user_sgpr_queue_ptr 0
		.amdhsa_user_sgpr_kernarg_segment_ptr 1
		.amdhsa_user_sgpr_dispatch_id 0
		.amdhsa_user_sgpr_flat_scratch_init 0
		.amdhsa_user_sgpr_private_segment_size 0
		.amdhsa_wavefront_size32 1
		.amdhsa_uses_dynamic_stack 0
		.amdhsa_system_sgpr_private_segment_wavefront_offset 0
		.amdhsa_system_sgpr_workgroup_id_x 1
		.amdhsa_system_sgpr_workgroup_id_y 0
		.amdhsa_system_sgpr_workgroup_id_z 0
		.amdhsa_system_sgpr_workgroup_info 0
		.amdhsa_system_vgpr_workitem_id 0
		.amdhsa_next_free_vgpr 27
		.amdhsa_next_free_sgpr 19
		.amdhsa_reserve_vcc 1
		.amdhsa_reserve_flat_scratch 0
		.amdhsa_float_round_mode_32 0
		.amdhsa_float_round_mode_16_64 0
		.amdhsa_float_denorm_mode_32 3
		.amdhsa_float_denorm_mode_16_64 3
		.amdhsa_dx10_clamp 1
		.amdhsa_ieee_mode 1
		.amdhsa_fp16_overflow 0
		.amdhsa_workgroup_processor_mode 1
		.amdhsa_memory_ordered 1
		.amdhsa_forward_progress 1
		.amdhsa_shared_vgpr_count 0
		.amdhsa_exception_fp_ieee_invalid_op 0
		.amdhsa_exception_fp_denorm_src 0
		.amdhsa_exception_fp_ieee_div_zero 0
		.amdhsa_exception_fp_ieee_overflow 0
		.amdhsa_exception_fp_ieee_underflow 0
		.amdhsa_exception_fp_ieee_inexact 0
		.amdhsa_exception_int_div_zero 0
	.end_amdhsa_kernel
	.section	.text._ZN9rocsparseL32bsr2csr_block_per_row_2_7_kernelILj256ELj3EillEEv20rocsparse_direction_T3_S2_21rocsparse_index_base_PKT1_PKT2_PKS2_S2_S3_PS4_PS7_PS2_,"axG",@progbits,_ZN9rocsparseL32bsr2csr_block_per_row_2_7_kernelILj256ELj3EillEEv20rocsparse_direction_T3_S2_21rocsparse_index_base_PKT1_PKT2_PKS2_S2_S3_PS4_PS7_PS2_,comdat
.Lfunc_end41:
	.size	_ZN9rocsparseL32bsr2csr_block_per_row_2_7_kernelILj256ELj3EillEEv20rocsparse_direction_T3_S2_21rocsparse_index_base_PKT1_PKT2_PKS2_S2_S3_PS4_PS7_PS2_, .Lfunc_end41-_ZN9rocsparseL32bsr2csr_block_per_row_2_7_kernelILj256ELj3EillEEv20rocsparse_direction_T3_S2_21rocsparse_index_base_PKT1_PKT2_PKS2_S2_S3_PS4_PS7_PS2_
                                        ; -- End function
	.set _ZN9rocsparseL32bsr2csr_block_per_row_2_7_kernelILj256ELj3EillEEv20rocsparse_direction_T3_S2_21rocsparse_index_base_PKT1_PKT2_PKS2_S2_S3_PS4_PS7_PS2_.num_vgpr, 27
	.set _ZN9rocsparseL32bsr2csr_block_per_row_2_7_kernelILj256ELj3EillEEv20rocsparse_direction_T3_S2_21rocsparse_index_base_PKT1_PKT2_PKS2_S2_S3_PS4_PS7_PS2_.num_agpr, 0
	.set _ZN9rocsparseL32bsr2csr_block_per_row_2_7_kernelILj256ELj3EillEEv20rocsparse_direction_T3_S2_21rocsparse_index_base_PKT1_PKT2_PKS2_S2_S3_PS4_PS7_PS2_.numbered_sgpr, 19
	.set _ZN9rocsparseL32bsr2csr_block_per_row_2_7_kernelILj256ELj3EillEEv20rocsparse_direction_T3_S2_21rocsparse_index_base_PKT1_PKT2_PKS2_S2_S3_PS4_PS7_PS2_.num_named_barrier, 0
	.set _ZN9rocsparseL32bsr2csr_block_per_row_2_7_kernelILj256ELj3EillEEv20rocsparse_direction_T3_S2_21rocsparse_index_base_PKT1_PKT2_PKS2_S2_S3_PS4_PS7_PS2_.private_seg_size, 0
	.set _ZN9rocsparseL32bsr2csr_block_per_row_2_7_kernelILj256ELj3EillEEv20rocsparse_direction_T3_S2_21rocsparse_index_base_PKT1_PKT2_PKS2_S2_S3_PS4_PS7_PS2_.uses_vcc, 1
	.set _ZN9rocsparseL32bsr2csr_block_per_row_2_7_kernelILj256ELj3EillEEv20rocsparse_direction_T3_S2_21rocsparse_index_base_PKT1_PKT2_PKS2_S2_S3_PS4_PS7_PS2_.uses_flat_scratch, 0
	.set _ZN9rocsparseL32bsr2csr_block_per_row_2_7_kernelILj256ELj3EillEEv20rocsparse_direction_T3_S2_21rocsparse_index_base_PKT1_PKT2_PKS2_S2_S3_PS4_PS7_PS2_.has_dyn_sized_stack, 0
	.set _ZN9rocsparseL32bsr2csr_block_per_row_2_7_kernelILj256ELj3EillEEv20rocsparse_direction_T3_S2_21rocsparse_index_base_PKT1_PKT2_PKS2_S2_S3_PS4_PS7_PS2_.has_recursion, 0
	.set _ZN9rocsparseL32bsr2csr_block_per_row_2_7_kernelILj256ELj3EillEEv20rocsparse_direction_T3_S2_21rocsparse_index_base_PKT1_PKT2_PKS2_S2_S3_PS4_PS7_PS2_.has_indirect_call, 0
	.section	.AMDGPU.csdata,"",@progbits
; Kernel info:
; codeLenInByte = 920
; TotalNumSgprs: 21
; NumVgprs: 27
; ScratchSize: 0
; MemoryBound: 0
; FloatMode: 240
; IeeeMode: 1
; LDSByteSize: 0 bytes/workgroup (compile time only)
; SGPRBlocks: 0
; VGPRBlocks: 3
; NumSGPRsForWavesPerEU: 21
; NumVGPRsForWavesPerEU: 27
; Occupancy: 16
; WaveLimiterHint : 0
; COMPUTE_PGM_RSRC2:SCRATCH_EN: 0
; COMPUTE_PGM_RSRC2:USER_SGPR: 6
; COMPUTE_PGM_RSRC2:TRAP_HANDLER: 0
; COMPUTE_PGM_RSRC2:TGID_X_EN: 1
; COMPUTE_PGM_RSRC2:TGID_Y_EN: 0
; COMPUTE_PGM_RSRC2:TGID_Z_EN: 0
; COMPUTE_PGM_RSRC2:TIDIG_COMP_CNT: 0
	.section	.text._ZN9rocsparseL32bsr2csr_block_per_row_2_7_kernelILj256ELj4EillEEv20rocsparse_direction_T3_S2_21rocsparse_index_base_PKT1_PKT2_PKS2_S2_S3_PS4_PS7_PS2_,"axG",@progbits,_ZN9rocsparseL32bsr2csr_block_per_row_2_7_kernelILj256ELj4EillEEv20rocsparse_direction_T3_S2_21rocsparse_index_base_PKT1_PKT2_PKS2_S2_S3_PS4_PS7_PS2_,comdat
	.globl	_ZN9rocsparseL32bsr2csr_block_per_row_2_7_kernelILj256ELj4EillEEv20rocsparse_direction_T3_S2_21rocsparse_index_base_PKT1_PKT2_PKS2_S2_S3_PS4_PS7_PS2_ ; -- Begin function _ZN9rocsparseL32bsr2csr_block_per_row_2_7_kernelILj256ELj4EillEEv20rocsparse_direction_T3_S2_21rocsparse_index_base_PKT1_PKT2_PKS2_S2_S3_PS4_PS7_PS2_
	.p2align	8
	.type	_ZN9rocsparseL32bsr2csr_block_per_row_2_7_kernelILj256ELj4EillEEv20rocsparse_direction_T3_S2_21rocsparse_index_base_PKT1_PKT2_PKS2_S2_S3_PS4_PS7_PS2_,@function
_ZN9rocsparseL32bsr2csr_block_per_row_2_7_kernelILj256ELj4EillEEv20rocsparse_direction_T3_S2_21rocsparse_index_base_PKT1_PKT2_PKS2_S2_S3_PS4_PS7_PS2_: ; @_ZN9rocsparseL32bsr2csr_block_per_row_2_7_kernelILj256ELj4EillEEv20rocsparse_direction_T3_S2_21rocsparse_index_base_PKT1_PKT2_PKS2_S2_S3_PS4_PS7_PS2_
; %bb.0:
	s_load_dwordx2 s[0:1], s[4:5], 0x28
	s_mov_b32 s9, 0
	s_clause 0x1
	s_load_dword s10, s[4:5], 0x40
	s_load_dwordx2 s[12:13], s[4:5], 0x50
	s_mov_b32 s7, s9
	v_or_b32_e32 v1, s6, v0
	s_lshl_b64 s[2:3], s[6:7], 3
	s_mov_b32 s8, exec_lo
	s_waitcnt lgkmcnt(0)
	s_add_u32 s0, s0, s2
	s_addc_u32 s1, s1, s3
	s_load_dwordx4 s[0:3], s[0:1], 0x0
	v_cmpx_eq_u32_e32 0, v1
	s_cbranch_execz .LBB42_2
; %bb.1:
	s_mov_b32 s11, s9
	v_mov_b32_e32 v1, s10
	v_mov_b32_e32 v3, 0
	;; [unrolled: 1-line block ×3, first 2 shown]
	global_store_dwordx2 v3, v[1:2], s[12:13]
.LBB42_2:
	s_or_b32 exec_lo, exec_lo, s8
	s_load_dword s8, s[4:5], 0x18
	v_and_b32_e32 v4, 3, v0
	v_lshrrev_b32_e32 v5, 2, v0
	v_lshlrev_b32_e32 v9, 3, v4
	s_waitcnt lgkmcnt(0)
	s_sub_u32 s14, s0, s8
	s_subb_u32 s15, s1, 0
	s_sub_u32 s2, s2, s8
	s_subb_u32 s3, s3, 0
	s_lshl_b64 s[16:17], s[14:15], 4
	s_sub_u32 s18, s2, s14
	s_subb_u32 s19, s3, s15
	v_add_co_u32 v0, s11, s14, v5
	s_lshl_b64 s[20:21], s[18:19], 2
	v_add_co_ci_u32_e64 v1, null, s15, 0, s11
	v_mad_u64_u32 v[2:3], null, s20, v4, 0
	s_lshr_b64 s[14:15], s[18:19], 30
	s_add_u32 s11, s20, s10
	v_mad_u64_u32 v[6:7], null, s14, v4, v[3:4]
	s_addc_u32 s14, s21, 0
	s_add_u32 s11, s11, s16
	s_addc_u32 s14, s14, s17
	v_add_co_u32 v7, vcc_lo, s11, v2
	s_lshl_b64 s[6:7], s[6:7], 5
	v_add_co_ci_u32_e64 v8, null, s14, v6, vcc_lo
	v_mov_b32_e32 v3, v6
	s_add_u32 s6, s12, s6
	s_addc_u32 s7, s13, s7
	global_store_dwordx2 v9, v[7:8], s[6:7] offset:8
	s_mov_b32 s6, exec_lo
	v_cmpx_gt_i64_e64 s[2:3], v[0:1]
	s_cbranch_execz .LBB42_5
; %bb.3:
	s_clause 0x4
	s_load_dwordx2 s[6:7], s[4:5], 0x30
	s_load_dwordx2 s[12:13], s[4:5], 0x48
	s_load_dword s11, s[4:5], 0x0
	s_load_dwordx2 s[14:15], s[4:5], 0x20
	s_load_dwordx2 s[4:5], s[4:5], 0x58
	v_lshlrev_b32_e32 v5, 2, v5
	v_lshlrev_b64 v[10:11], 6, v[0:1]
	v_lshlrev_b64 v[6:7], 3, v[0:1]
	v_mul_hi_u32_u24_e32 v8, 12, v4
	v_mul_u32_u24_e32 v9, 12, v4
	v_lshl_or_b32 v10, v4, 2, v10
	s_waitcnt lgkmcnt(0)
	s_cmp_eq_u32 s11, 0
	s_cselect_b32 vcc_lo, -1, 0
	s_lshl_b64 s[0:1], s[0:1], 4
	v_add_co_u32 v2, s0, v2, s0
	v_add_co_ci_u32_e64 v3, null, s1, v3, s0
	v_add_co_u32 v2, s0, v2, v5
	v_add_co_ci_u32_e64 v3, null, 0, v3, s0
	s_lshl_b64 s[0:1], s[8:9], 4
	v_sub_co_u32 v4, s0, v2, s0
	v_subrev_co_ci_u32_e64 v5, null, s1, v3, s0
	v_add_co_u32 v2, s0, s6, v6
	v_add_co_ci_u32_e64 v3, null, s7, v7, s0
	v_lshlrev_b64 v[6:7], 2, v[4:5]
	v_lshlrev_b64 v[4:5], 3, v[4:5]
	v_add_co_u32 v10, s0, s14, v10
	v_add_co_ci_u32_e64 v11, null, s15, v11, s0
	v_add_co_u32 v6, s0, s12, v6
	v_add_co_ci_u32_e64 v7, null, s13, v7, s0
	;; [unrolled: 2-line block ×5, first 2 shown]
	s_mov_b32 s4, 0
.LBB42_4:                               ; =>This Inner Loop Header: Depth=1
	v_add_co_u32 v14, s0, v10, v9
	v_add_co_ci_u32_e64 v15, null, v11, v8, s0
	v_add_co_u32 v18, s0, v10, 16
	v_add_co_ci_u32_e64 v19, null, 0, v11, s0
	v_add_co_u32 v20, s0, v10, 32
	global_load_dwordx2 v[16:17], v[2:3], off
	v_add_co_ci_u32_e64 v21, null, 0, v11, s0
	v_add_co_u32 v22, s0, v10, 48
	v_add_co_ci_u32_e64 v23, null, 0, v11, s0
	v_add_co_u32 v24, s0, v14, 4
	;; [unrolled: 2-line block ×4, first 2 shown]
	v_add_co_ci_u32_e64 v29, null, 0, v15, s0
	v_cndmask_b32_e32 v13, v11, v15, vcc_lo
	v_cndmask_b32_e32 v12, v10, v14, vcc_lo
	;; [unrolled: 1-line block ×8, first 2 shown]
	global_load_dword v12, v[12:13], off
	global_load_dword v13, v[14:15], off
	;; [unrolled: 1-line block ×4, first 2 shown]
	v_add_co_u32 v0, s0, v0, 64
	v_add_co_ci_u32_e64 v1, null, 0, v1, s0
	v_add_co_u32 v2, s0, 0x200, v2
	v_add_co_ci_u32_e64 v3, null, 0, v3, s0
	;; [unrolled: 2-line block ×3, first 2 shown]
	v_cmp_le_i64_e64 s0, s[2:3], v[0:1]
	s_or_b32 s4, s0, s4
	s_waitcnt vmcnt(4)
	v_sub_co_u32 v16, s1, v16, s8
	v_subrev_co_ci_u32_e64 v17, null, 0, v17, s1
	v_lshlrev_b64 v[16:17], 2, v[16:17]
	v_add_co_u32 v16, s1, v16, s10
	v_add_co_ci_u32_e64 v17, null, 0, v17, s1
	s_waitcnt vmcnt(0)
	global_store_dwordx4 v[4:5], v[12:15], off offset:-8
	v_add_co_u32 v4, s1, 0x400, v4
	v_add_co_ci_u32_e64 v5, null, 0, v5, s1
	v_add_co_u32 v18, s1, v16, 1
	v_add_co_ci_u32_e64 v19, null, 0, v17, s1
	;; [unrolled: 2-line block ×4, first 2 shown]
	global_store_dwordx4 v[6:7], v[16:19], off offset:-16
	global_store_dwordx4 v[6:7], v[12:15], off
	v_add_co_u32 v6, s1, 0x800, v6
	v_add_co_ci_u32_e64 v7, null, 0, v7, s1
	s_andn2_b32 exec_lo, exec_lo, s4
	s_cbranch_execnz .LBB42_4
.LBB42_5:
	s_endpgm
	.section	.rodata,"a",@progbits
	.p2align	6, 0x0
	.amdhsa_kernel _ZN9rocsparseL32bsr2csr_block_per_row_2_7_kernelILj256ELj4EillEEv20rocsparse_direction_T3_S2_21rocsparse_index_base_PKT1_PKT2_PKS2_S2_S3_PS4_PS7_PS2_
		.amdhsa_group_segment_fixed_size 0
		.amdhsa_private_segment_fixed_size 0
		.amdhsa_kernarg_size 96
		.amdhsa_user_sgpr_count 6
		.amdhsa_user_sgpr_private_segment_buffer 1
		.amdhsa_user_sgpr_dispatch_ptr 0
		.amdhsa_user_sgpr_queue_ptr 0
		.amdhsa_user_sgpr_kernarg_segment_ptr 1
		.amdhsa_user_sgpr_dispatch_id 0
		.amdhsa_user_sgpr_flat_scratch_init 0
		.amdhsa_user_sgpr_private_segment_size 0
		.amdhsa_wavefront_size32 1
		.amdhsa_uses_dynamic_stack 0
		.amdhsa_system_sgpr_private_segment_wavefront_offset 0
		.amdhsa_system_sgpr_workgroup_id_x 1
		.amdhsa_system_sgpr_workgroup_id_y 0
		.amdhsa_system_sgpr_workgroup_id_z 0
		.amdhsa_system_sgpr_workgroup_info 0
		.amdhsa_system_vgpr_workitem_id 0
		.amdhsa_next_free_vgpr 30
		.amdhsa_next_free_sgpr 22
		.amdhsa_reserve_vcc 1
		.amdhsa_reserve_flat_scratch 0
		.amdhsa_float_round_mode_32 0
		.amdhsa_float_round_mode_16_64 0
		.amdhsa_float_denorm_mode_32 3
		.amdhsa_float_denorm_mode_16_64 3
		.amdhsa_dx10_clamp 1
		.amdhsa_ieee_mode 1
		.amdhsa_fp16_overflow 0
		.amdhsa_workgroup_processor_mode 1
		.amdhsa_memory_ordered 1
		.amdhsa_forward_progress 1
		.amdhsa_shared_vgpr_count 0
		.amdhsa_exception_fp_ieee_invalid_op 0
		.amdhsa_exception_fp_denorm_src 0
		.amdhsa_exception_fp_ieee_div_zero 0
		.amdhsa_exception_fp_ieee_overflow 0
		.amdhsa_exception_fp_ieee_underflow 0
		.amdhsa_exception_fp_ieee_inexact 0
		.amdhsa_exception_int_div_zero 0
	.end_amdhsa_kernel
	.section	.text._ZN9rocsparseL32bsr2csr_block_per_row_2_7_kernelILj256ELj4EillEEv20rocsparse_direction_T3_S2_21rocsparse_index_base_PKT1_PKT2_PKS2_S2_S3_PS4_PS7_PS2_,"axG",@progbits,_ZN9rocsparseL32bsr2csr_block_per_row_2_7_kernelILj256ELj4EillEEv20rocsparse_direction_T3_S2_21rocsparse_index_base_PKT1_PKT2_PKS2_S2_S3_PS4_PS7_PS2_,comdat
.Lfunc_end42:
	.size	_ZN9rocsparseL32bsr2csr_block_per_row_2_7_kernelILj256ELj4EillEEv20rocsparse_direction_T3_S2_21rocsparse_index_base_PKT1_PKT2_PKS2_S2_S3_PS4_PS7_PS2_, .Lfunc_end42-_ZN9rocsparseL32bsr2csr_block_per_row_2_7_kernelILj256ELj4EillEEv20rocsparse_direction_T3_S2_21rocsparse_index_base_PKT1_PKT2_PKS2_S2_S3_PS4_PS7_PS2_
                                        ; -- End function
	.set _ZN9rocsparseL32bsr2csr_block_per_row_2_7_kernelILj256ELj4EillEEv20rocsparse_direction_T3_S2_21rocsparse_index_base_PKT1_PKT2_PKS2_S2_S3_PS4_PS7_PS2_.num_vgpr, 30
	.set _ZN9rocsparseL32bsr2csr_block_per_row_2_7_kernelILj256ELj4EillEEv20rocsparse_direction_T3_S2_21rocsparse_index_base_PKT1_PKT2_PKS2_S2_S3_PS4_PS7_PS2_.num_agpr, 0
	.set _ZN9rocsparseL32bsr2csr_block_per_row_2_7_kernelILj256ELj4EillEEv20rocsparse_direction_T3_S2_21rocsparse_index_base_PKT1_PKT2_PKS2_S2_S3_PS4_PS7_PS2_.numbered_sgpr, 22
	.set _ZN9rocsparseL32bsr2csr_block_per_row_2_7_kernelILj256ELj4EillEEv20rocsparse_direction_T3_S2_21rocsparse_index_base_PKT1_PKT2_PKS2_S2_S3_PS4_PS7_PS2_.num_named_barrier, 0
	.set _ZN9rocsparseL32bsr2csr_block_per_row_2_7_kernelILj256ELj4EillEEv20rocsparse_direction_T3_S2_21rocsparse_index_base_PKT1_PKT2_PKS2_S2_S3_PS4_PS7_PS2_.private_seg_size, 0
	.set _ZN9rocsparseL32bsr2csr_block_per_row_2_7_kernelILj256ELj4EillEEv20rocsparse_direction_T3_S2_21rocsparse_index_base_PKT1_PKT2_PKS2_S2_S3_PS4_PS7_PS2_.uses_vcc, 1
	.set _ZN9rocsparseL32bsr2csr_block_per_row_2_7_kernelILj256ELj4EillEEv20rocsparse_direction_T3_S2_21rocsparse_index_base_PKT1_PKT2_PKS2_S2_S3_PS4_PS7_PS2_.uses_flat_scratch, 0
	.set _ZN9rocsparseL32bsr2csr_block_per_row_2_7_kernelILj256ELj4EillEEv20rocsparse_direction_T3_S2_21rocsparse_index_base_PKT1_PKT2_PKS2_S2_S3_PS4_PS7_PS2_.has_dyn_sized_stack, 0
	.set _ZN9rocsparseL32bsr2csr_block_per_row_2_7_kernelILj256ELj4EillEEv20rocsparse_direction_T3_S2_21rocsparse_index_base_PKT1_PKT2_PKS2_S2_S3_PS4_PS7_PS2_.has_recursion, 0
	.set _ZN9rocsparseL32bsr2csr_block_per_row_2_7_kernelILj256ELj4EillEEv20rocsparse_direction_T3_S2_21rocsparse_index_base_PKT1_PKT2_PKS2_S2_S3_PS4_PS7_PS2_.has_indirect_call, 0
	.section	.AMDGPU.csdata,"",@progbits
; Kernel info:
; codeLenInByte = 956
; TotalNumSgprs: 24
; NumVgprs: 30
; ScratchSize: 0
; MemoryBound: 0
; FloatMode: 240
; IeeeMode: 1
; LDSByteSize: 0 bytes/workgroup (compile time only)
; SGPRBlocks: 0
; VGPRBlocks: 3
; NumSGPRsForWavesPerEU: 24
; NumVGPRsForWavesPerEU: 30
; Occupancy: 16
; WaveLimiterHint : 0
; COMPUTE_PGM_RSRC2:SCRATCH_EN: 0
; COMPUTE_PGM_RSRC2:USER_SGPR: 6
; COMPUTE_PGM_RSRC2:TRAP_HANDLER: 0
; COMPUTE_PGM_RSRC2:TGID_X_EN: 1
; COMPUTE_PGM_RSRC2:TGID_Y_EN: 0
; COMPUTE_PGM_RSRC2:TGID_Z_EN: 0
; COMPUTE_PGM_RSRC2:TIDIG_COMP_CNT: 0
	.section	.text._ZN9rocsparseL32bsr2csr_block_per_row_2_7_kernelILj256ELj5EillEEv20rocsparse_direction_T3_S2_21rocsparse_index_base_PKT1_PKT2_PKS2_S2_S3_PS4_PS7_PS2_,"axG",@progbits,_ZN9rocsparseL32bsr2csr_block_per_row_2_7_kernelILj256ELj5EillEEv20rocsparse_direction_T3_S2_21rocsparse_index_base_PKT1_PKT2_PKS2_S2_S3_PS4_PS7_PS2_,comdat
	.globl	_ZN9rocsparseL32bsr2csr_block_per_row_2_7_kernelILj256ELj5EillEEv20rocsparse_direction_T3_S2_21rocsparse_index_base_PKT1_PKT2_PKS2_S2_S3_PS4_PS7_PS2_ ; -- Begin function _ZN9rocsparseL32bsr2csr_block_per_row_2_7_kernelILj256ELj5EillEEv20rocsparse_direction_T3_S2_21rocsparse_index_base_PKT1_PKT2_PKS2_S2_S3_PS4_PS7_PS2_
	.p2align	8
	.type	_ZN9rocsparseL32bsr2csr_block_per_row_2_7_kernelILj256ELj5EillEEv20rocsparse_direction_T3_S2_21rocsparse_index_base_PKT1_PKT2_PKS2_S2_S3_PS4_PS7_PS2_,@function
_ZN9rocsparseL32bsr2csr_block_per_row_2_7_kernelILj256ELj5EillEEv20rocsparse_direction_T3_S2_21rocsparse_index_base_PKT1_PKT2_PKS2_S2_S3_PS4_PS7_PS2_: ; @_ZN9rocsparseL32bsr2csr_block_per_row_2_7_kernelILj256ELj5EillEEv20rocsparse_direction_T3_S2_21rocsparse_index_base_PKT1_PKT2_PKS2_S2_S3_PS4_PS7_PS2_
; %bb.0:
	s_clause 0x2
	s_load_dwordx2 s[0:1], s[4:5], 0x28
	s_load_dword s8, s[4:5], 0x40
	s_load_dwordx2 s[12:13], s[4:5], 0x50
	s_mov_b32 s7, 0
	v_or_b32_e32 v1, s6, v0
	s_lshl_b64 s[2:3], s[6:7], 3
	s_waitcnt lgkmcnt(0)
	s_add_u32 s0, s0, s2
	s_addc_u32 s1, s1, s3
	s_mov_b32 s2, exec_lo
	v_cmpx_eq_u32_e32 0, v1
	s_cbranch_execz .LBB43_2
; %bb.1:
	v_mov_b32_e32 v1, s8
	v_mov_b32_e32 v2, 0
	global_store_dwordx2 v2, v[1:2], s[12:13]
.LBB43_2:
	s_or_b32 exec_lo, exec_lo, s2
	v_and_b32_e32 v4, 7, v0
	s_mov_b32 s2, exec_lo
	v_cmpx_gt_u32_e32 5, v4
	s_cbranch_execz .LBB43_6
; %bb.3:
	s_load_dwordx4 s[0:3], s[0:1], 0x0
	s_load_dword s7, s[4:5], 0x18
	v_lshrrev_b32_e32 v5, 3, v0
	s_mul_i32 s16, s6, 40
	v_lshlrev_b32_e32 v9, 3, v4
	s_waitcnt lgkmcnt(0)
	s_sub_u32 s9, s0, s7
	s_subb_u32 s14, s1, 0
	s_sub_u32 s10, s2, s7
	s_mul_hi_u32 s2, s9, 25
	s_mul_i32 s15, s14, 25
	s_subb_u32 s11, s3, 0
	s_add_i32 s2, s2, s15
	s_sub_u32 s3, s10, s9
	s_subb_u32 s17, s11, s14
	s_mul_i32 s15, s3, 5
	s_mul_hi_u32 s3, s3, 5
	v_mad_u64_u32 v[2:3], null, s15, v4, 0
	s_mul_i32 s17, s17, 5
	s_mul_i32 s18, s9, 25
	s_add_i32 s3, s3, s17
	v_mov_b32_e32 v0, v3
	v_mad_u64_u32 v[6:7], null, s3, v4, v[0:1]
	v_add_co_u32 v0, s9, s9, v5
	v_add_co_ci_u32_e64 v1, null, s14, 0, s9
	s_add_u32 s9, s15, s8
	s_addc_u32 s3, s3, 0
	s_add_u32 s9, s9, s18
	s_addc_u32 s2, s3, s2
	v_add_co_u32 v7, vcc_lo, s9, v2
	v_add_co_ci_u32_e64 v8, null, s2, v6, vcc_lo
	v_cmp_gt_i64_e32 vcc_lo, s[10:11], v[0:1]
	v_mov_b32_e32 v3, v6
	s_mul_hi_u32 s3, s6, 40
	s_add_u32 s2, s12, s16
	s_addc_u32 s3, s13, s3
	s_mov_b32 s9, 0
	global_store_dwordx2 v9, v[7:8], s[2:3] offset:8
	s_and_b32 exec_lo, exec_lo, vcc_lo
	s_cbranch_execz .LBB43_6
; %bb.4:
	v_mad_u64_u32 v[6:7], null, s0, 25, v[2:3]
	s_clause 0x1
	s_load_dwordx2 s[2:3], s[4:5], 0x48
	s_load_dwordx2 s[12:13], s[4:5], 0x20
	v_lshlrev_b32_e32 v9, 2, v4
	v_mul_hi_u32_u24_e32 v10, 20, v4
	v_mul_u32_u24_e32 v11, 20, v4
	v_mov_b32_e32 v2, v7
	v_mad_u64_u32 v[2:3], null, s1, 25, v[2:3]
	s_clause 0x2
	s_load_dwordx2 s[0:1], s[4:5], 0x30
	s_load_dword s6, s[4:5], 0x0
	s_load_dwordx2 s[4:5], s[4:5], 0x58
	v_mov_b32_e32 v7, v2
	s_waitcnt lgkmcnt(0)
	v_mad_u64_u32 v[2:3], null, 0x64, v0, s[12:13]
	s_mul_i32 s13, s7, 25
	s_mul_hi_u32 s12, s7, 25
	v_mad_u64_u32 v[5:6], null, v5, 5, v[6:7]
	v_lshlrev_b64 v[7:8], 3, v[0:1]
	v_mad_u64_u32 v[12:13], null, 0x64, v1, v[3:4]
	v_sub_co_u32 v5, vcc_lo, v5, s13
	v_subrev_co_ci_u32_e64 v6, null, s12, v6, vcc_lo
	v_add_co_u32 v3, vcc_lo, s0, v7
	v_add_co_ci_u32_e64 v4, null, s1, v8, vcc_lo
	v_lshlrev_b64 v[13:14], 2, v[5:6]
	v_lshlrev_b64 v[5:6], 3, v[5:6]
	s_cmp_eq_u32 s6, 0
	v_add_co_u32 v7, vcc_lo, s2, v13
	v_add_co_ci_u32_e64 v8, null, s3, v14, vcc_lo
	v_add_co_u32 v13, vcc_lo, s4, v5
	v_add_co_ci_u32_e64 v14, null, s5, v6, vcc_lo
	;; [unrolled: 2-line block ×4, first 2 shown]
	s_cselect_b32 vcc_lo, -1, 0
	s_mov_b32 s5, s9
.LBB43_5:                               ; =>This Inner Loop Header: Depth=1
	v_add_co_u32 v15, s0, v2, v9
	v_add_co_ci_u32_e64 v16, null, 0, v12, s0
	v_add_co_u32 v19, s0, v2, v11
	v_add_co_ci_u32_e64 v20, null, v12, v10, s0
	global_load_dwordx2 v[17:18], v[3:4], off
	v_add_co_u32 v21, s0, v19, 4
	v_add_co_ci_u32_e64 v22, null, 0, v20, s0
	v_add_co_u32 v23, s0, v15, 20
	v_add_co_ci_u32_e64 v24, null, 0, v16, s0
	v_add_co_u32 v25, s0, v19, 8
	v_add_co_ci_u32_e64 v26, null, 0, v20, s0
	v_add_co_u32 v27, s0, v15, 40
	v_add_co_ci_u32_e64 v28, null, 0, v16, s0
	v_add_co_u32 v29, s0, v19, 12
	v_add_co_ci_u32_e64 v30, null, 0, v20, s0
	v_add_co_u32 v31, s0, v15, 60
	v_add_co_ci_u32_e64 v32, null, 0, v16, s0
	v_add_co_u32 v33, s0, v19, 16
	v_add_co_ci_u32_e64 v34, null, 0, v20, s0
	v_add_co_u32 v35, s0, 0x50, v15
	v_add_co_ci_u32_e64 v36, null, 0, v16, s0
	v_cndmask_b32_e32 v14, v16, v20, vcc_lo
	v_cndmask_b32_e32 v13, v15, v19, vcc_lo
	;; [unrolled: 1-line block ×10, first 2 shown]
	global_load_dword v13, v[13:14], off
	global_load_dword v14, v[15:16], off
	;; [unrolled: 1-line block ×5, first 2 shown]
	v_add_co_u32 v0, s0, v0, 32
	v_add_co_ci_u32_e64 v1, null, 0, v1, s0
	v_add_co_u32 v3, s0, 0x100, v3
	v_add_co_ci_u32_e64 v4, null, 0, v4, s0
	;; [unrolled: 2-line block ×3, first 2 shown]
	v_cmp_le_i64_e64 s0, s[10:11], v[0:1]
	s_waitcnt vmcnt(1)
	global_store_dwordx4 v[5:6], v[13:16], off offset:-8
	s_waitcnt vmcnt(0)
	global_store_dword v[5:6], v19, off offset:8
	v_sub_co_u32 v17, s1, v17, s7
	v_subrev_co_ci_u32_e64 v20, null, 0, v18, s1
	v_add_co_u32 v5, s1, 0x280, v5
	v_mad_u64_u32 v[17:18], null, v17, 5, s[8:9]
	v_add_co_ci_u32_e64 v6, null, 0, v6, s1
	s_or_b32 s5, s0, s5
	v_mad_u64_u32 v[18:19], null, v20, 5, v[18:19]
	v_add_co_u32 v19, s4, v17, 1
	v_add_co_u32 v13, s1, v17, 2
	;; [unrolled: 1-line block ×4, first 2 shown]
	v_add_co_ci_u32_e64 v20, null, 0, v18, s4
	v_add_co_ci_u32_e64 v14, null, 0, v18, s1
	;; [unrolled: 1-line block ×4, first 2 shown]
	global_store_dwordx4 v[7:8], v[17:20], off offset:-16
	global_store_dwordx4 v[7:8], v[13:16], off
	global_store_dwordx2 v[7:8], v[21:22], off offset:16
	v_add_co_u32 v7, s1, 0x500, v7
	v_add_co_ci_u32_e64 v8, null, 0, v8, s1
	s_andn2_b32 exec_lo, exec_lo, s5
	s_cbranch_execnz .LBB43_5
.LBB43_6:
	s_endpgm
	.section	.rodata,"a",@progbits
	.p2align	6, 0x0
	.amdhsa_kernel _ZN9rocsparseL32bsr2csr_block_per_row_2_7_kernelILj256ELj5EillEEv20rocsparse_direction_T3_S2_21rocsparse_index_base_PKT1_PKT2_PKS2_S2_S3_PS4_PS7_PS2_
		.amdhsa_group_segment_fixed_size 0
		.amdhsa_private_segment_fixed_size 0
		.amdhsa_kernarg_size 96
		.amdhsa_user_sgpr_count 6
		.amdhsa_user_sgpr_private_segment_buffer 1
		.amdhsa_user_sgpr_dispatch_ptr 0
		.amdhsa_user_sgpr_queue_ptr 0
		.amdhsa_user_sgpr_kernarg_segment_ptr 1
		.amdhsa_user_sgpr_dispatch_id 0
		.amdhsa_user_sgpr_flat_scratch_init 0
		.amdhsa_user_sgpr_private_segment_size 0
		.amdhsa_wavefront_size32 1
		.amdhsa_uses_dynamic_stack 0
		.amdhsa_system_sgpr_private_segment_wavefront_offset 0
		.amdhsa_system_sgpr_workgroup_id_x 1
		.amdhsa_system_sgpr_workgroup_id_y 0
		.amdhsa_system_sgpr_workgroup_id_z 0
		.amdhsa_system_sgpr_workgroup_info 0
		.amdhsa_system_vgpr_workitem_id 0
		.amdhsa_next_free_vgpr 37
		.amdhsa_next_free_sgpr 19
		.amdhsa_reserve_vcc 1
		.amdhsa_reserve_flat_scratch 0
		.amdhsa_float_round_mode_32 0
		.amdhsa_float_round_mode_16_64 0
		.amdhsa_float_denorm_mode_32 3
		.amdhsa_float_denorm_mode_16_64 3
		.amdhsa_dx10_clamp 1
		.amdhsa_ieee_mode 1
		.amdhsa_fp16_overflow 0
		.amdhsa_workgroup_processor_mode 1
		.amdhsa_memory_ordered 1
		.amdhsa_forward_progress 1
		.amdhsa_shared_vgpr_count 0
		.amdhsa_exception_fp_ieee_invalid_op 0
		.amdhsa_exception_fp_denorm_src 0
		.amdhsa_exception_fp_ieee_div_zero 0
		.amdhsa_exception_fp_ieee_overflow 0
		.amdhsa_exception_fp_ieee_underflow 0
		.amdhsa_exception_fp_ieee_inexact 0
		.amdhsa_exception_int_div_zero 0
	.end_amdhsa_kernel
	.section	.text._ZN9rocsparseL32bsr2csr_block_per_row_2_7_kernelILj256ELj5EillEEv20rocsparse_direction_T3_S2_21rocsparse_index_base_PKT1_PKT2_PKS2_S2_S3_PS4_PS7_PS2_,"axG",@progbits,_ZN9rocsparseL32bsr2csr_block_per_row_2_7_kernelILj256ELj5EillEEv20rocsparse_direction_T3_S2_21rocsparse_index_base_PKT1_PKT2_PKS2_S2_S3_PS4_PS7_PS2_,comdat
.Lfunc_end43:
	.size	_ZN9rocsparseL32bsr2csr_block_per_row_2_7_kernelILj256ELj5EillEEv20rocsparse_direction_T3_S2_21rocsparse_index_base_PKT1_PKT2_PKS2_S2_S3_PS4_PS7_PS2_, .Lfunc_end43-_ZN9rocsparseL32bsr2csr_block_per_row_2_7_kernelILj256ELj5EillEEv20rocsparse_direction_T3_S2_21rocsparse_index_base_PKT1_PKT2_PKS2_S2_S3_PS4_PS7_PS2_
                                        ; -- End function
	.set _ZN9rocsparseL32bsr2csr_block_per_row_2_7_kernelILj256ELj5EillEEv20rocsparse_direction_T3_S2_21rocsparse_index_base_PKT1_PKT2_PKS2_S2_S3_PS4_PS7_PS2_.num_vgpr, 37
	.set _ZN9rocsparseL32bsr2csr_block_per_row_2_7_kernelILj256ELj5EillEEv20rocsparse_direction_T3_S2_21rocsparse_index_base_PKT1_PKT2_PKS2_S2_S3_PS4_PS7_PS2_.num_agpr, 0
	.set _ZN9rocsparseL32bsr2csr_block_per_row_2_7_kernelILj256ELj5EillEEv20rocsparse_direction_T3_S2_21rocsparse_index_base_PKT1_PKT2_PKS2_S2_S3_PS4_PS7_PS2_.numbered_sgpr, 19
	.set _ZN9rocsparseL32bsr2csr_block_per_row_2_7_kernelILj256ELj5EillEEv20rocsparse_direction_T3_S2_21rocsparse_index_base_PKT1_PKT2_PKS2_S2_S3_PS4_PS7_PS2_.num_named_barrier, 0
	.set _ZN9rocsparseL32bsr2csr_block_per_row_2_7_kernelILj256ELj5EillEEv20rocsparse_direction_T3_S2_21rocsparse_index_base_PKT1_PKT2_PKS2_S2_S3_PS4_PS7_PS2_.private_seg_size, 0
	.set _ZN9rocsparseL32bsr2csr_block_per_row_2_7_kernelILj256ELj5EillEEv20rocsparse_direction_T3_S2_21rocsparse_index_base_PKT1_PKT2_PKS2_S2_S3_PS4_PS7_PS2_.uses_vcc, 1
	.set _ZN9rocsparseL32bsr2csr_block_per_row_2_7_kernelILj256ELj5EillEEv20rocsparse_direction_T3_S2_21rocsparse_index_base_PKT1_PKT2_PKS2_S2_S3_PS4_PS7_PS2_.uses_flat_scratch, 0
	.set _ZN9rocsparseL32bsr2csr_block_per_row_2_7_kernelILj256ELj5EillEEv20rocsparse_direction_T3_S2_21rocsparse_index_base_PKT1_PKT2_PKS2_S2_S3_PS4_PS7_PS2_.has_dyn_sized_stack, 0
	.set _ZN9rocsparseL32bsr2csr_block_per_row_2_7_kernelILj256ELj5EillEEv20rocsparse_direction_T3_S2_21rocsparse_index_base_PKT1_PKT2_PKS2_S2_S3_PS4_PS7_PS2_.has_recursion, 0
	.set _ZN9rocsparseL32bsr2csr_block_per_row_2_7_kernelILj256ELj5EillEEv20rocsparse_direction_T3_S2_21rocsparse_index_base_PKT1_PKT2_PKS2_S2_S3_PS4_PS7_PS2_.has_indirect_call, 0
	.section	.AMDGPU.csdata,"",@progbits
; Kernel info:
; codeLenInByte = 1072
; TotalNumSgprs: 21
; NumVgprs: 37
; ScratchSize: 0
; MemoryBound: 0
; FloatMode: 240
; IeeeMode: 1
; LDSByteSize: 0 bytes/workgroup (compile time only)
; SGPRBlocks: 0
; VGPRBlocks: 4
; NumSGPRsForWavesPerEU: 21
; NumVGPRsForWavesPerEU: 37
; Occupancy: 16
; WaveLimiterHint : 0
; COMPUTE_PGM_RSRC2:SCRATCH_EN: 0
; COMPUTE_PGM_RSRC2:USER_SGPR: 6
; COMPUTE_PGM_RSRC2:TRAP_HANDLER: 0
; COMPUTE_PGM_RSRC2:TGID_X_EN: 1
; COMPUTE_PGM_RSRC2:TGID_Y_EN: 0
; COMPUTE_PGM_RSRC2:TGID_Z_EN: 0
; COMPUTE_PGM_RSRC2:TIDIG_COMP_CNT: 0
	.section	.text._ZN9rocsparseL32bsr2csr_block_per_row_2_7_kernelILj256ELj6EillEEv20rocsparse_direction_T3_S2_21rocsparse_index_base_PKT1_PKT2_PKS2_S2_S3_PS4_PS7_PS2_,"axG",@progbits,_ZN9rocsparseL32bsr2csr_block_per_row_2_7_kernelILj256ELj6EillEEv20rocsparse_direction_T3_S2_21rocsparse_index_base_PKT1_PKT2_PKS2_S2_S3_PS4_PS7_PS2_,comdat
	.globl	_ZN9rocsparseL32bsr2csr_block_per_row_2_7_kernelILj256ELj6EillEEv20rocsparse_direction_T3_S2_21rocsparse_index_base_PKT1_PKT2_PKS2_S2_S3_PS4_PS7_PS2_ ; -- Begin function _ZN9rocsparseL32bsr2csr_block_per_row_2_7_kernelILj256ELj6EillEEv20rocsparse_direction_T3_S2_21rocsparse_index_base_PKT1_PKT2_PKS2_S2_S3_PS4_PS7_PS2_
	.p2align	8
	.type	_ZN9rocsparseL32bsr2csr_block_per_row_2_7_kernelILj256ELj6EillEEv20rocsparse_direction_T3_S2_21rocsparse_index_base_PKT1_PKT2_PKS2_S2_S3_PS4_PS7_PS2_,@function
_ZN9rocsparseL32bsr2csr_block_per_row_2_7_kernelILj256ELj6EillEEv20rocsparse_direction_T3_S2_21rocsparse_index_base_PKT1_PKT2_PKS2_S2_S3_PS4_PS7_PS2_: ; @_ZN9rocsparseL32bsr2csr_block_per_row_2_7_kernelILj256ELj6EillEEv20rocsparse_direction_T3_S2_21rocsparse_index_base_PKT1_PKT2_PKS2_S2_S3_PS4_PS7_PS2_
; %bb.0:
	s_clause 0x2
	s_load_dwordx2 s[0:1], s[4:5], 0x28
	s_load_dword s8, s[4:5], 0x40
	s_load_dwordx2 s[12:13], s[4:5], 0x50
	s_mov_b32 s7, 0
	v_or_b32_e32 v1, s6, v0
	s_lshl_b64 s[2:3], s[6:7], 3
	s_waitcnt lgkmcnt(0)
	s_add_u32 s0, s0, s2
	s_addc_u32 s1, s1, s3
	s_mov_b32 s2, exec_lo
	v_cmpx_eq_u32_e32 0, v1
	s_cbranch_execz .LBB44_2
; %bb.1:
	v_mov_b32_e32 v1, s8
	v_mov_b32_e32 v2, 0
	global_store_dwordx2 v2, v[1:2], s[12:13]
.LBB44_2:
	s_or_b32 exec_lo, exec_lo, s2
	v_and_b32_e32 v6, 7, v0
	s_mov_b32 s2, exec_lo
	v_cmpx_gt_u32_e32 6, v6
	s_cbranch_execz .LBB44_6
; %bb.3:
	s_load_dwordx4 s[0:3], s[0:1], 0x0
	s_load_dword s7, s[4:5], 0x18
	v_lshrrev_b32_e32 v7, 3, v0
	v_mov_b32_e32 v3, 0
	s_mul_i32 s16, s6, 48
	v_lshlrev_b32_e32 v2, 3, v6
	s_waitcnt lgkmcnt(0)
	s_sub_u32 s9, s0, s7
	s_subb_u32 s14, s1, 0
	s_sub_u32 s10, s2, s7
	s_mul_hi_u32 s2, s9, 36
	s_mul_i32 s15, s14, 36
	s_subb_u32 s11, s3, 0
	s_add_i32 s2, s2, s15
	s_sub_u32 s3, s10, s9
	s_subb_u32 s17, s11, s14
	s_mul_i32 s15, s3, 6
	s_mul_hi_u32 s3, s3, 6
	v_mad_u64_u32 v[4:5], null, s15, v6, 0
	s_mul_i32 s17, s17, 6
	s_mul_i32 s18, s9, 36
	s_add_i32 s3, s3, s17
	v_mov_b32_e32 v0, v5
	v_mad_u64_u32 v[8:9], null, s3, v6, v[0:1]
	v_add_co_u32 v0, s9, s9, v7
	v_add_co_ci_u32_e64 v1, null, s14, 0, s9
	s_add_u32 s9, s15, s8
	s_addc_u32 s3, s3, 0
	s_add_u32 s9, s9, s18
	s_addc_u32 s2, s3, s2
	v_add_co_u32 v9, vcc_lo, s9, v4
	v_add_co_ci_u32_e64 v10, null, s2, v8, vcc_lo
	v_cmp_gt_i64_e32 vcc_lo, s[10:11], v[0:1]
	v_mov_b32_e32 v5, v8
	s_mul_hi_u32 s3, s6, 48
	s_add_u32 s2, s12, s16
	s_addc_u32 s3, s13, s3
	s_mov_b32 s9, 0
	global_store_dwordx2 v2, v[9:10], s[2:3] offset:8
	s_and_b32 exec_lo, exec_lo, vcc_lo
	s_cbranch_execz .LBB44_6
; %bb.4:
	v_mad_u64_u32 v[4:5], null, s0, 36, v[4:5]
	v_lshlrev_b32_e32 v2, 2, v6
	s_clause 0x2
	s_load_dwordx2 s[2:3], s[4:5], 0x30
	s_load_dwordx2 s[12:13], s[4:5], 0x48
	s_load_dword s6, s[4:5], 0x0
	s_mul_i32 s15, s7, 36
	s_mul_hi_u32 s14, s7, 36
	v_mad_u64_u32 v[10:11], null, 0x90, v0, v[2:3]
	v_mad_u64_u32 v[8:9], null, s1, 36, v[5:6]
	s_clause 0x1
	s_load_dwordx2 s[0:1], s[4:5], 0x20
	s_load_dwordx2 s[4:5], s[4:5], 0x58
	v_mul_u32_u24_e32 v9, 20, v6
	v_mov_b32_e32 v2, v11
	v_mov_b32_e32 v5, v8
	v_mul_hi_u32_u24_e32 v8, 20, v6
	v_mad_u64_u32 v[3:4], null, v7, 6, v[4:5]
	v_lshlrev_b64 v[5:6], 3, v[0:1]
	s_waitcnt lgkmcnt(0)
	s_cmp_eq_u32 s6, 0
	s_mov_b32 s6, s9
	v_mad_u64_u32 v[11:12], null, 0x90, v1, v[2:3]
	v_sub_co_u32 v12, vcc_lo, v3, s15
	v_subrev_co_ci_u32_e64 v13, null, s14, v4, vcc_lo
	v_add_co_u32 v2, vcc_lo, s2, v5
	v_add_co_ci_u32_e64 v3, null, s3, v6, vcc_lo
	v_lshlrev_b64 v[4:5], 2, v[12:13]
	v_lshlrev_b64 v[6:7], 3, v[12:13]
	v_add_co_u32 v10, vcc_lo, s0, v10
	v_add_co_ci_u32_e64 v11, null, s1, v11, vcc_lo
	v_add_co_u32 v4, vcc_lo, s12, v4
	v_add_co_ci_u32_e64 v5, null, s13, v5, vcc_lo
	;; [unrolled: 2-line block ×5, first 2 shown]
	s_cselect_b32 vcc_lo, -1, 0
.LBB44_5:                               ; =>This Inner Loop Header: Depth=1
	v_add_co_u32 v14, s0, v10, v9
	v_add_co_ci_u32_e64 v15, null, v11, v8, s0
	v_add_co_u32 v18, s0, v10, 24
	v_add_co_ci_u32_e64 v19, null, 0, v11, s0
	;; [unrolled: 2-line block ×7, first 2 shown]
	v_add_co_u32 v30, s0, v14, 8
	global_load_dwordx2 v[16:17], v[2:3], off
	v_add_co_ci_u32_e64 v31, null, 0, v15, s0
	v_add_co_u32 v32, s0, v14, 12
	v_cndmask_b32_e32 v13, v11, v15, vcc_lo
	v_cndmask_b32_e32 v12, v10, v14, vcc_lo
	v_add_co_ci_u32_e64 v33, null, 0, v15, s0
	v_add_co_u32 v34, s0, v14, 16
	v_add_co_ci_u32_e64 v35, null, 0, v15, s0
	v_add_co_u32 v36, s0, v14, 20
	v_add_co_ci_u32_e64 v15, null, 0, v15, s0
	global_load_dword v12, v[12:13], off
	v_cndmask_b32_e32 v14, v19, v29, vcc_lo
	v_cndmask_b32_e32 v13, v18, v28, vcc_lo
	;; [unrolled: 1-line block ×10, first 2 shown]
	global_load_dword v13, v[13:14], off
	global_load_dword v14, v[18:19], off
	;; [unrolled: 1-line block ×5, first 2 shown]
	v_add_co_u32 v0, s0, v0, 32
	v_add_co_ci_u32_e64 v1, null, 0, v1, s0
	v_add_co_u32 v2, s0, 0x100, v2
	v_add_co_ci_u32_e64 v3, null, 0, v3, s0
	;; [unrolled: 2-line block ×3, first 2 shown]
	v_cmp_le_i64_e64 s0, s[10:11], v[0:1]
	s_waitcnt vmcnt(2)
	global_store_dwordx4 v[4:5], v[12:15], off offset:-12
	s_waitcnt vmcnt(0)
	global_store_dwordx2 v[4:5], v[18:19], off offset:4
	v_sub_co_u32 v16, s1, v16, s7
	v_subrev_co_ci_u32_e64 v20, null, 0, v17, s1
	v_add_co_u32 v4, s1, 0x300, v4
	v_mad_u64_u32 v[16:17], null, v16, 6, s[8:9]
	v_add_co_ci_u32_e64 v5, null, 0, v5, s1
	s_or_b32 s6, s0, s6
	v_mad_u64_u32 v[17:18], null, v20, 6, v[17:18]
	v_add_co_u32 v18, s5, v16, 1
	v_add_co_u32 v12, s1, v16, 2
	;; [unrolled: 1-line block ×5, first 2 shown]
	v_add_co_ci_u32_e64 v19, null, 0, v17, s5
	v_add_co_ci_u32_e64 v13, null, 0, v17, s1
	;; [unrolled: 1-line block ×5, first 2 shown]
	global_store_dwordx4 v[6:7], v[16:19], off offset:-24
	global_store_dwordx4 v[6:7], v[12:15], off offset:-8
	global_store_dwordx4 v[6:7], v[20:23], off offset:8
	v_add_co_u32 v6, s1, 0x600, v6
	v_add_co_ci_u32_e64 v7, null, 0, v7, s1
	s_andn2_b32 exec_lo, exec_lo, s6
	s_cbranch_execnz .LBB44_5
.LBB44_6:
	s_endpgm
	.section	.rodata,"a",@progbits
	.p2align	6, 0x0
	.amdhsa_kernel _ZN9rocsparseL32bsr2csr_block_per_row_2_7_kernelILj256ELj6EillEEv20rocsparse_direction_T3_S2_21rocsparse_index_base_PKT1_PKT2_PKS2_S2_S3_PS4_PS7_PS2_
		.amdhsa_group_segment_fixed_size 0
		.amdhsa_private_segment_fixed_size 0
		.amdhsa_kernarg_size 96
		.amdhsa_user_sgpr_count 6
		.amdhsa_user_sgpr_private_segment_buffer 1
		.amdhsa_user_sgpr_dispatch_ptr 0
		.amdhsa_user_sgpr_queue_ptr 0
		.amdhsa_user_sgpr_kernarg_segment_ptr 1
		.amdhsa_user_sgpr_dispatch_id 0
		.amdhsa_user_sgpr_flat_scratch_init 0
		.amdhsa_user_sgpr_private_segment_size 0
		.amdhsa_wavefront_size32 1
		.amdhsa_uses_dynamic_stack 0
		.amdhsa_system_sgpr_private_segment_wavefront_offset 0
		.amdhsa_system_sgpr_workgroup_id_x 1
		.amdhsa_system_sgpr_workgroup_id_y 0
		.amdhsa_system_sgpr_workgroup_id_z 0
		.amdhsa_system_sgpr_workgroup_info 0
		.amdhsa_system_vgpr_workitem_id 0
		.amdhsa_next_free_vgpr 37
		.amdhsa_next_free_sgpr 19
		.amdhsa_reserve_vcc 1
		.amdhsa_reserve_flat_scratch 0
		.amdhsa_float_round_mode_32 0
		.amdhsa_float_round_mode_16_64 0
		.amdhsa_float_denorm_mode_32 3
		.amdhsa_float_denorm_mode_16_64 3
		.amdhsa_dx10_clamp 1
		.amdhsa_ieee_mode 1
		.amdhsa_fp16_overflow 0
		.amdhsa_workgroup_processor_mode 1
		.amdhsa_memory_ordered 1
		.amdhsa_forward_progress 1
		.amdhsa_shared_vgpr_count 0
		.amdhsa_exception_fp_ieee_invalid_op 0
		.amdhsa_exception_fp_denorm_src 0
		.amdhsa_exception_fp_ieee_div_zero 0
		.amdhsa_exception_fp_ieee_overflow 0
		.amdhsa_exception_fp_ieee_underflow 0
		.amdhsa_exception_fp_ieee_inexact 0
		.amdhsa_exception_int_div_zero 0
	.end_amdhsa_kernel
	.section	.text._ZN9rocsparseL32bsr2csr_block_per_row_2_7_kernelILj256ELj6EillEEv20rocsparse_direction_T3_S2_21rocsparse_index_base_PKT1_PKT2_PKS2_S2_S3_PS4_PS7_PS2_,"axG",@progbits,_ZN9rocsparseL32bsr2csr_block_per_row_2_7_kernelILj256ELj6EillEEv20rocsparse_direction_T3_S2_21rocsparse_index_base_PKT1_PKT2_PKS2_S2_S3_PS4_PS7_PS2_,comdat
.Lfunc_end44:
	.size	_ZN9rocsparseL32bsr2csr_block_per_row_2_7_kernelILj256ELj6EillEEv20rocsparse_direction_T3_S2_21rocsparse_index_base_PKT1_PKT2_PKS2_S2_S3_PS4_PS7_PS2_, .Lfunc_end44-_ZN9rocsparseL32bsr2csr_block_per_row_2_7_kernelILj256ELj6EillEEv20rocsparse_direction_T3_S2_21rocsparse_index_base_PKT1_PKT2_PKS2_S2_S3_PS4_PS7_PS2_
                                        ; -- End function
	.set _ZN9rocsparseL32bsr2csr_block_per_row_2_7_kernelILj256ELj6EillEEv20rocsparse_direction_T3_S2_21rocsparse_index_base_PKT1_PKT2_PKS2_S2_S3_PS4_PS7_PS2_.num_vgpr, 37
	.set _ZN9rocsparseL32bsr2csr_block_per_row_2_7_kernelILj256ELj6EillEEv20rocsparse_direction_T3_S2_21rocsparse_index_base_PKT1_PKT2_PKS2_S2_S3_PS4_PS7_PS2_.num_agpr, 0
	.set _ZN9rocsparseL32bsr2csr_block_per_row_2_7_kernelILj256ELj6EillEEv20rocsparse_direction_T3_S2_21rocsparse_index_base_PKT1_PKT2_PKS2_S2_S3_PS4_PS7_PS2_.numbered_sgpr, 19
	.set _ZN9rocsparseL32bsr2csr_block_per_row_2_7_kernelILj256ELj6EillEEv20rocsparse_direction_T3_S2_21rocsparse_index_base_PKT1_PKT2_PKS2_S2_S3_PS4_PS7_PS2_.num_named_barrier, 0
	.set _ZN9rocsparseL32bsr2csr_block_per_row_2_7_kernelILj256ELj6EillEEv20rocsparse_direction_T3_S2_21rocsparse_index_base_PKT1_PKT2_PKS2_S2_S3_PS4_PS7_PS2_.private_seg_size, 0
	.set _ZN9rocsparseL32bsr2csr_block_per_row_2_7_kernelILj256ELj6EillEEv20rocsparse_direction_T3_S2_21rocsparse_index_base_PKT1_PKT2_PKS2_S2_S3_PS4_PS7_PS2_.uses_vcc, 1
	.set _ZN9rocsparseL32bsr2csr_block_per_row_2_7_kernelILj256ELj6EillEEv20rocsparse_direction_T3_S2_21rocsparse_index_base_PKT1_PKT2_PKS2_S2_S3_PS4_PS7_PS2_.uses_flat_scratch, 0
	.set _ZN9rocsparseL32bsr2csr_block_per_row_2_7_kernelILj256ELj6EillEEv20rocsparse_direction_T3_S2_21rocsparse_index_base_PKT1_PKT2_PKS2_S2_S3_PS4_PS7_PS2_.has_dyn_sized_stack, 0
	.set _ZN9rocsparseL32bsr2csr_block_per_row_2_7_kernelILj256ELj6EillEEv20rocsparse_direction_T3_S2_21rocsparse_index_base_PKT1_PKT2_PKS2_S2_S3_PS4_PS7_PS2_.has_recursion, 0
	.set _ZN9rocsparseL32bsr2csr_block_per_row_2_7_kernelILj256ELj6EillEEv20rocsparse_direction_T3_S2_21rocsparse_index_base_PKT1_PKT2_PKS2_S2_S3_PS4_PS7_PS2_.has_indirect_call, 0
	.section	.AMDGPU.csdata,"",@progbits
; Kernel info:
; codeLenInByte = 1148
; TotalNumSgprs: 21
; NumVgprs: 37
; ScratchSize: 0
; MemoryBound: 0
; FloatMode: 240
; IeeeMode: 1
; LDSByteSize: 0 bytes/workgroup (compile time only)
; SGPRBlocks: 0
; VGPRBlocks: 4
; NumSGPRsForWavesPerEU: 21
; NumVGPRsForWavesPerEU: 37
; Occupancy: 16
; WaveLimiterHint : 0
; COMPUTE_PGM_RSRC2:SCRATCH_EN: 0
; COMPUTE_PGM_RSRC2:USER_SGPR: 6
; COMPUTE_PGM_RSRC2:TRAP_HANDLER: 0
; COMPUTE_PGM_RSRC2:TGID_X_EN: 1
; COMPUTE_PGM_RSRC2:TGID_Y_EN: 0
; COMPUTE_PGM_RSRC2:TGID_Z_EN: 0
; COMPUTE_PGM_RSRC2:TIDIG_COMP_CNT: 0
	.section	.text._ZN9rocsparseL32bsr2csr_block_per_row_2_7_kernelILj256ELj7EillEEv20rocsparse_direction_T3_S2_21rocsparse_index_base_PKT1_PKT2_PKS2_S2_S3_PS4_PS7_PS2_,"axG",@progbits,_ZN9rocsparseL32bsr2csr_block_per_row_2_7_kernelILj256ELj7EillEEv20rocsparse_direction_T3_S2_21rocsparse_index_base_PKT1_PKT2_PKS2_S2_S3_PS4_PS7_PS2_,comdat
	.globl	_ZN9rocsparseL32bsr2csr_block_per_row_2_7_kernelILj256ELj7EillEEv20rocsparse_direction_T3_S2_21rocsparse_index_base_PKT1_PKT2_PKS2_S2_S3_PS4_PS7_PS2_ ; -- Begin function _ZN9rocsparseL32bsr2csr_block_per_row_2_7_kernelILj256ELj7EillEEv20rocsparse_direction_T3_S2_21rocsparse_index_base_PKT1_PKT2_PKS2_S2_S3_PS4_PS7_PS2_
	.p2align	8
	.type	_ZN9rocsparseL32bsr2csr_block_per_row_2_7_kernelILj256ELj7EillEEv20rocsparse_direction_T3_S2_21rocsparse_index_base_PKT1_PKT2_PKS2_S2_S3_PS4_PS7_PS2_,@function
_ZN9rocsparseL32bsr2csr_block_per_row_2_7_kernelILj256ELj7EillEEv20rocsparse_direction_T3_S2_21rocsparse_index_base_PKT1_PKT2_PKS2_S2_S3_PS4_PS7_PS2_: ; @_ZN9rocsparseL32bsr2csr_block_per_row_2_7_kernelILj256ELj7EillEEv20rocsparse_direction_T3_S2_21rocsparse_index_base_PKT1_PKT2_PKS2_S2_S3_PS4_PS7_PS2_
; %bb.0:
	s_clause 0x2
	s_load_dwordx2 s[0:1], s[4:5], 0x28
	s_load_dword s8, s[4:5], 0x40
	s_load_dwordx2 s[12:13], s[4:5], 0x50
	s_mov_b32 s7, 0
	v_or_b32_e32 v1, s6, v0
	s_lshl_b64 s[2:3], s[6:7], 3
	s_waitcnt lgkmcnt(0)
	s_add_u32 s0, s0, s2
	s_addc_u32 s1, s1, s3
	s_mov_b32 s2, exec_lo
	v_cmpx_eq_u32_e32 0, v1
	s_cbranch_execz .LBB45_2
; %bb.1:
	v_mov_b32_e32 v1, s8
	v_mov_b32_e32 v2, 0
	global_store_dwordx2 v2, v[1:2], s[12:13]
.LBB45_2:
	s_or_b32 exec_lo, exec_lo, s2
	v_and_b32_e32 v6, 7, v0
	s_mov_b32 s2, exec_lo
	v_cmpx_ne_u32_e32 7, v6
	s_cbranch_execz .LBB45_6
; %bb.3:
	s_load_dwordx4 s[0:3], s[0:1], 0x0
	s_load_dword s7, s[4:5], 0x18
	v_lshrrev_b32_e32 v7, 3, v0
	v_mov_b32_e32 v3, 0
	s_mul_i32 s16, s6, 56
	v_lshlrev_b32_e32 v2, 3, v6
	s_waitcnt lgkmcnt(0)
	s_sub_u32 s9, s0, s7
	s_subb_u32 s14, s1, 0
	s_sub_u32 s10, s2, s7
	s_mul_hi_u32 s2, s9, 49
	s_mul_i32 s15, s14, 49
	s_subb_u32 s11, s3, 0
	s_add_i32 s2, s2, s15
	s_sub_u32 s3, s10, s9
	s_subb_u32 s17, s11, s14
	s_mul_i32 s15, s3, 7
	s_mul_hi_u32 s3, s3, 7
	v_mad_u64_u32 v[4:5], null, s15, v6, 0
	s_mul_i32 s17, s17, 7
	s_mul_i32 s18, s9, 49
	s_add_i32 s3, s3, s17
	v_mov_b32_e32 v0, v5
	v_mad_u64_u32 v[8:9], null, s3, v6, v[0:1]
	v_add_co_u32 v0, s9, s9, v7
	v_add_co_ci_u32_e64 v1, null, s14, 0, s9
	s_add_u32 s9, s15, s8
	s_addc_u32 s3, s3, 0
	s_add_u32 s9, s9, s18
	s_addc_u32 s2, s3, s2
	v_add_co_u32 v9, vcc_lo, s9, v4
	v_add_co_ci_u32_e64 v10, null, s2, v8, vcc_lo
	v_cmp_gt_i64_e32 vcc_lo, s[10:11], v[0:1]
	v_mov_b32_e32 v5, v8
	s_mul_hi_u32 s3, s6, 56
	s_add_u32 s2, s12, s16
	s_addc_u32 s3, s13, s3
	s_mov_b32 s9, 0
	global_store_dwordx2 v2, v[9:10], s[2:3] offset:8
	s_and_b32 exec_lo, exec_lo, vcc_lo
	s_cbranch_execz .LBB45_6
; %bb.4:
	v_mad_u64_u32 v[4:5], null, s0, 49, v[4:5]
	v_lshlrev_b32_e32 v2, 2, v6
	s_clause 0x2
	s_load_dwordx2 s[2:3], s[4:5], 0x30
	s_load_dwordx2 s[12:13], s[4:5], 0x48
	s_load_dword s6, s[4:5], 0x0
	s_mul_i32 s15, s7, 49
	s_mul_hi_u32 s14, s7, 49
	v_mad_u64_u32 v[10:11], null, 0xc4, v0, v[2:3]
	v_mad_u64_u32 v[8:9], null, s1, 49, v[5:6]
	s_clause 0x1
	s_load_dwordx2 s[0:1], s[4:5], 0x20
	s_load_dwordx2 s[4:5], s[4:5], 0x58
	v_mul_u32_u24_e32 v9, 24, v6
	v_mov_b32_e32 v2, v11
	v_mov_b32_e32 v5, v8
	v_mul_hi_u32_u24_e32 v8, 24, v6
	v_mad_u64_u32 v[3:4], null, v7, 7, v[4:5]
	v_lshlrev_b64 v[5:6], 3, v[0:1]
	s_waitcnt lgkmcnt(0)
	s_cmp_eq_u32 s6, 0
	v_mad_u64_u32 v[11:12], null, 0xc4, v1, v[2:3]
	v_sub_co_u32 v12, vcc_lo, v3, s15
	v_subrev_co_ci_u32_e64 v13, null, s14, v4, vcc_lo
	v_add_co_u32 v2, vcc_lo, s2, v5
	v_add_co_ci_u32_e64 v3, null, s3, v6, vcc_lo
	v_lshlrev_b64 v[4:5], 2, v[12:13]
	v_lshlrev_b64 v[6:7], 3, v[12:13]
	v_add_co_u32 v10, vcc_lo, s0, v10
	v_add_co_ci_u32_e64 v11, null, s1, v11, vcc_lo
	v_add_co_u32 v4, vcc_lo, s12, v4
	v_add_co_ci_u32_e64 v5, null, s13, v5, vcc_lo
	;; [unrolled: 2-line block ×5, first 2 shown]
	s_cselect_b32 vcc_lo, -1, 0
	s_mov_b32 s12, s9
.LBB45_5:                               ; =>This Inner Loop Header: Depth=1
	v_add_co_u32 v14, s0, v10, v9
	v_add_co_ci_u32_e64 v15, null, v11, v8, s0
	v_add_co_u32 v18, s0, v10, 28
	v_add_co_ci_u32_e64 v19, null, 0, v11, s0
	;; [unrolled: 2-line block ×8, first 2 shown]
	v_add_co_u32 v32, s0, v14, 8
	global_load_dwordx2 v[16:17], v[2:3], off
	v_add_co_ci_u32_e64 v33, null, 0, v15, s0
	v_add_co_u32 v34, s0, v14, 12
	v_add_co_ci_u32_e64 v35, null, 0, v15, s0
	v_add_co_u32 v36, s0, v14, 16
	v_cndmask_b32_e32 v13, v11, v15, vcc_lo
	v_cndmask_b32_e32 v12, v10, v14, vcc_lo
	v_add_co_ci_u32_e64 v37, null, 0, v15, s0
	v_add_co_u32 v38, s0, v14, 20
	v_add_co_ci_u32_e64 v39, null, 0, v15, s0
	v_add_co_u32 v40, s0, v14, 24
	v_add_co_ci_u32_e64 v15, null, 0, v15, s0
	global_load_dword v12, v[12:13], off
	v_cndmask_b32_e32 v14, v19, v31, vcc_lo
	v_cndmask_b32_e32 v13, v18, v30, vcc_lo
	;; [unrolled: 1-line block ×12, first 2 shown]
	global_load_dword v13, v[13:14], off
	global_load_dword v14, v[18:19], off
	;; [unrolled: 1-line block ×6, first 2 shown]
	v_add_co_u32 v0, s0, v0, 32
	v_add_co_ci_u32_e64 v1, null, 0, v1, s0
	v_add_co_u32 v2, s0, 0x100, v2
	v_add_co_ci_u32_e64 v3, null, 0, v3, s0
	v_add_co_u32 v10, s0, 0x1880, v10
	v_add_co_ci_u32_e64 v11, null, 0, v11, s0
	v_cmp_le_i64_e64 s0, s[10:11], v[0:1]
	s_waitcnt vmcnt(3)
	global_store_dwordx4 v[4:5], v[12:15], off offset:-12
	s_waitcnt vmcnt(0)
	global_store_dwordx3 v[4:5], v[18:20], off offset:4
	v_sub_co_u32 v16, s1, v16, s7
	v_subrev_co_ci_u32_e64 v21, null, 0, v17, s1
	v_add_co_u32 v4, s1, 0x380, v4
	v_mad_u64_u32 v[16:17], null, v16, 7, s[8:9]
	v_add_co_ci_u32_e64 v5, null, 0, v5, s1
	s_or_b32 s12, s0, s12
	v_mad_u64_u32 v[17:18], null, v21, 7, v[17:18]
	v_add_co_u32 v18, s6, v16, 1
	v_add_co_u32 v12, s1, v16, 2
	v_add_co_u32 v14, s2, v16, 3
	v_add_co_u32 v20, s3, v16, 4
	v_add_co_u32 v22, s4, v16, 5
	v_add_co_ci_u32_e64 v19, null, 0, v17, s6
	v_add_co_u32 v24, s5, v16, 6
	v_add_co_ci_u32_e64 v13, null, 0, v17, s1
	v_add_co_ci_u32_e64 v15, null, 0, v17, s2
	;; [unrolled: 1-line block ×5, first 2 shown]
	global_store_dwordx4 v[6:7], v[16:19], off offset:-24
	global_store_dwordx4 v[6:7], v[12:15], off offset:-8
	global_store_dwordx4 v[6:7], v[20:23], off offset:8
	global_store_dwordx2 v[6:7], v[24:25], off offset:24
	v_add_co_u32 v6, s1, 0x700, v6
	v_add_co_ci_u32_e64 v7, null, 0, v7, s1
	s_andn2_b32 exec_lo, exec_lo, s12
	s_cbranch_execnz .LBB45_5
.LBB45_6:
	s_endpgm
	.section	.rodata,"a",@progbits
	.p2align	6, 0x0
	.amdhsa_kernel _ZN9rocsparseL32bsr2csr_block_per_row_2_7_kernelILj256ELj7EillEEv20rocsparse_direction_T3_S2_21rocsparse_index_base_PKT1_PKT2_PKS2_S2_S3_PS4_PS7_PS2_
		.amdhsa_group_segment_fixed_size 0
		.amdhsa_private_segment_fixed_size 0
		.amdhsa_kernarg_size 96
		.amdhsa_user_sgpr_count 6
		.amdhsa_user_sgpr_private_segment_buffer 1
		.amdhsa_user_sgpr_dispatch_ptr 0
		.amdhsa_user_sgpr_queue_ptr 0
		.amdhsa_user_sgpr_kernarg_segment_ptr 1
		.amdhsa_user_sgpr_dispatch_id 0
		.amdhsa_user_sgpr_flat_scratch_init 0
		.amdhsa_user_sgpr_private_segment_size 0
		.amdhsa_wavefront_size32 1
		.amdhsa_uses_dynamic_stack 0
		.amdhsa_system_sgpr_private_segment_wavefront_offset 0
		.amdhsa_system_sgpr_workgroup_id_x 1
		.amdhsa_system_sgpr_workgroup_id_y 0
		.amdhsa_system_sgpr_workgroup_id_z 0
		.amdhsa_system_sgpr_workgroup_info 0
		.amdhsa_system_vgpr_workitem_id 0
		.amdhsa_next_free_vgpr 41
		.amdhsa_next_free_sgpr 19
		.amdhsa_reserve_vcc 1
		.amdhsa_reserve_flat_scratch 0
		.amdhsa_float_round_mode_32 0
		.amdhsa_float_round_mode_16_64 0
		.amdhsa_float_denorm_mode_32 3
		.amdhsa_float_denorm_mode_16_64 3
		.amdhsa_dx10_clamp 1
		.amdhsa_ieee_mode 1
		.amdhsa_fp16_overflow 0
		.amdhsa_workgroup_processor_mode 1
		.amdhsa_memory_ordered 1
		.amdhsa_forward_progress 1
		.amdhsa_shared_vgpr_count 0
		.amdhsa_exception_fp_ieee_invalid_op 0
		.amdhsa_exception_fp_denorm_src 0
		.amdhsa_exception_fp_ieee_div_zero 0
		.amdhsa_exception_fp_ieee_overflow 0
		.amdhsa_exception_fp_ieee_underflow 0
		.amdhsa_exception_fp_ieee_inexact 0
		.amdhsa_exception_int_div_zero 0
	.end_amdhsa_kernel
	.section	.text._ZN9rocsparseL32bsr2csr_block_per_row_2_7_kernelILj256ELj7EillEEv20rocsparse_direction_T3_S2_21rocsparse_index_base_PKT1_PKT2_PKS2_S2_S3_PS4_PS7_PS2_,"axG",@progbits,_ZN9rocsparseL32bsr2csr_block_per_row_2_7_kernelILj256ELj7EillEEv20rocsparse_direction_T3_S2_21rocsparse_index_base_PKT1_PKT2_PKS2_S2_S3_PS4_PS7_PS2_,comdat
.Lfunc_end45:
	.size	_ZN9rocsparseL32bsr2csr_block_per_row_2_7_kernelILj256ELj7EillEEv20rocsparse_direction_T3_S2_21rocsparse_index_base_PKT1_PKT2_PKS2_S2_S3_PS4_PS7_PS2_, .Lfunc_end45-_ZN9rocsparseL32bsr2csr_block_per_row_2_7_kernelILj256ELj7EillEEv20rocsparse_direction_T3_S2_21rocsparse_index_base_PKT1_PKT2_PKS2_S2_S3_PS4_PS7_PS2_
                                        ; -- End function
	.set _ZN9rocsparseL32bsr2csr_block_per_row_2_7_kernelILj256ELj7EillEEv20rocsparse_direction_T3_S2_21rocsparse_index_base_PKT1_PKT2_PKS2_S2_S3_PS4_PS7_PS2_.num_vgpr, 41
	.set _ZN9rocsparseL32bsr2csr_block_per_row_2_7_kernelILj256ELj7EillEEv20rocsparse_direction_T3_S2_21rocsparse_index_base_PKT1_PKT2_PKS2_S2_S3_PS4_PS7_PS2_.num_agpr, 0
	.set _ZN9rocsparseL32bsr2csr_block_per_row_2_7_kernelILj256ELj7EillEEv20rocsparse_direction_T3_S2_21rocsparse_index_base_PKT1_PKT2_PKS2_S2_S3_PS4_PS7_PS2_.numbered_sgpr, 19
	.set _ZN9rocsparseL32bsr2csr_block_per_row_2_7_kernelILj256ELj7EillEEv20rocsparse_direction_T3_S2_21rocsparse_index_base_PKT1_PKT2_PKS2_S2_S3_PS4_PS7_PS2_.num_named_barrier, 0
	.set _ZN9rocsparseL32bsr2csr_block_per_row_2_7_kernelILj256ELj7EillEEv20rocsparse_direction_T3_S2_21rocsparse_index_base_PKT1_PKT2_PKS2_S2_S3_PS4_PS7_PS2_.private_seg_size, 0
	.set _ZN9rocsparseL32bsr2csr_block_per_row_2_7_kernelILj256ELj7EillEEv20rocsparse_direction_T3_S2_21rocsparse_index_base_PKT1_PKT2_PKS2_S2_S3_PS4_PS7_PS2_.uses_vcc, 1
	.set _ZN9rocsparseL32bsr2csr_block_per_row_2_7_kernelILj256ELj7EillEEv20rocsparse_direction_T3_S2_21rocsparse_index_base_PKT1_PKT2_PKS2_S2_S3_PS4_PS7_PS2_.uses_flat_scratch, 0
	.set _ZN9rocsparseL32bsr2csr_block_per_row_2_7_kernelILj256ELj7EillEEv20rocsparse_direction_T3_S2_21rocsparse_index_base_PKT1_PKT2_PKS2_S2_S3_PS4_PS7_PS2_.has_dyn_sized_stack, 0
	.set _ZN9rocsparseL32bsr2csr_block_per_row_2_7_kernelILj256ELj7EillEEv20rocsparse_direction_T3_S2_21rocsparse_index_base_PKT1_PKT2_PKS2_S2_S3_PS4_PS7_PS2_.has_recursion, 0
	.set _ZN9rocsparseL32bsr2csr_block_per_row_2_7_kernelILj256ELj7EillEEv20rocsparse_direction_T3_S2_21rocsparse_index_base_PKT1_PKT2_PKS2_S2_S3_PS4_PS7_PS2_.has_indirect_call, 0
	.section	.AMDGPU.csdata,"",@progbits
; Kernel info:
; codeLenInByte = 1224
; TotalNumSgprs: 21
; NumVgprs: 41
; ScratchSize: 0
; MemoryBound: 0
; FloatMode: 240
; IeeeMode: 1
; LDSByteSize: 0 bytes/workgroup (compile time only)
; SGPRBlocks: 0
; VGPRBlocks: 5
; NumSGPRsForWavesPerEU: 21
; NumVGPRsForWavesPerEU: 41
; Occupancy: 16
; WaveLimiterHint : 0
; COMPUTE_PGM_RSRC2:SCRATCH_EN: 0
; COMPUTE_PGM_RSRC2:USER_SGPR: 6
; COMPUTE_PGM_RSRC2:TRAP_HANDLER: 0
; COMPUTE_PGM_RSRC2:TGID_X_EN: 1
; COMPUTE_PGM_RSRC2:TGID_Y_EN: 0
; COMPUTE_PGM_RSRC2:TGID_Z_EN: 0
; COMPUTE_PGM_RSRC2:TIDIG_COMP_CNT: 0
	.section	.text._ZN9rocsparseL33bsr2csr_block_per_row_8_32_kernelILj1024ELj8EillEEv20rocsparse_direction_T3_S2_21rocsparse_index_base_PKT1_PKT2_PKS2_S2_S3_PS4_PS7_PS2_,"axG",@progbits,_ZN9rocsparseL33bsr2csr_block_per_row_8_32_kernelILj1024ELj8EillEEv20rocsparse_direction_T3_S2_21rocsparse_index_base_PKT1_PKT2_PKS2_S2_S3_PS4_PS7_PS2_,comdat
	.globl	_ZN9rocsparseL33bsr2csr_block_per_row_8_32_kernelILj1024ELj8EillEEv20rocsparse_direction_T3_S2_21rocsparse_index_base_PKT1_PKT2_PKS2_S2_S3_PS4_PS7_PS2_ ; -- Begin function _ZN9rocsparseL33bsr2csr_block_per_row_8_32_kernelILj1024ELj8EillEEv20rocsparse_direction_T3_S2_21rocsparse_index_base_PKT1_PKT2_PKS2_S2_S3_PS4_PS7_PS2_
	.p2align	8
	.type	_ZN9rocsparseL33bsr2csr_block_per_row_8_32_kernelILj1024ELj8EillEEv20rocsparse_direction_T3_S2_21rocsparse_index_base_PKT1_PKT2_PKS2_S2_S3_PS4_PS7_PS2_,@function
_ZN9rocsparseL33bsr2csr_block_per_row_8_32_kernelILj1024ELj8EillEEv20rocsparse_direction_T3_S2_21rocsparse_index_base_PKT1_PKT2_PKS2_S2_S3_PS4_PS7_PS2_: ; @_ZN9rocsparseL33bsr2csr_block_per_row_8_32_kernelILj1024ELj8EillEEv20rocsparse_direction_T3_S2_21rocsparse_index_base_PKT1_PKT2_PKS2_S2_S3_PS4_PS7_PS2_
; %bb.0:
	s_clause 0x2
	s_load_dwordx2 s[0:1], s[4:5], 0x28
	s_load_dword s13, s[4:5], 0x40
	s_load_dwordx2 s[10:11], s[4:5], 0x50
	s_mov_b32 s7, 0
	v_or_b32_e32 v1, s6, v0
	s_lshl_b64 s[2:3], s[6:7], 3
	s_waitcnt lgkmcnt(0)
	s_add_u32 s8, s0, s2
	s_addc_u32 s9, s1, s3
	s_mov_b32 s0, exec_lo
	v_cmpx_eq_u32_e32 0, v1
	s_cbranch_execz .LBB46_2
; %bb.1:
	v_mov_b32_e32 v1, s13
	v_mov_b32_e32 v2, 0
	global_store_dwordx2 v2, v[1:2], s[10:11]
.LBB46_2:
	s_or_b32 exec_lo, exec_lo, s0
	s_load_dwordx2 s[2:3], s[4:5], 0x38
	v_mov_b32_e32 v3, 0
	v_bfe_u32 v4, v0, 3, 3
	v_and_b32_e32 v2, 7, v0
	v_mov_b32_e32 v5, v3
	s_waitcnt lgkmcnt(0)
	v_cmp_gt_i64_e32 vcc_lo, s[2:3], v[4:5]
	v_cmp_gt_i64_e64 s0, s[2:3], v[2:3]
	s_and_b32 s0, vcc_lo, s0
	s_and_saveexec_b32 s1, s0
	s_cbranch_execz .LBB46_6
; %bb.3:
	s_load_dwordx4 s[16:19], s[8:9], 0x0
	s_load_dword s12, s[4:5], 0x18
	s_mul_i32 s1, s2, s3
	s_mul_hi_u32 s0, s2, s2
	v_lshrrev_b32_e32 v5, 6, v0
	v_mov_b32_e32 v6, v3
	s_waitcnt lgkmcnt(0)
	s_sub_u32 s15, s16, s12
	s_subb_u32 s16, s17, 0
	s_sub_u32 s8, s18, s12
	s_subb_u32 s9, s19, 0
	s_add_i32 s7, s0, s1
	s_mul_i32 s0, s2, s2
	s_add_i32 s1, s7, s1
	s_mul_hi_u32 s7, s15, s0
	s_mul_i32 s14, s15, s1
	s_mul_i32 s17, s16, s0
	s_add_i32 s7, s7, s14
	s_mul_i32 s14, s15, s0
	s_add_i32 s19, s7, s17
	s_sub_u32 s17, s8, s15
	s_subb_u32 s7, s9, s16
	s_mul_i32 s18, s17, s3
	s_mul_hi_u32 s20, s17, s2
	s_mul_i32 s21, s7, s2
	s_add_i32 s18, s20, s18
	s_mul_i32 s20, s17, s2
	s_add_i32 s21, s18, s21
	s_add_u32 s18, s20, s13
	s_addc_u32 s22, s21, 0
	s_add_u32 s18, s18, s14
	s_addc_u32 s19, s22, s19
	s_mul_i32 s14, s3, s6
	v_mad_u64_u32 v[7:8], null, s20, v4, s[18:19]
	s_mul_hi_u32 s19, s2, s6
	s_mul_i32 s18, s2, s6
	s_add_i32 s19, s19, s14
	s_mov_b32 s14, 0
	s_lshl_b64 s[18:19], s[18:19], 3
	v_mov_b32_e32 v0, v8
	s_add_u32 s10, s10, s18
	s_addc_u32 s11, s11, s19
	v_mad_u64_u32 v[8:9], null, s21, v4, v[0:1]
	v_add_co_u32 v0, s6, s15, v5
	v_add_co_ci_u32_e64 v1, null, s16, 0, s6
	v_lshlrev_b32_e32 v9, 3, v4
	v_cmp_gt_i64_e32 vcc_lo, s[8:9], v[0:1]
	global_store_dwordx2 v9, v[7:8], s[10:11] offset:8
	s_and_b32 exec_lo, exec_lo, vcc_lo
	s_cbranch_execz .LBB46_6
; %bb.4:
	v_mad_u64_u32 v[7:8], null, s2, v2, 0
	v_mad_u64_u32 v[9:10], null, s2, v4, 0
	s_load_dwordx2 s[10:11], s[4:5], 0x20
	v_mad_u64_u32 v[5:6], null, s2, s15, v[5:6]
	s_mul_i32 s6, s3, s15
	v_mov_b32_e32 v3, v8
	s_mul_i32 s15, s2, s16
	v_mov_b32_e32 v8, v10
	s_clause 0x2
	s_load_dwordx2 s[18:19], s[4:5], 0x30
	s_load_dwordx2 s[20:21], s[4:5], 0x48
	s_load_dword s16, s[4:5], 0x0
	v_lshlrev_b32_e32 v13, 2, v2
	v_mad_u64_u32 v[10:11], null, s3, v2, v[3:4]
	v_mad_u64_u32 v[11:12], null, s3, v4, v[8:9]
	v_add3_u32 v6, s15, s6, v6
	v_lshlrev_b32_e32 v3, 2, v4
	v_mul_lo_u32 v14, s1, v0
	v_mul_lo_u32 v15, s0, v1
	v_mov_b32_e32 v8, v10
	v_mad_u64_u32 v[5:6], null, s17, v4, v[5:6]
	v_mov_b32_e32 v10, v11
	s_load_dwordx2 s[4:5], s[4:5], 0x58
	v_lshlrev_b64 v[7:8], 2, v[7:8]
	v_lshlrev_b64 v[9:10], 2, v[9:10]
	v_mul_lo_u32 v16, s3, v5
	s_waitcnt lgkmcnt(0)
	s_cmp_eq_u32 s16, 0
	v_add_co_u32 v7, vcc_lo, s10, v7
	v_add_co_ci_u32_e64 v8, null, s11, v8, vcc_lo
	v_add_co_u32 v9, vcc_lo, s10, v9
	v_add_co_ci_u32_e64 v10, null, s11, v10, vcc_lo
	v_add_co_u32 v11, vcc_lo, v7, v3
	v_mov_b32_e32 v3, v6
	v_mad_u64_u32 v[6:7], null, s0, v0, 0
	v_add_co_ci_u32_e64 v12, null, 0, v8, vcc_lo
	v_mad_u64_u32 v[3:4], null, s7, v4, v[3:4]
	v_add_co_u32 v4, vcc_lo, v9, v13
	v_mad_u64_u32 v[8:9], null, s2, v5, 0
	v_add3_u32 v7, v7, v15, v14
	v_add_co_ci_u32_e64 v10, null, 0, v10, vcc_lo
	v_mul_lo_u32 v3, s2, v3
	s_cselect_b32 vcc_lo, -1, 0
	v_lshlrev_b64 v[5:6], 2, v[6:7]
	v_cndmask_b32_e32 v14, v11, v4, vcc_lo
	v_cndmask_b32_e32 v12, v12, v10, vcc_lo
	s_lshl_b64 s[10:11], s[2:3], 7
	v_add3_u32 v9, v9, v3, v16
	v_add_co_u32 v5, vcc_lo, v14, v5
	v_add_co_ci_u32_e64 v6, null, v12, v6, vcc_lo
	v_lshlrev_b64 v[10:11], 2, v[8:9]
	v_add_co_u32 v3, s6, v2, s13
	v_lshlrev_b32_e32 v2, 3, v2
	v_add_co_ci_u32_e64 v4, null, 0, 0, s6
	v_add_co_u32 v7, vcc_lo, v10, v13
	v_lshlrev_b64 v[9:10], 3, v[8:9]
	v_add_co_ci_u32_e64 v11, null, 0, v11, vcc_lo
	v_add_co_u32 v7, vcc_lo, s20, v7
	s_lshl_b64 s[6:7], s[2:3], 6
	v_add_co_ci_u32_e64 v8, null, s21, v11, vcc_lo
	v_add_co_u32 v2, vcc_lo, v9, v2
	v_lshlrev_b64 v[11:12], 3, v[0:1]
	v_add_co_ci_u32_e64 v10, null, 0, v10, vcc_lo
	v_add_co_u32 v9, vcc_lo, s4, v2
	v_add_co_ci_u32_e64 v10, null, s5, v10, vcc_lo
	v_add_co_u32 v11, vcc_lo, s18, v11
	v_add_co_ci_u32_e64 v12, null, s19, v12, vcc_lo
	s_lshl_b64 s[4:5], s[0:1], 6
	s_inst_prefetch 0x1
	.p2align	6
.LBB46_5:                               ; =>This Inner Loop Header: Depth=1
	global_load_dwordx2 v[13:14], v[11:12], off
	global_load_dword v2, v[5:6], off
	v_add_co_u32 v0, vcc_lo, v0, 16
	v_add_co_ci_u32_e64 v1, null, 0, v1, vcc_lo
	v_add_co_u32 v5, vcc_lo, v5, s4
	v_add_co_ci_u32_e64 v6, null, s5, v6, vcc_lo
	;; [unrolled: 2-line block ×3, first 2 shown]
	v_cmp_le_i64_e32 vcc_lo, s[8:9], v[0:1]
	s_or_b32 s14, vcc_lo, s14
	s_waitcnt vmcnt(1)
	v_sub_co_u32 v13, s0, v13, s12
	v_subrev_co_ci_u32_e64 v14, null, 0, v14, s0
	s_waitcnt vmcnt(0)
	global_store_dword v[7:8], v2, off
	v_mul_lo_u32 v2, v13, s3
	v_add_co_u32 v7, s0, v7, s6
	v_mul_lo_u32 v15, v14, s2
	v_mad_u64_u32 v[13:14], null, v13, s2, v[3:4]
	v_add_co_ci_u32_e64 v8, null, s7, v8, s0
	v_add3_u32 v14, v15, v14, v2
	global_store_dwordx2 v[9:10], v[13:14], off
	v_add_co_u32 v9, s0, v9, s10
	v_add_co_ci_u32_e64 v10, null, s11, v10, s0
	s_andn2_b32 exec_lo, exec_lo, s14
	s_cbranch_execnz .LBB46_5
.LBB46_6:
	s_inst_prefetch 0x2
	s_endpgm
	.section	.rodata,"a",@progbits
	.p2align	6, 0x0
	.amdhsa_kernel _ZN9rocsparseL33bsr2csr_block_per_row_8_32_kernelILj1024ELj8EillEEv20rocsparse_direction_T3_S2_21rocsparse_index_base_PKT1_PKT2_PKS2_S2_S3_PS4_PS7_PS2_
		.amdhsa_group_segment_fixed_size 0
		.amdhsa_private_segment_fixed_size 0
		.amdhsa_kernarg_size 96
		.amdhsa_user_sgpr_count 6
		.amdhsa_user_sgpr_private_segment_buffer 1
		.amdhsa_user_sgpr_dispatch_ptr 0
		.amdhsa_user_sgpr_queue_ptr 0
		.amdhsa_user_sgpr_kernarg_segment_ptr 1
		.amdhsa_user_sgpr_dispatch_id 0
		.amdhsa_user_sgpr_flat_scratch_init 0
		.amdhsa_user_sgpr_private_segment_size 0
		.amdhsa_wavefront_size32 1
		.amdhsa_uses_dynamic_stack 0
		.amdhsa_system_sgpr_private_segment_wavefront_offset 0
		.amdhsa_system_sgpr_workgroup_id_x 1
		.amdhsa_system_sgpr_workgroup_id_y 0
		.amdhsa_system_sgpr_workgroup_id_z 0
		.amdhsa_system_sgpr_workgroup_info 0
		.amdhsa_system_vgpr_workitem_id 0
		.amdhsa_next_free_vgpr 17
		.amdhsa_next_free_sgpr 23
		.amdhsa_reserve_vcc 1
		.amdhsa_reserve_flat_scratch 0
		.amdhsa_float_round_mode_32 0
		.amdhsa_float_round_mode_16_64 0
		.amdhsa_float_denorm_mode_32 3
		.amdhsa_float_denorm_mode_16_64 3
		.amdhsa_dx10_clamp 1
		.amdhsa_ieee_mode 1
		.amdhsa_fp16_overflow 0
		.amdhsa_workgroup_processor_mode 1
		.amdhsa_memory_ordered 1
		.amdhsa_forward_progress 1
		.amdhsa_shared_vgpr_count 0
		.amdhsa_exception_fp_ieee_invalid_op 0
		.amdhsa_exception_fp_denorm_src 0
		.amdhsa_exception_fp_ieee_div_zero 0
		.amdhsa_exception_fp_ieee_overflow 0
		.amdhsa_exception_fp_ieee_underflow 0
		.amdhsa_exception_fp_ieee_inexact 0
		.amdhsa_exception_int_div_zero 0
	.end_amdhsa_kernel
	.section	.text._ZN9rocsparseL33bsr2csr_block_per_row_8_32_kernelILj1024ELj8EillEEv20rocsparse_direction_T3_S2_21rocsparse_index_base_PKT1_PKT2_PKS2_S2_S3_PS4_PS7_PS2_,"axG",@progbits,_ZN9rocsparseL33bsr2csr_block_per_row_8_32_kernelILj1024ELj8EillEEv20rocsparse_direction_T3_S2_21rocsparse_index_base_PKT1_PKT2_PKS2_S2_S3_PS4_PS7_PS2_,comdat
.Lfunc_end46:
	.size	_ZN9rocsparseL33bsr2csr_block_per_row_8_32_kernelILj1024ELj8EillEEv20rocsparse_direction_T3_S2_21rocsparse_index_base_PKT1_PKT2_PKS2_S2_S3_PS4_PS7_PS2_, .Lfunc_end46-_ZN9rocsparseL33bsr2csr_block_per_row_8_32_kernelILj1024ELj8EillEEv20rocsparse_direction_T3_S2_21rocsparse_index_base_PKT1_PKT2_PKS2_S2_S3_PS4_PS7_PS2_
                                        ; -- End function
	.set _ZN9rocsparseL33bsr2csr_block_per_row_8_32_kernelILj1024ELj8EillEEv20rocsparse_direction_T3_S2_21rocsparse_index_base_PKT1_PKT2_PKS2_S2_S3_PS4_PS7_PS2_.num_vgpr, 17
	.set _ZN9rocsparseL33bsr2csr_block_per_row_8_32_kernelILj1024ELj8EillEEv20rocsparse_direction_T3_S2_21rocsparse_index_base_PKT1_PKT2_PKS2_S2_S3_PS4_PS7_PS2_.num_agpr, 0
	.set _ZN9rocsparseL33bsr2csr_block_per_row_8_32_kernelILj1024ELj8EillEEv20rocsparse_direction_T3_S2_21rocsparse_index_base_PKT1_PKT2_PKS2_S2_S3_PS4_PS7_PS2_.numbered_sgpr, 23
	.set _ZN9rocsparseL33bsr2csr_block_per_row_8_32_kernelILj1024ELj8EillEEv20rocsparse_direction_T3_S2_21rocsparse_index_base_PKT1_PKT2_PKS2_S2_S3_PS4_PS7_PS2_.num_named_barrier, 0
	.set _ZN9rocsparseL33bsr2csr_block_per_row_8_32_kernelILj1024ELj8EillEEv20rocsparse_direction_T3_S2_21rocsparse_index_base_PKT1_PKT2_PKS2_S2_S3_PS4_PS7_PS2_.private_seg_size, 0
	.set _ZN9rocsparseL33bsr2csr_block_per_row_8_32_kernelILj1024ELj8EillEEv20rocsparse_direction_T3_S2_21rocsparse_index_base_PKT1_PKT2_PKS2_S2_S3_PS4_PS7_PS2_.uses_vcc, 1
	.set _ZN9rocsparseL33bsr2csr_block_per_row_8_32_kernelILj1024ELj8EillEEv20rocsparse_direction_T3_S2_21rocsparse_index_base_PKT1_PKT2_PKS2_S2_S3_PS4_PS7_PS2_.uses_flat_scratch, 0
	.set _ZN9rocsparseL33bsr2csr_block_per_row_8_32_kernelILj1024ELj8EillEEv20rocsparse_direction_T3_S2_21rocsparse_index_base_PKT1_PKT2_PKS2_S2_S3_PS4_PS7_PS2_.has_dyn_sized_stack, 0
	.set _ZN9rocsparseL33bsr2csr_block_per_row_8_32_kernelILj1024ELj8EillEEv20rocsparse_direction_T3_S2_21rocsparse_index_base_PKT1_PKT2_PKS2_S2_S3_PS4_PS7_PS2_.has_recursion, 0
	.set _ZN9rocsparseL33bsr2csr_block_per_row_8_32_kernelILj1024ELj8EillEEv20rocsparse_direction_T3_S2_21rocsparse_index_base_PKT1_PKT2_PKS2_S2_S3_PS4_PS7_PS2_.has_indirect_call, 0
	.section	.AMDGPU.csdata,"",@progbits
; Kernel info:
; codeLenInByte = 1092
; TotalNumSgprs: 25
; NumVgprs: 17
; ScratchSize: 0
; MemoryBound: 0
; FloatMode: 240
; IeeeMode: 1
; LDSByteSize: 0 bytes/workgroup (compile time only)
; SGPRBlocks: 0
; VGPRBlocks: 2
; NumSGPRsForWavesPerEU: 25
; NumVGPRsForWavesPerEU: 17
; Occupancy: 16
; WaveLimiterHint : 0
; COMPUTE_PGM_RSRC2:SCRATCH_EN: 0
; COMPUTE_PGM_RSRC2:USER_SGPR: 6
; COMPUTE_PGM_RSRC2:TRAP_HANDLER: 0
; COMPUTE_PGM_RSRC2:TGID_X_EN: 1
; COMPUTE_PGM_RSRC2:TGID_Y_EN: 0
; COMPUTE_PGM_RSRC2:TGID_Z_EN: 0
; COMPUTE_PGM_RSRC2:TIDIG_COMP_CNT: 0
	.section	.text._ZN9rocsparseL33bsr2csr_block_per_row_8_32_kernelILj1024ELj16EillEEv20rocsparse_direction_T3_S2_21rocsparse_index_base_PKT1_PKT2_PKS2_S2_S3_PS4_PS7_PS2_,"axG",@progbits,_ZN9rocsparseL33bsr2csr_block_per_row_8_32_kernelILj1024ELj16EillEEv20rocsparse_direction_T3_S2_21rocsparse_index_base_PKT1_PKT2_PKS2_S2_S3_PS4_PS7_PS2_,comdat
	.globl	_ZN9rocsparseL33bsr2csr_block_per_row_8_32_kernelILj1024ELj16EillEEv20rocsparse_direction_T3_S2_21rocsparse_index_base_PKT1_PKT2_PKS2_S2_S3_PS4_PS7_PS2_ ; -- Begin function _ZN9rocsparseL33bsr2csr_block_per_row_8_32_kernelILj1024ELj16EillEEv20rocsparse_direction_T3_S2_21rocsparse_index_base_PKT1_PKT2_PKS2_S2_S3_PS4_PS7_PS2_
	.p2align	8
	.type	_ZN9rocsparseL33bsr2csr_block_per_row_8_32_kernelILj1024ELj16EillEEv20rocsparse_direction_T3_S2_21rocsparse_index_base_PKT1_PKT2_PKS2_S2_S3_PS4_PS7_PS2_,@function
_ZN9rocsparseL33bsr2csr_block_per_row_8_32_kernelILj1024ELj16EillEEv20rocsparse_direction_T3_S2_21rocsparse_index_base_PKT1_PKT2_PKS2_S2_S3_PS4_PS7_PS2_: ; @_ZN9rocsparseL33bsr2csr_block_per_row_8_32_kernelILj1024ELj16EillEEv20rocsparse_direction_T3_S2_21rocsparse_index_base_PKT1_PKT2_PKS2_S2_S3_PS4_PS7_PS2_
; %bb.0:
	s_clause 0x2
	s_load_dwordx2 s[0:1], s[4:5], 0x28
	s_load_dword s13, s[4:5], 0x40
	s_load_dwordx2 s[10:11], s[4:5], 0x50
	s_mov_b32 s7, 0
	v_or_b32_e32 v1, s6, v0
	s_lshl_b64 s[2:3], s[6:7], 3
	s_waitcnt lgkmcnt(0)
	s_add_u32 s8, s0, s2
	s_addc_u32 s9, s1, s3
	s_mov_b32 s0, exec_lo
	v_cmpx_eq_u32_e32 0, v1
	s_cbranch_execz .LBB47_2
; %bb.1:
	v_mov_b32_e32 v1, s13
	v_mov_b32_e32 v2, 0
	global_store_dwordx2 v2, v[1:2], s[10:11]
.LBB47_2:
	s_or_b32 exec_lo, exec_lo, s0
	s_load_dwordx2 s[2:3], s[4:5], 0x38
	v_mov_b32_e32 v3, 0
	v_bfe_u32 v4, v0, 4, 4
	v_and_b32_e32 v2, 15, v0
	v_mov_b32_e32 v5, v3
	s_waitcnt lgkmcnt(0)
	v_cmp_gt_i64_e32 vcc_lo, s[2:3], v[4:5]
	v_cmp_gt_i64_e64 s0, s[2:3], v[2:3]
	s_and_b32 s0, vcc_lo, s0
	s_and_saveexec_b32 s1, s0
	s_cbranch_execz .LBB47_6
; %bb.3:
	s_load_dwordx4 s[16:19], s[8:9], 0x0
	s_load_dword s12, s[4:5], 0x18
	s_mul_i32 s1, s2, s3
	s_mul_hi_u32 s0, s2, s2
	v_lshrrev_b32_e32 v5, 8, v0
	v_mov_b32_e32 v6, v3
	s_waitcnt lgkmcnt(0)
	s_sub_u32 s15, s16, s12
	s_subb_u32 s16, s17, 0
	s_sub_u32 s8, s18, s12
	s_subb_u32 s9, s19, 0
	s_add_i32 s7, s0, s1
	s_mul_i32 s0, s2, s2
	s_add_i32 s1, s7, s1
	s_mul_hi_u32 s7, s15, s0
	s_mul_i32 s14, s15, s1
	s_mul_i32 s17, s16, s0
	s_add_i32 s7, s7, s14
	s_mul_i32 s14, s15, s0
	s_add_i32 s19, s7, s17
	s_sub_u32 s17, s8, s15
	s_subb_u32 s7, s9, s16
	s_mul_i32 s18, s17, s3
	s_mul_hi_u32 s20, s17, s2
	s_mul_i32 s21, s7, s2
	s_add_i32 s18, s20, s18
	s_mul_i32 s20, s17, s2
	s_add_i32 s21, s18, s21
	s_add_u32 s18, s20, s13
	s_addc_u32 s22, s21, 0
	s_add_u32 s18, s18, s14
	s_addc_u32 s19, s22, s19
	s_mul_i32 s14, s3, s6
	v_mad_u64_u32 v[7:8], null, s20, v4, s[18:19]
	s_mul_hi_u32 s19, s2, s6
	s_mul_i32 s18, s2, s6
	s_add_i32 s19, s19, s14
	s_mov_b32 s14, 0
	s_lshl_b64 s[18:19], s[18:19], 3
	v_mov_b32_e32 v0, v8
	s_add_u32 s10, s10, s18
	s_addc_u32 s11, s11, s19
	v_mad_u64_u32 v[8:9], null, s21, v4, v[0:1]
	v_add_co_u32 v0, s6, s15, v5
	v_add_co_ci_u32_e64 v1, null, s16, 0, s6
	v_lshlrev_b32_e32 v9, 3, v4
	v_cmp_gt_i64_e32 vcc_lo, s[8:9], v[0:1]
	global_store_dwordx2 v9, v[7:8], s[10:11] offset:8
	s_and_b32 exec_lo, exec_lo, vcc_lo
	s_cbranch_execz .LBB47_6
; %bb.4:
	v_mad_u64_u32 v[7:8], null, s2, v2, 0
	v_mad_u64_u32 v[9:10], null, s2, v4, 0
	s_load_dwordx2 s[10:11], s[4:5], 0x20
	v_mad_u64_u32 v[5:6], null, s2, s15, v[5:6]
	s_mul_i32 s6, s3, s15
	v_mov_b32_e32 v3, v8
	s_mul_i32 s15, s2, s16
	v_mov_b32_e32 v8, v10
	s_clause 0x2
	s_load_dwordx2 s[18:19], s[4:5], 0x30
	s_load_dwordx2 s[20:21], s[4:5], 0x48
	s_load_dword s16, s[4:5], 0x0
	v_lshlrev_b32_e32 v13, 2, v2
	v_mad_u64_u32 v[10:11], null, s3, v2, v[3:4]
	v_mad_u64_u32 v[11:12], null, s3, v4, v[8:9]
	v_add3_u32 v6, s15, s6, v6
	v_lshlrev_b32_e32 v3, 2, v4
	v_mul_lo_u32 v14, s1, v0
	v_mul_lo_u32 v15, s0, v1
	v_mov_b32_e32 v8, v10
	v_mad_u64_u32 v[5:6], null, s17, v4, v[5:6]
	v_mov_b32_e32 v10, v11
	s_load_dwordx2 s[4:5], s[4:5], 0x58
	v_lshlrev_b64 v[7:8], 2, v[7:8]
	v_lshlrev_b64 v[9:10], 2, v[9:10]
	v_mul_lo_u32 v16, s3, v5
	s_waitcnt lgkmcnt(0)
	s_cmp_eq_u32 s16, 0
	v_add_co_u32 v7, vcc_lo, s10, v7
	v_add_co_ci_u32_e64 v8, null, s11, v8, vcc_lo
	v_add_co_u32 v9, vcc_lo, s10, v9
	v_add_co_ci_u32_e64 v10, null, s11, v10, vcc_lo
	v_add_co_u32 v11, vcc_lo, v7, v3
	v_mov_b32_e32 v3, v6
	v_mad_u64_u32 v[6:7], null, s0, v0, 0
	v_add_co_ci_u32_e64 v12, null, 0, v8, vcc_lo
	v_mad_u64_u32 v[3:4], null, s7, v4, v[3:4]
	v_add_co_u32 v4, vcc_lo, v9, v13
	v_mad_u64_u32 v[8:9], null, s2, v5, 0
	v_add3_u32 v7, v7, v15, v14
	v_add_co_ci_u32_e64 v10, null, 0, v10, vcc_lo
	v_mul_lo_u32 v3, s2, v3
	s_cselect_b32 vcc_lo, -1, 0
	v_lshlrev_b64 v[5:6], 2, v[6:7]
	v_cndmask_b32_e32 v14, v11, v4, vcc_lo
	v_cndmask_b32_e32 v12, v12, v10, vcc_lo
	s_lshl_b64 s[10:11], s[2:3], 5
	v_add3_u32 v9, v9, v3, v16
	v_add_co_u32 v5, vcc_lo, v14, v5
	v_add_co_ci_u32_e64 v6, null, v12, v6, vcc_lo
	v_lshlrev_b64 v[10:11], 2, v[8:9]
	v_add_co_u32 v3, s6, v2, s13
	v_lshlrev_b32_e32 v2, 3, v2
	v_add_co_ci_u32_e64 v4, null, 0, 0, s6
	v_add_co_u32 v7, vcc_lo, v10, v13
	v_lshlrev_b64 v[9:10], 3, v[8:9]
	v_add_co_ci_u32_e64 v11, null, 0, v11, vcc_lo
	v_add_co_u32 v7, vcc_lo, s20, v7
	s_lshl_b64 s[6:7], s[2:3], 4
	v_add_co_ci_u32_e64 v8, null, s21, v11, vcc_lo
	v_add_co_u32 v2, vcc_lo, v9, v2
	v_lshlrev_b64 v[11:12], 3, v[0:1]
	v_add_co_ci_u32_e64 v10, null, 0, v10, vcc_lo
	v_add_co_u32 v9, vcc_lo, s4, v2
	v_add_co_ci_u32_e64 v10, null, s5, v10, vcc_lo
	v_add_co_u32 v11, vcc_lo, s18, v11
	v_add_co_ci_u32_e64 v12, null, s19, v12, vcc_lo
	s_lshl_b64 s[4:5], s[0:1], 4
	s_inst_prefetch 0x1
	.p2align	6
.LBB47_5:                               ; =>This Inner Loop Header: Depth=1
	global_load_dwordx2 v[13:14], v[11:12], off
	global_load_dword v2, v[5:6], off
	v_add_co_u32 v0, vcc_lo, v0, 4
	v_add_co_ci_u32_e64 v1, null, 0, v1, vcc_lo
	v_add_co_u32 v5, vcc_lo, v5, s4
	v_add_co_ci_u32_e64 v6, null, s5, v6, vcc_lo
	;; [unrolled: 2-line block ×3, first 2 shown]
	v_cmp_le_i64_e32 vcc_lo, s[8:9], v[0:1]
	s_or_b32 s14, vcc_lo, s14
	s_waitcnt vmcnt(1)
	v_sub_co_u32 v13, s0, v13, s12
	v_subrev_co_ci_u32_e64 v14, null, 0, v14, s0
	s_waitcnt vmcnt(0)
	global_store_dword v[7:8], v2, off
	v_mul_lo_u32 v2, v13, s3
	v_add_co_u32 v7, s0, v7, s6
	v_mul_lo_u32 v15, v14, s2
	v_mad_u64_u32 v[13:14], null, v13, s2, v[3:4]
	v_add_co_ci_u32_e64 v8, null, s7, v8, s0
	v_add3_u32 v14, v15, v14, v2
	global_store_dwordx2 v[9:10], v[13:14], off
	v_add_co_u32 v9, s0, v9, s10
	v_add_co_ci_u32_e64 v10, null, s11, v10, s0
	s_andn2_b32 exec_lo, exec_lo, s14
	s_cbranch_execnz .LBB47_5
.LBB47_6:
	s_inst_prefetch 0x2
	s_endpgm
	.section	.rodata,"a",@progbits
	.p2align	6, 0x0
	.amdhsa_kernel _ZN9rocsparseL33bsr2csr_block_per_row_8_32_kernelILj1024ELj16EillEEv20rocsparse_direction_T3_S2_21rocsparse_index_base_PKT1_PKT2_PKS2_S2_S3_PS4_PS7_PS2_
		.amdhsa_group_segment_fixed_size 0
		.amdhsa_private_segment_fixed_size 0
		.amdhsa_kernarg_size 96
		.amdhsa_user_sgpr_count 6
		.amdhsa_user_sgpr_private_segment_buffer 1
		.amdhsa_user_sgpr_dispatch_ptr 0
		.amdhsa_user_sgpr_queue_ptr 0
		.amdhsa_user_sgpr_kernarg_segment_ptr 1
		.amdhsa_user_sgpr_dispatch_id 0
		.amdhsa_user_sgpr_flat_scratch_init 0
		.amdhsa_user_sgpr_private_segment_size 0
		.amdhsa_wavefront_size32 1
		.amdhsa_uses_dynamic_stack 0
		.amdhsa_system_sgpr_private_segment_wavefront_offset 0
		.amdhsa_system_sgpr_workgroup_id_x 1
		.amdhsa_system_sgpr_workgroup_id_y 0
		.amdhsa_system_sgpr_workgroup_id_z 0
		.amdhsa_system_sgpr_workgroup_info 0
		.amdhsa_system_vgpr_workitem_id 0
		.amdhsa_next_free_vgpr 17
		.amdhsa_next_free_sgpr 23
		.amdhsa_reserve_vcc 1
		.amdhsa_reserve_flat_scratch 0
		.amdhsa_float_round_mode_32 0
		.amdhsa_float_round_mode_16_64 0
		.amdhsa_float_denorm_mode_32 3
		.amdhsa_float_denorm_mode_16_64 3
		.amdhsa_dx10_clamp 1
		.amdhsa_ieee_mode 1
		.amdhsa_fp16_overflow 0
		.amdhsa_workgroup_processor_mode 1
		.amdhsa_memory_ordered 1
		.amdhsa_forward_progress 1
		.amdhsa_shared_vgpr_count 0
		.amdhsa_exception_fp_ieee_invalid_op 0
		.amdhsa_exception_fp_denorm_src 0
		.amdhsa_exception_fp_ieee_div_zero 0
		.amdhsa_exception_fp_ieee_overflow 0
		.amdhsa_exception_fp_ieee_underflow 0
		.amdhsa_exception_fp_ieee_inexact 0
		.amdhsa_exception_int_div_zero 0
	.end_amdhsa_kernel
	.section	.text._ZN9rocsparseL33bsr2csr_block_per_row_8_32_kernelILj1024ELj16EillEEv20rocsparse_direction_T3_S2_21rocsparse_index_base_PKT1_PKT2_PKS2_S2_S3_PS4_PS7_PS2_,"axG",@progbits,_ZN9rocsparseL33bsr2csr_block_per_row_8_32_kernelILj1024ELj16EillEEv20rocsparse_direction_T3_S2_21rocsparse_index_base_PKT1_PKT2_PKS2_S2_S3_PS4_PS7_PS2_,comdat
.Lfunc_end47:
	.size	_ZN9rocsparseL33bsr2csr_block_per_row_8_32_kernelILj1024ELj16EillEEv20rocsparse_direction_T3_S2_21rocsparse_index_base_PKT1_PKT2_PKS2_S2_S3_PS4_PS7_PS2_, .Lfunc_end47-_ZN9rocsparseL33bsr2csr_block_per_row_8_32_kernelILj1024ELj16EillEEv20rocsparse_direction_T3_S2_21rocsparse_index_base_PKT1_PKT2_PKS2_S2_S3_PS4_PS7_PS2_
                                        ; -- End function
	.set _ZN9rocsparseL33bsr2csr_block_per_row_8_32_kernelILj1024ELj16EillEEv20rocsparse_direction_T3_S2_21rocsparse_index_base_PKT1_PKT2_PKS2_S2_S3_PS4_PS7_PS2_.num_vgpr, 17
	.set _ZN9rocsparseL33bsr2csr_block_per_row_8_32_kernelILj1024ELj16EillEEv20rocsparse_direction_T3_S2_21rocsparse_index_base_PKT1_PKT2_PKS2_S2_S3_PS4_PS7_PS2_.num_agpr, 0
	.set _ZN9rocsparseL33bsr2csr_block_per_row_8_32_kernelILj1024ELj16EillEEv20rocsparse_direction_T3_S2_21rocsparse_index_base_PKT1_PKT2_PKS2_S2_S3_PS4_PS7_PS2_.numbered_sgpr, 23
	.set _ZN9rocsparseL33bsr2csr_block_per_row_8_32_kernelILj1024ELj16EillEEv20rocsparse_direction_T3_S2_21rocsparse_index_base_PKT1_PKT2_PKS2_S2_S3_PS4_PS7_PS2_.num_named_barrier, 0
	.set _ZN9rocsparseL33bsr2csr_block_per_row_8_32_kernelILj1024ELj16EillEEv20rocsparse_direction_T3_S2_21rocsparse_index_base_PKT1_PKT2_PKS2_S2_S3_PS4_PS7_PS2_.private_seg_size, 0
	.set _ZN9rocsparseL33bsr2csr_block_per_row_8_32_kernelILj1024ELj16EillEEv20rocsparse_direction_T3_S2_21rocsparse_index_base_PKT1_PKT2_PKS2_S2_S3_PS4_PS7_PS2_.uses_vcc, 1
	.set _ZN9rocsparseL33bsr2csr_block_per_row_8_32_kernelILj1024ELj16EillEEv20rocsparse_direction_T3_S2_21rocsparse_index_base_PKT1_PKT2_PKS2_S2_S3_PS4_PS7_PS2_.uses_flat_scratch, 0
	.set _ZN9rocsparseL33bsr2csr_block_per_row_8_32_kernelILj1024ELj16EillEEv20rocsparse_direction_T3_S2_21rocsparse_index_base_PKT1_PKT2_PKS2_S2_S3_PS4_PS7_PS2_.has_dyn_sized_stack, 0
	.set _ZN9rocsparseL33bsr2csr_block_per_row_8_32_kernelILj1024ELj16EillEEv20rocsparse_direction_T3_S2_21rocsparse_index_base_PKT1_PKT2_PKS2_S2_S3_PS4_PS7_PS2_.has_recursion, 0
	.set _ZN9rocsparseL33bsr2csr_block_per_row_8_32_kernelILj1024ELj16EillEEv20rocsparse_direction_T3_S2_21rocsparse_index_base_PKT1_PKT2_PKS2_S2_S3_PS4_PS7_PS2_.has_indirect_call, 0
	.section	.AMDGPU.csdata,"",@progbits
; Kernel info:
; codeLenInByte = 1088
; TotalNumSgprs: 25
; NumVgprs: 17
; ScratchSize: 0
; MemoryBound: 0
; FloatMode: 240
; IeeeMode: 1
; LDSByteSize: 0 bytes/workgroup (compile time only)
; SGPRBlocks: 0
; VGPRBlocks: 2
; NumSGPRsForWavesPerEU: 25
; NumVGPRsForWavesPerEU: 17
; Occupancy: 16
; WaveLimiterHint : 0
; COMPUTE_PGM_RSRC2:SCRATCH_EN: 0
; COMPUTE_PGM_RSRC2:USER_SGPR: 6
; COMPUTE_PGM_RSRC2:TRAP_HANDLER: 0
; COMPUTE_PGM_RSRC2:TGID_X_EN: 1
; COMPUTE_PGM_RSRC2:TGID_Y_EN: 0
; COMPUTE_PGM_RSRC2:TGID_Z_EN: 0
; COMPUTE_PGM_RSRC2:TIDIG_COMP_CNT: 0
	.section	.text._ZN9rocsparseL33bsr2csr_block_per_row_8_32_kernelILj1024ELj32EillEEv20rocsparse_direction_T3_S2_21rocsparse_index_base_PKT1_PKT2_PKS2_S2_S3_PS4_PS7_PS2_,"axG",@progbits,_ZN9rocsparseL33bsr2csr_block_per_row_8_32_kernelILj1024ELj32EillEEv20rocsparse_direction_T3_S2_21rocsparse_index_base_PKT1_PKT2_PKS2_S2_S3_PS4_PS7_PS2_,comdat
	.globl	_ZN9rocsparseL33bsr2csr_block_per_row_8_32_kernelILj1024ELj32EillEEv20rocsparse_direction_T3_S2_21rocsparse_index_base_PKT1_PKT2_PKS2_S2_S3_PS4_PS7_PS2_ ; -- Begin function _ZN9rocsparseL33bsr2csr_block_per_row_8_32_kernelILj1024ELj32EillEEv20rocsparse_direction_T3_S2_21rocsparse_index_base_PKT1_PKT2_PKS2_S2_S3_PS4_PS7_PS2_
	.p2align	8
	.type	_ZN9rocsparseL33bsr2csr_block_per_row_8_32_kernelILj1024ELj32EillEEv20rocsparse_direction_T3_S2_21rocsparse_index_base_PKT1_PKT2_PKS2_S2_S3_PS4_PS7_PS2_,@function
_ZN9rocsparseL33bsr2csr_block_per_row_8_32_kernelILj1024ELj32EillEEv20rocsparse_direction_T3_S2_21rocsparse_index_base_PKT1_PKT2_PKS2_S2_S3_PS4_PS7_PS2_: ; @_ZN9rocsparseL33bsr2csr_block_per_row_8_32_kernelILj1024ELj32EillEEv20rocsparse_direction_T3_S2_21rocsparse_index_base_PKT1_PKT2_PKS2_S2_S3_PS4_PS7_PS2_
; %bb.0:
	s_clause 0x2
	s_load_dwordx2 s[0:1], s[4:5], 0x28
	s_load_dword s22, s[4:5], 0x40
	s_load_dwordx2 s[20:21], s[4:5], 0x50
	s_mov_b32 s7, 0
	v_or_b32_e32 v1, s6, v0
	s_lshl_b64 s[2:3], s[6:7], 3
	s_waitcnt lgkmcnt(0)
	s_add_u32 s2, s0, s2
	s_addc_u32 s3, s1, s3
	s_mov_b32 s0, exec_lo
	v_cmpx_eq_u32_e32 0, v1
	s_cbranch_execz .LBB48_2
; %bb.1:
	v_mov_b32_e32 v1, s22
	v_mov_b32_e32 v2, 0
	global_store_dwordx2 v2, v[1:2], s[20:21]
.LBB48_2:
	s_or_b32 exec_lo, exec_lo, s0
	s_load_dwordx2 s[8:9], s[4:5], 0x38
	v_mov_b32_e32 v1, 0
	v_lshrrev_b32_e32 v2, 5, v0
	v_and_b32_e32 v0, 31, v0
	v_mov_b32_e32 v3, v1
	s_waitcnt lgkmcnt(0)
	v_cmp_gt_i64_e32 vcc_lo, s[8:9], v[2:3]
	v_cmp_gt_i64_e64 s0, s[8:9], v[0:1]
	s_and_b32 s0, vcc_lo, s0
	s_and_saveexec_b32 s1, s0
	s_cbranch_execz .LBB48_6
; %bb.3:
	s_load_dwordx4 s[0:3], s[2:3], 0x0
	s_load_dword s10, s[4:5], 0x18
	s_mul_i32 s7, s8, s9
	s_mul_hi_u32 s11, s8, s8
	s_mul_i32 s16, s8, s8
	s_waitcnt lgkmcnt(0)
	s_sub_u32 s12, s0, s10
	s_subb_u32 s13, s1, 0
	s_sub_u32 s14, s2, s10
	s_subb_u32 s15, s3, 0
	s_add_i32 s11, s11, s7
	s_mul_i32 s19, s13, s16
	s_add_i32 s17, s11, s7
	s_mul_hi_u32 s7, s12, s16
	s_mul_i32 s11, s12, s17
	s_mul_i32 s18, s12, s16
	s_add_i32 s7, s7, s11
	s_add_i32 s19, s7, s19
	s_sub_u32 s23, s14, s12
	s_subb_u32 s7, s15, s13
	s_mul_i32 s11, s23, s9
	s_mul_hi_u32 s24, s23, s8
	s_mul_i32 s25, s7, s8
	s_add_i32 s11, s24, s11
	s_mul_i32 s26, s23, s8
	s_add_i32 s11, s11, s25
	s_add_u32 s24, s26, s22
	s_addc_u32 s25, s11, 0
	s_add_u32 s24, s24, s18
	s_addc_u32 s25, s25, s19
	v_mad_u64_u32 v[3:4], null, s26, v2, s[24:25]
	s_mul_hi_u32 s25, s8, s6
	s_mul_i32 s24, s8, s6
	v_mov_b32_e32 v1, v4
	v_mad_u64_u32 v[4:5], null, s11, v2, v[1:2]
	s_mul_i32 s11, s9, s6
	v_cmp_ge_i64_e64 s6, s[0:1], s[2:3]
	s_add_i32 s25, s25, s11
	v_lshlrev_b32_e32 v1, 3, v2
	s_lshl_b64 s[2:3], s[24:25], 3
	s_mov_b32 s11, 0
	s_add_u32 s2, s20, s2
	s_addc_u32 s3, s21, s3
	s_and_b32 vcc_lo, exec_lo, s6
	global_store_dwordx2 v1, v[3:4], s[2:3] offset:8
	s_cbranch_vccnz .LBB48_6
; %bb.4:
	v_mad_u64_u32 v[3:4], null, s8, v0, 0
	v_mad_u64_u32 v[5:6], null, s8, v2, 0
	s_clause 0x3
	s_load_dwordx2 s[20:21], s[4:5], 0x30
	s_load_dwordx2 s[24:25], s[4:5], 0x48
	s_load_dword s6, s[4:5], 0x0
	s_load_dwordx2 s[2:3], s[4:5], 0x20
	v_lshlrev_b32_e32 v9, 2, v0
	s_mul_i32 s26, s8, s13
	v_mov_b32_e32 v1, v4
	v_mov_b32_e32 v4, v6
	v_mad_u64_u32 v[6:7], null, s9, v0, v[1:2]
	v_mad_u64_u32 v[7:8], null, s9, v2, v[4:5]
	v_lshlrev_b32_e32 v1, 2, v2
	v_mov_b32_e32 v4, v6
	v_mov_b32_e32 v6, v7
	s_waitcnt lgkmcnt(0)
	s_cmp_eq_u32 s6, 0
	v_lshlrev_b64 v[3:4], 2, v[3:4]
	v_lshlrev_b64 v[5:6], 2, v[5:6]
	v_add_co_u32 v3, vcc_lo, s2, v3
	v_add_co_ci_u32_e64 v4, null, s3, v4, vcc_lo
	v_add_co_u32 v5, vcc_lo, s2, v5
	v_add_co_ci_u32_e64 v6, null, s3, v6, vcc_lo
	;; [unrolled: 2-line block ×3, first 2 shown]
	v_add_co_u32 v10, vcc_lo, v5, v9
	s_mul_hi_u32 s2, s8, s12
	v_add_co_ci_u32_e64 v11, null, 0, v6, vcc_lo
	s_cselect_b32 vcc_lo, -1, 0
	s_add_i32 s2, s2, s26
	s_mul_i32 s3, s9, s12
	s_lshl_b64 s[18:19], s[18:19], 2
	s_add_i32 s3, s2, s3
	s_mul_i32 s2, s8, s12
	s_lshl_b64 s[0:1], s[0:1], 3
	v_mad_u64_u32 v[3:4], null, v2, s23, s[2:3]
	v_mov_b32_e32 v1, v4
	v_mul_lo_u32 v4, s9, v3
	v_mad_u64_u32 v[5:6], null, s8, v3, 0
	v_mad_u64_u32 v[1:2], null, v2, s7, v[1:2]
	s_load_dwordx2 s[6:7], s[4:5], 0x58
	s_lshl_b64 s[4:5], s[8:9], 2
	v_mul_lo_u32 v3, s8, v1
	v_add_co_u32 v1, s2, v0, s22
	v_lshlrev_b32_e32 v0, 3, v0
	v_add_co_ci_u32_e64 v2, null, 0, 0, s2
	s_lshl_b64 s[2:3], s[16:17], 2
	s_lshl_b64 s[16:17], s[10:11], 3
	v_add3_u32 v6, v6, v3, v4
	v_cndmask_b32_e32 v3, v7, v10, vcc_lo
	v_cndmask_b32_e32 v4, v8, v11, vcc_lo
	v_lshlrev_b64 v[7:8], 2, v[5:6]
	v_lshlrev_b64 v[5:6], 3, v[5:6]
	v_add_co_u32 v3, vcc_lo, v3, s18
	v_add_co_ci_u32_e64 v4, null, s19, v4, vcc_lo
	v_add_co_u32 v7, vcc_lo, v7, v9
	v_add_co_ci_u32_e64 v8, null, 0, v8, vcc_lo
	;; [unrolled: 2-line block ×4, first 2 shown]
	s_waitcnt lgkmcnt(0)
	v_add_co_u32 v7, vcc_lo, s6, v0
	v_add_co_ci_u32_e64 v8, null, s7, v9, vcc_lo
	s_lshl_b64 s[6:7], s[8:9], 3
	s_sub_u32 s0, s0, s16
	s_subb_u32 s1, s1, s17
	s_add_u32 s16, s20, s0
	s_addc_u32 s17, s21, s1
	s_inst_prefetch 0x1
	.p2align	6
.LBB48_5:                               ; =>This Inner Loop Header: Depth=1
	global_load_dword v0, v[3:4], off
	s_load_dwordx2 s[0:1], s[16:17], 0x0
	v_add_co_u32 v3, vcc_lo, v3, s2
	v_add_co_ci_u32_e64 v4, null, s3, v4, vcc_lo
	s_waitcnt lgkmcnt(0)
	s_sub_u32 s0, s0, s10
	s_subb_u32 s1, s1, 0
	v_mad_u64_u32 v[9:10], null, s0, s8, v[1:2]
	s_mul_i32 s0, s0, s9
	s_mul_i32 s1, s1, s8
	s_add_u32 s12, s12, 1
	s_addc_u32 s13, s13, 0
	s_add_u32 s16, s16, 8
	v_cmp_lt_i64_e64 s11, s[12:13], s[14:15]
	v_add3_u32 v10, s0, s1, v10
	s_addc_u32 s17, s17, 0
	s_and_b32 vcc_lo, exec_lo, s11
	global_store_dwordx2 v[7:8], v[9:10], off
	v_add_co_u32 v7, s0, v7, s6
	v_add_co_ci_u32_e64 v8, null, s7, v8, s0
	s_waitcnt vmcnt(0)
	global_store_dword v[5:6], v0, off
	v_add_co_u32 v5, s0, v5, s4
	v_add_co_ci_u32_e64 v6, null, s5, v6, s0
	s_cbranch_vccnz .LBB48_5
.LBB48_6:
	s_inst_prefetch 0x2
	s_endpgm
	.section	.rodata,"a",@progbits
	.p2align	6, 0x0
	.amdhsa_kernel _ZN9rocsparseL33bsr2csr_block_per_row_8_32_kernelILj1024ELj32EillEEv20rocsparse_direction_T3_S2_21rocsparse_index_base_PKT1_PKT2_PKS2_S2_S3_PS4_PS7_PS2_
		.amdhsa_group_segment_fixed_size 0
		.amdhsa_private_segment_fixed_size 0
		.amdhsa_kernarg_size 96
		.amdhsa_user_sgpr_count 6
		.amdhsa_user_sgpr_private_segment_buffer 1
		.amdhsa_user_sgpr_dispatch_ptr 0
		.amdhsa_user_sgpr_queue_ptr 0
		.amdhsa_user_sgpr_kernarg_segment_ptr 1
		.amdhsa_user_sgpr_dispatch_id 0
		.amdhsa_user_sgpr_flat_scratch_init 0
		.amdhsa_user_sgpr_private_segment_size 0
		.amdhsa_wavefront_size32 1
		.amdhsa_uses_dynamic_stack 0
		.amdhsa_system_sgpr_private_segment_wavefront_offset 0
		.amdhsa_system_sgpr_workgroup_id_x 1
		.amdhsa_system_sgpr_workgroup_id_y 0
		.amdhsa_system_sgpr_workgroup_id_z 0
		.amdhsa_system_sgpr_workgroup_info 0
		.amdhsa_system_vgpr_workitem_id 0
		.amdhsa_next_free_vgpr 12
		.amdhsa_next_free_sgpr 27
		.amdhsa_reserve_vcc 1
		.amdhsa_reserve_flat_scratch 0
		.amdhsa_float_round_mode_32 0
		.amdhsa_float_round_mode_16_64 0
		.amdhsa_float_denorm_mode_32 3
		.amdhsa_float_denorm_mode_16_64 3
		.amdhsa_dx10_clamp 1
		.amdhsa_ieee_mode 1
		.amdhsa_fp16_overflow 0
		.amdhsa_workgroup_processor_mode 1
		.amdhsa_memory_ordered 1
		.amdhsa_forward_progress 1
		.amdhsa_shared_vgpr_count 0
		.amdhsa_exception_fp_ieee_invalid_op 0
		.amdhsa_exception_fp_denorm_src 0
		.amdhsa_exception_fp_ieee_div_zero 0
		.amdhsa_exception_fp_ieee_overflow 0
		.amdhsa_exception_fp_ieee_underflow 0
		.amdhsa_exception_fp_ieee_inexact 0
		.amdhsa_exception_int_div_zero 0
	.end_amdhsa_kernel
	.section	.text._ZN9rocsparseL33bsr2csr_block_per_row_8_32_kernelILj1024ELj32EillEEv20rocsparse_direction_T3_S2_21rocsparse_index_base_PKT1_PKT2_PKS2_S2_S3_PS4_PS7_PS2_,"axG",@progbits,_ZN9rocsparseL33bsr2csr_block_per_row_8_32_kernelILj1024ELj32EillEEv20rocsparse_direction_T3_S2_21rocsparse_index_base_PKT1_PKT2_PKS2_S2_S3_PS4_PS7_PS2_,comdat
.Lfunc_end48:
	.size	_ZN9rocsparseL33bsr2csr_block_per_row_8_32_kernelILj1024ELj32EillEEv20rocsparse_direction_T3_S2_21rocsparse_index_base_PKT1_PKT2_PKS2_S2_S3_PS4_PS7_PS2_, .Lfunc_end48-_ZN9rocsparseL33bsr2csr_block_per_row_8_32_kernelILj1024ELj32EillEEv20rocsparse_direction_T3_S2_21rocsparse_index_base_PKT1_PKT2_PKS2_S2_S3_PS4_PS7_PS2_
                                        ; -- End function
	.set _ZN9rocsparseL33bsr2csr_block_per_row_8_32_kernelILj1024ELj32EillEEv20rocsparse_direction_T3_S2_21rocsparse_index_base_PKT1_PKT2_PKS2_S2_S3_PS4_PS7_PS2_.num_vgpr, 12
	.set _ZN9rocsparseL33bsr2csr_block_per_row_8_32_kernelILj1024ELj32EillEEv20rocsparse_direction_T3_S2_21rocsparse_index_base_PKT1_PKT2_PKS2_S2_S3_PS4_PS7_PS2_.num_agpr, 0
	.set _ZN9rocsparseL33bsr2csr_block_per_row_8_32_kernelILj1024ELj32EillEEv20rocsparse_direction_T3_S2_21rocsparse_index_base_PKT1_PKT2_PKS2_S2_S3_PS4_PS7_PS2_.numbered_sgpr, 27
	.set _ZN9rocsparseL33bsr2csr_block_per_row_8_32_kernelILj1024ELj32EillEEv20rocsparse_direction_T3_S2_21rocsparse_index_base_PKT1_PKT2_PKS2_S2_S3_PS4_PS7_PS2_.num_named_barrier, 0
	.set _ZN9rocsparseL33bsr2csr_block_per_row_8_32_kernelILj1024ELj32EillEEv20rocsparse_direction_T3_S2_21rocsparse_index_base_PKT1_PKT2_PKS2_S2_S3_PS4_PS7_PS2_.private_seg_size, 0
	.set _ZN9rocsparseL33bsr2csr_block_per_row_8_32_kernelILj1024ELj32EillEEv20rocsparse_direction_T3_S2_21rocsparse_index_base_PKT1_PKT2_PKS2_S2_S3_PS4_PS7_PS2_.uses_vcc, 1
	.set _ZN9rocsparseL33bsr2csr_block_per_row_8_32_kernelILj1024ELj32EillEEv20rocsparse_direction_T3_S2_21rocsparse_index_base_PKT1_PKT2_PKS2_S2_S3_PS4_PS7_PS2_.uses_flat_scratch, 0
	.set _ZN9rocsparseL33bsr2csr_block_per_row_8_32_kernelILj1024ELj32EillEEv20rocsparse_direction_T3_S2_21rocsparse_index_base_PKT1_PKT2_PKS2_S2_S3_PS4_PS7_PS2_.has_dyn_sized_stack, 0
	.set _ZN9rocsparseL33bsr2csr_block_per_row_8_32_kernelILj1024ELj32EillEEv20rocsparse_direction_T3_S2_21rocsparse_index_base_PKT1_PKT2_PKS2_S2_S3_PS4_PS7_PS2_.has_recursion, 0
	.set _ZN9rocsparseL33bsr2csr_block_per_row_8_32_kernelILj1024ELj32EillEEv20rocsparse_direction_T3_S2_21rocsparse_index_base_PKT1_PKT2_PKS2_S2_S3_PS4_PS7_PS2_.has_indirect_call, 0
	.section	.AMDGPU.csdata,"",@progbits
; Kernel info:
; codeLenInByte = 992
; TotalNumSgprs: 29
; NumVgprs: 12
; ScratchSize: 0
; MemoryBound: 0
; FloatMode: 240
; IeeeMode: 1
; LDSByteSize: 0 bytes/workgroup (compile time only)
; SGPRBlocks: 0
; VGPRBlocks: 1
; NumSGPRsForWavesPerEU: 29
; NumVGPRsForWavesPerEU: 12
; Occupancy: 16
; WaveLimiterHint : 0
; COMPUTE_PGM_RSRC2:SCRATCH_EN: 0
; COMPUTE_PGM_RSRC2:USER_SGPR: 6
; COMPUTE_PGM_RSRC2:TRAP_HANDLER: 0
; COMPUTE_PGM_RSRC2:TGID_X_EN: 1
; COMPUTE_PGM_RSRC2:TGID_Y_EN: 0
; COMPUTE_PGM_RSRC2:TGID_Z_EN: 0
; COMPUTE_PGM_RSRC2:TIDIG_COMP_CNT: 0
	.section	.text._ZN9rocsparseL35bsr2csr_block_per_row_33_256_kernelILj1024ELj64ELj32EillEEv20rocsparse_direction_T4_S2_21rocsparse_index_base_PKT2_PKT3_PKS2_S2_S3_PS4_PS7_PS2_,"axG",@progbits,_ZN9rocsparseL35bsr2csr_block_per_row_33_256_kernelILj1024ELj64ELj32EillEEv20rocsparse_direction_T4_S2_21rocsparse_index_base_PKT2_PKT3_PKS2_S2_S3_PS4_PS7_PS2_,comdat
	.globl	_ZN9rocsparseL35bsr2csr_block_per_row_33_256_kernelILj1024ELj64ELj32EillEEv20rocsparse_direction_T4_S2_21rocsparse_index_base_PKT2_PKT3_PKS2_S2_S3_PS4_PS7_PS2_ ; -- Begin function _ZN9rocsparseL35bsr2csr_block_per_row_33_256_kernelILj1024ELj64ELj32EillEEv20rocsparse_direction_T4_S2_21rocsparse_index_base_PKT2_PKT3_PKS2_S2_S3_PS4_PS7_PS2_
	.p2align	8
	.type	_ZN9rocsparseL35bsr2csr_block_per_row_33_256_kernelILj1024ELj64ELj32EillEEv20rocsparse_direction_T4_S2_21rocsparse_index_base_PKT2_PKT3_PKS2_S2_S3_PS4_PS7_PS2_,@function
_ZN9rocsparseL35bsr2csr_block_per_row_33_256_kernelILj1024ELj64ELj32EillEEv20rocsparse_direction_T4_S2_21rocsparse_index_base_PKT2_PKT3_PKS2_S2_S3_PS4_PS7_PS2_: ; @_ZN9rocsparseL35bsr2csr_block_per_row_33_256_kernelILj1024ELj64ELj32EillEEv20rocsparse_direction_T4_S2_21rocsparse_index_base_PKT2_PKT3_PKS2_S2_S3_PS4_PS7_PS2_
; %bb.0:
	s_load_dwordx2 s[0:1], s[4:5], 0x28
	s_mov_b32 s13, 0
	s_clause 0x1
	s_load_dword s14, s[4:5], 0x40
	s_load_dwordx2 s[2:3], s[4:5], 0x50
	s_mov_b32 s7, s13
	v_or_b32_e32 v1, s6, v0
	s_lshl_b64 s[8:9], s[6:7], 3
	s_waitcnt lgkmcnt(0)
	s_add_u32 s0, s0, s8
	s_addc_u32 s1, s1, s9
	s_load_dwordx4 s[8:11], s[0:1], 0x0
	s_mov_b32 s0, exec_lo
	v_cmpx_eq_u32_e32 0, v1
	s_cbranch_execz .LBB49_2
; %bb.1:
	s_mov_b32 s15, s13
	v_mov_b32_e32 v1, s14
	v_mov_b32_e32 v3, 0
	;; [unrolled: 1-line block ×3, first 2 shown]
	global_store_dwordx2 v3, v[1:2], s[2:3]
.LBB49_2:
	s_or_b32 exec_lo, exec_lo, s0
	s_clause 0x1
	s_load_dword s12, s[4:5], 0x18
	s_load_dwordx2 s[16:17], s[4:5], 0x38
	v_mov_b32_e32 v6, 0
	v_lshrrev_b32_e32 v5, 5, v0
	v_lshlrev_b32_e32 v3, 3, v5
	s_waitcnt lgkmcnt(0)
	s_sub_u32 s18, s8, s12
	s_subb_u32 s19, s9, 0
	s_mul_hi_u32 s0, s16, s18
	s_mul_i32 s20, s16, s19
	s_mul_i32 s1, s17, s6
	s_mul_hi_u32 s23, s16, s6
	s_mul_i32 s22, s16, s6
	s_sub_u32 s6, s10, s12
	s_mul_i32 s15, s17, s18
	s_mul_i32 s24, s16, s18
	s_subb_u32 s7, s11, 0
	s_add_i32 s0, s0, s20
	s_mul_i32 s21, s24, s17
	s_mul_hi_u32 s20, s24, s16
	s_add_i32 s25, s0, s15
	s_add_i32 s0, s20, s21
	s_mul_i32 s15, s25, s16
	s_mul_i32 s20, s24, s16
	s_add_i32 s21, s0, s15
	s_sub_u32 s0, s6, s18
	s_subb_u32 s30, s7, s19
	s_mul_i32 s15, s0, s17
	s_mul_hi_u32 s26, s0, s16
	s_mul_i32 s27, s30, s16
	s_add_i32 s15, s26, s15
	s_mul_i32 s26, s0, s16
	s_add_i32 s15, s15, s27
	s_add_u32 s20, s20, s14
	s_addc_u32 s21, s21, 0
	s_add_u32 s20, s20, s26
	s_addc_u32 s21, s21, s15
	s_add_i32 s23, s23, s1
	v_cmp_gt_i64_e64 s1, s[16:17], v[5:6]
	s_lshl_b64 s[22:23], s[22:23], 3
	s_add_u32 s22, s2, s22
	s_addc_u32 s23, s3, s23
	s_and_saveexec_b32 s2, s1
	s_cbranch_execz .LBB49_4
; %bb.3:
	v_mad_u64_u32 v[1:2], null, v5, s26, s[20:21]
	v_mad_u64_u32 v[7:8], null, v5, s15, v[2:3]
	v_mov_b32_e32 v2, v7
	global_store_dwordx2 v3, v[1:2], s[22:23] offset:8
.LBB49_4:
	s_or_b32 exec_lo, exec_lo, s2
	v_or_b32_e32 v1, 32, v5
	v_mov_b32_e32 v2, v6
	v_cmp_gt_i64_e64 s2, s[16:17], v[1:2]
	s_and_saveexec_b32 s3, s2
	s_cbranch_execz .LBB49_6
; %bb.5:
	v_mad_u64_u32 v[6:7], null, v1, s26, s[20:21]
	v_mov_b32_e32 v2, v7
	v_mad_u64_u32 v[1:2], null, v1, s15, v[2:3]
	v_mov_b32_e32 v7, v1
	global_store_dwordx2 v3, v[6:7], s[22:23] offset:264
.LBB49_6:
	s_or_b32 exec_lo, exec_lo, s3
	v_cmp_lt_i64_e64 s3, s[8:9], s[10:11]
	s_and_b32 vcc_lo, exec_lo, s3
	s_cbranch_vccz .LBB49_17
; %bb.7:
	s_clause 0x4
	s_load_dwordx2 s[28:29], s[4:5], 0x30
	s_load_dwordx2 s[22:23], s[4:5], 0x48
	s_load_dword s3, s[4:5], 0x0
	s_load_dwordx2 s[20:21], s[4:5], 0x20
	s_load_dwordx2 s[26:27], s[4:5], 0x58
	v_lshlrev_b32_e32 v9, 2, v5
	v_mad_u64_u32 v[11:12], null, v5, s0, s[24:25]
	v_and_b32_e32 v0, 31, v0
	v_mov_b32_e32 v1, 0
	s_mul_i32 s5, s16, s17
	s_mul_hi_u32 s31, s16, s16
	s_mul_i32 s4, s16, s16
	v_or_b32_e32 v2, 32, v0
	v_mov_b32_e32 v3, v1
	v_lshlrev_b32_e32 v13, 2, v0
	v_mov_b32_e32 v14, v1
	v_cmp_gt_i64_e32 vcc_lo, s[16:17], v[0:1]
	v_mov_b32_e32 v10, v1
	s_waitcnt lgkmcnt(0)
	s_cmp_eq_u32 s3, 0
	s_cselect_b32 s0, -1, 0
	s_lshl_b64 s[34:35], s[24:25], 2
	s_add_i32 s25, s31, s5
	v_add_co_u32 v6, s3, s34, v9
	v_add_co_ci_u32_e64 v7, null, s35, 0, s3
	s_add_i32 s5, s25, s5
	v_add_co_u32 v4, s3, 0x80, v6
	v_add_co_ci_u32_e64 v8, null, 0, v7, s3
	v_cmp_gt_i64_e64 s3, s[16:17], v[2:3]
	s_and_b32 s15, s1, vcc_lo
	s_and_b32 s24, s2, vcc_lo
	v_mul_lo_u32 v1, s16, v8
	v_mul_lo_u32 v8, s17, v4
	v_mad_u64_u32 v[3:4], null, s16, v4, v[13:14]
	s_and_b32 s1, s1, s3
	s_and_b32 s25, s2, s3
	s_lshl_b64 s[2:3], s[4:5], 2
	v_add_co_u32 v21, s4, s34, v13
	v_add_co_ci_u32_e64 v18, null, s35, 0, s4
	v_add3_u32 v4, v8, v4, v1
	v_mov_b32_e32 v1, v12
	v_mul_lo_u32 v17, s16, v7
	v_add_co_u32 v7, vcc_lo, 0x80, v21
	s_lshl_b64 s[4:5], s[8:9], 3
	v_mad_u64_u32 v[15:16], null, v5, s30, v[1:2]
	s_lshl_b64 s[30:31], s[12:13], 3
	v_add_co_ci_u32_e64 v8, null, 0, v18, vcc_lo
	v_mul_lo_u32 v16, s16, v18
	v_mul_lo_u32 v12, s17, v11
	v_mad_u64_u32 v[18:19], null, s16, v11, 0
	v_mul_lo_u32 v22, s16, v15
	s_sub_u32 s4, s4, s30
	s_subb_u32 s5, s5, s31
	s_add_u32 s4, s28, s4
	s_addc_u32 s5, s29, s5
	s_lshl_b64 s[10:11], s[10:11], 5
	s_lshl_b64 s[8:9], s[8:9], 5
	v_add_co_u32 v11, vcc_lo, v11, s10
	v_add3_u32 v19, v19, v22, v12
	v_add_co_ci_u32_e64 v12, null, s11, v15, vcc_lo
	v_mul_lo_u32 v20, s17, v6
	v_mad_u64_u32 v[5:6], null, s16, v6, v[13:14]
	v_sub_co_u32 v15, vcc_lo, v11, s8
	v_subrev_co_ci_u32_e64 v22, null, s9, v12, vcc_lo
	v_mul_lo_u32 v1, s16, v8
	v_mul_lo_u32 v14, s17, v7
	v_mad_u64_u32 v[7:8], null, s16, v7, v[9:10]
	v_mul_lo_u32 v23, s17, v21
	v_mad_u64_u32 v[9:10], null, s16, v21, v[9:10]
	v_add3_u32 v6, v20, v6, v17
	v_mul_lo_u32 v17, s17, v15
	v_mul_lo_u32 v22, s16, v22
	v_mad_u64_u32 v[20:21], null, s16, v15, 0
	v_lshlrev_b64 v[11:12], 3, v[18:19]
	v_add3_u32 v8, v14, v8, v1
	v_lshlrev_b32_e32 v14, 3, v0
	v_add3_u32 v10, v23, v10, v16
	s_lshl_b64 s[10:11], s[16:17], 2
	v_add3_u32 v21, v21, v22, v17
	v_lshlrev_b64 v[22:23], 2, v[18:19]
	v_add_co_u32 v1, vcc_lo, 0x100, v11
	v_add_co_u32 v16, s8, s26, v14
	v_add_co_ci_u32_e64 v15, null, 0, v12, vcc_lo
	v_add_co_ci_u32_e64 v17, null, s27, 0, s8
	v_lshlrev_b64 v[11:12], 2, v[20:21]
	v_add_co_u32 v18, s8, s22, v13
	v_lshlrev_b64 v[13:14], 3, v[20:21]
	v_add_co_u32 v20, vcc_lo, 0x80, v22
	v_add_co_ci_u32_e64 v19, null, s23, 0, s8
	v_add_co_ci_u32_e64 v21, null, 0, v23, vcc_lo
	s_lshl_b64 s[8:9], s[16:17], 3
	s_branch .LBB49_9
.LBB49_8:                               ;   in Loop: Header=BB49_9 Depth=1
	s_or_b32 exec_lo, exec_lo, s23
	s_add_u32 s18, s18, 1
	s_addc_u32 s19, s19, 0
	v_add_co_u32 v16, vcc_lo, v16, s8
	v_cmp_ge_i64_e64 s13, s[18:19], s[6:7]
	v_add_co_ci_u32_e64 v17, null, s9, v17, vcc_lo
	v_add_co_u32 v18, vcc_lo, v18, s10
	s_add_u32 s20, s20, s2
	v_add_co_ci_u32_e64 v19, null, s11, v19, vcc_lo
	s_addc_u32 s21, s21, s3
	s_add_u32 s4, s4, 8
	s_addc_u32 s5, s5, 0
	s_and_b32 vcc_lo, exec_lo, s13
	s_cbranch_vccnz .LBB49_17
.LBB49_9:                               ; =>This Inner Loop Header: Depth=1
	s_load_dwordx2 s[22:23], s[4:5], 0x0
	s_waitcnt lgkmcnt(0)
	s_sub_u32 s13, s22, s12
	s_subb_u32 s23, s23, 0
	s_mul_i32 s22, s13, s17
	s_mul_hi_u32 s26, s13, s16
	s_mul_i32 s23, s23, s16
	s_add_i32 s22, s26, s22
	s_mul_i32 s13, s13, s16
	s_add_i32 s22, s22, s23
	s_add_u32 s13, s13, s14
	s_addc_u32 s22, s22, 0
	s_and_saveexec_b32 s23, s15
	s_cbranch_execnz .LBB49_13
; %bb.10:                               ;   in Loop: Header=BB49_9 Depth=1
	s_or_b32 exec_lo, exec_lo, s23
	s_and_saveexec_b32 s23, s1
	s_cbranch_execnz .LBB49_14
.LBB49_11:                              ;   in Loop: Header=BB49_9 Depth=1
	s_or_b32 exec_lo, exec_lo, s23
	s_and_saveexec_b32 s23, s24
	s_cbranch_execnz .LBB49_15
.LBB49_12:                              ;   in Loop: Header=BB49_9 Depth=1
	s_or_b32 exec_lo, exec_lo, s23
	s_and_saveexec_b32 s23, s25
	s_cbranch_execz .LBB49_8
	s_branch .LBB49_16
.LBB49_13:                              ;   in Loop: Header=BB49_9 Depth=1
	v_add_co_u32 v22, vcc_lo, s20, v5
	v_add_co_ci_u32_e64 v23, null, s21, v6, vcc_lo
	v_add_co_u32 v24, vcc_lo, s20, v9
	v_add_co_ci_u32_e64 v25, null, s21, v10, vcc_lo
	v_cndmask_b32_e64 v22, v24, v22, s0
	v_add_co_u32 v24, vcc_lo, v16, v1
	v_cndmask_b32_e64 v23, v25, v23, s0
	v_add_co_ci_u32_e64 v25, null, v17, v15, vcc_lo
	v_add_co_u32 v26, vcc_lo, v18, v20
	global_load_dword v28, v[22:23], off
	v_add_co_u32 v22, s26, s13, v0
	v_add_co_ci_u32_e64 v23, null, s22, 0, s26
	v_add_co_ci_u32_e64 v27, null, v19, v21, vcc_lo
	global_store_dwordx2 v[24:25], v[22:23], off offset:-256
	s_waitcnt vmcnt(0)
	global_store_dword v[26:27], v28, off offset:-128
	s_or_b32 exec_lo, exec_lo, s23
	s_and_saveexec_b32 s23, s1
	s_cbranch_execz .LBB49_11
.LBB49_14:                              ;   in Loop: Header=BB49_9 Depth=1
	v_add_co_u32 v22, vcc_lo, s20, v5
	v_add_co_ci_u32_e64 v23, null, s21, v6, vcc_lo
	v_add_co_u32 v22, vcc_lo, 0x80, v22
	v_add_co_ci_u32_e64 v23, null, 0, v23, vcc_lo
	;; [unrolled: 2-line block ×3, first 2 shown]
	v_cndmask_b32_e64 v22, v24, v22, s0
	v_add_co_u32 v24, vcc_lo, v16, v1
	v_cndmask_b32_e64 v23, v25, v23, s0
	v_add_co_ci_u32_e64 v25, null, v17, v15, vcc_lo
	v_add_co_u32 v26, vcc_lo, v18, v20
	global_load_dword v28, v[22:23], off
	v_add_co_u32 v22, s26, s13, v2
	v_add_co_ci_u32_e64 v23, null, s22, 0, s26
	v_add_co_ci_u32_e64 v27, null, v19, v21, vcc_lo
	global_store_dwordx2 v[24:25], v[22:23], off
	s_waitcnt vmcnt(0)
	global_store_dword v[26:27], v28, off
	s_or_b32 exec_lo, exec_lo, s23
	s_and_saveexec_b32 s23, s24
	s_cbranch_execz .LBB49_12
.LBB49_15:                              ;   in Loop: Header=BB49_9 Depth=1
	v_add_co_u32 v22, vcc_lo, s20, v9
	v_add_co_ci_u32_e64 v23, null, s21, v10, vcc_lo
	v_add_co_u32 v24, vcc_lo, s20, v3
	v_add_co_ci_u32_e64 v25, null, s21, v4, vcc_lo
	;; [unrolled: 2-line block ×3, first 2 shown]
	v_cndmask_b32_e64 v22, v22, v24, s0
	v_add_co_u32 v24, vcc_lo, v16, v13
	v_cndmask_b32_e64 v23, v23, v25, s0
	v_add_co_ci_u32_e64 v25, null, v17, v14, vcc_lo
	v_add_co_u32 v26, vcc_lo, v18, v11
	global_load_dword v28, v[22:23], off
	v_add_co_u32 v22, s26, s13, v0
	v_add_co_ci_u32_e64 v23, null, s22, 0, s26
	v_add_co_ci_u32_e64 v27, null, v19, v12, vcc_lo
	global_store_dwordx2 v[24:25], v[22:23], off
	s_waitcnt vmcnt(0)
	global_store_dword v[26:27], v28, off
	s_or_b32 exec_lo, exec_lo, s23
	s_and_saveexec_b32 s23, s25
	s_cbranch_execz .LBB49_8
.LBB49_16:                              ;   in Loop: Header=BB49_9 Depth=1
	v_add_co_u32 v22, vcc_lo, s20, v3
	v_add_co_ci_u32_e64 v23, null, s21, v4, vcc_lo
	v_add_co_u32 v24, vcc_lo, s20, v7
	v_add_co_ci_u32_e64 v25, null, s21, v8, vcc_lo
	v_cndmask_b32_e64 v22, v24, v22, s0
	v_add_co_u32 v24, vcc_lo, v16, v13
	v_cndmask_b32_e64 v23, v25, v23, s0
	v_add_co_ci_u32_e64 v25, null, v17, v14, vcc_lo
	v_add_co_u32 v26, vcc_lo, v18, v11
	global_load_dword v28, v[22:23], off offset:128
	v_add_co_u32 v22, s13, s13, v2
	v_add_co_ci_u32_e64 v23, null, s22, 0, s13
	v_add_co_ci_u32_e64 v27, null, v19, v12, vcc_lo
	global_store_dwordx2 v[24:25], v[22:23], off offset:256
	s_waitcnt vmcnt(0)
	global_store_dword v[26:27], v28, off offset:128
	s_branch .LBB49_8
.LBB49_17:
	s_endpgm
	.section	.rodata,"a",@progbits
	.p2align	6, 0x0
	.amdhsa_kernel _ZN9rocsparseL35bsr2csr_block_per_row_33_256_kernelILj1024ELj64ELj32EillEEv20rocsparse_direction_T4_S2_21rocsparse_index_base_PKT2_PKT3_PKS2_S2_S3_PS4_PS7_PS2_
		.amdhsa_group_segment_fixed_size 0
		.amdhsa_private_segment_fixed_size 0
		.amdhsa_kernarg_size 96
		.amdhsa_user_sgpr_count 6
		.amdhsa_user_sgpr_private_segment_buffer 1
		.amdhsa_user_sgpr_dispatch_ptr 0
		.amdhsa_user_sgpr_queue_ptr 0
		.amdhsa_user_sgpr_kernarg_segment_ptr 1
		.amdhsa_user_sgpr_dispatch_id 0
		.amdhsa_user_sgpr_flat_scratch_init 0
		.amdhsa_user_sgpr_private_segment_size 0
		.amdhsa_wavefront_size32 1
		.amdhsa_uses_dynamic_stack 0
		.amdhsa_system_sgpr_private_segment_wavefront_offset 0
		.amdhsa_system_sgpr_workgroup_id_x 1
		.amdhsa_system_sgpr_workgroup_id_y 0
		.amdhsa_system_sgpr_workgroup_id_z 0
		.amdhsa_system_sgpr_workgroup_info 0
		.amdhsa_system_vgpr_workitem_id 0
		.amdhsa_next_free_vgpr 29
		.amdhsa_next_free_sgpr 36
		.amdhsa_reserve_vcc 1
		.amdhsa_reserve_flat_scratch 0
		.amdhsa_float_round_mode_32 0
		.amdhsa_float_round_mode_16_64 0
		.amdhsa_float_denorm_mode_32 3
		.amdhsa_float_denorm_mode_16_64 3
		.amdhsa_dx10_clamp 1
		.amdhsa_ieee_mode 1
		.amdhsa_fp16_overflow 0
		.amdhsa_workgroup_processor_mode 1
		.amdhsa_memory_ordered 1
		.amdhsa_forward_progress 1
		.amdhsa_shared_vgpr_count 0
		.amdhsa_exception_fp_ieee_invalid_op 0
		.amdhsa_exception_fp_denorm_src 0
		.amdhsa_exception_fp_ieee_div_zero 0
		.amdhsa_exception_fp_ieee_overflow 0
		.amdhsa_exception_fp_ieee_underflow 0
		.amdhsa_exception_fp_ieee_inexact 0
		.amdhsa_exception_int_div_zero 0
	.end_amdhsa_kernel
	.section	.text._ZN9rocsparseL35bsr2csr_block_per_row_33_256_kernelILj1024ELj64ELj32EillEEv20rocsparse_direction_T4_S2_21rocsparse_index_base_PKT2_PKT3_PKS2_S2_S3_PS4_PS7_PS2_,"axG",@progbits,_ZN9rocsparseL35bsr2csr_block_per_row_33_256_kernelILj1024ELj64ELj32EillEEv20rocsparse_direction_T4_S2_21rocsparse_index_base_PKT2_PKT3_PKS2_S2_S3_PS4_PS7_PS2_,comdat
.Lfunc_end49:
	.size	_ZN9rocsparseL35bsr2csr_block_per_row_33_256_kernelILj1024ELj64ELj32EillEEv20rocsparse_direction_T4_S2_21rocsparse_index_base_PKT2_PKT3_PKS2_S2_S3_PS4_PS7_PS2_, .Lfunc_end49-_ZN9rocsparseL35bsr2csr_block_per_row_33_256_kernelILj1024ELj64ELj32EillEEv20rocsparse_direction_T4_S2_21rocsparse_index_base_PKT2_PKT3_PKS2_S2_S3_PS4_PS7_PS2_
                                        ; -- End function
	.set _ZN9rocsparseL35bsr2csr_block_per_row_33_256_kernelILj1024ELj64ELj32EillEEv20rocsparse_direction_T4_S2_21rocsparse_index_base_PKT2_PKT3_PKS2_S2_S3_PS4_PS7_PS2_.num_vgpr, 29
	.set _ZN9rocsparseL35bsr2csr_block_per_row_33_256_kernelILj1024ELj64ELj32EillEEv20rocsparse_direction_T4_S2_21rocsparse_index_base_PKT2_PKT3_PKS2_S2_S3_PS4_PS7_PS2_.num_agpr, 0
	.set _ZN9rocsparseL35bsr2csr_block_per_row_33_256_kernelILj1024ELj64ELj32EillEEv20rocsparse_direction_T4_S2_21rocsparse_index_base_PKT2_PKT3_PKS2_S2_S3_PS4_PS7_PS2_.numbered_sgpr, 36
	.set _ZN9rocsparseL35bsr2csr_block_per_row_33_256_kernelILj1024ELj64ELj32EillEEv20rocsparse_direction_T4_S2_21rocsparse_index_base_PKT2_PKT3_PKS2_S2_S3_PS4_PS7_PS2_.num_named_barrier, 0
	.set _ZN9rocsparseL35bsr2csr_block_per_row_33_256_kernelILj1024ELj64ELj32EillEEv20rocsparse_direction_T4_S2_21rocsparse_index_base_PKT2_PKT3_PKS2_S2_S3_PS4_PS7_PS2_.private_seg_size, 0
	.set _ZN9rocsparseL35bsr2csr_block_per_row_33_256_kernelILj1024ELj64ELj32EillEEv20rocsparse_direction_T4_S2_21rocsparse_index_base_PKT2_PKT3_PKS2_S2_S3_PS4_PS7_PS2_.uses_vcc, 1
	.set _ZN9rocsparseL35bsr2csr_block_per_row_33_256_kernelILj1024ELj64ELj32EillEEv20rocsparse_direction_T4_S2_21rocsparse_index_base_PKT2_PKT3_PKS2_S2_S3_PS4_PS7_PS2_.uses_flat_scratch, 0
	.set _ZN9rocsparseL35bsr2csr_block_per_row_33_256_kernelILj1024ELj64ELj32EillEEv20rocsparse_direction_T4_S2_21rocsparse_index_base_PKT2_PKT3_PKS2_S2_S3_PS4_PS7_PS2_.has_dyn_sized_stack, 0
	.set _ZN9rocsparseL35bsr2csr_block_per_row_33_256_kernelILj1024ELj64ELj32EillEEv20rocsparse_direction_T4_S2_21rocsparse_index_base_PKT2_PKT3_PKS2_S2_S3_PS4_PS7_PS2_.has_recursion, 0
	.set _ZN9rocsparseL35bsr2csr_block_per_row_33_256_kernelILj1024ELj64ELj32EillEEv20rocsparse_direction_T4_S2_21rocsparse_index_base_PKT2_PKT3_PKS2_S2_S3_PS4_PS7_PS2_.has_indirect_call, 0
	.section	.AMDGPU.csdata,"",@progbits
; Kernel info:
; codeLenInByte = 1772
; TotalNumSgprs: 38
; NumVgprs: 29
; ScratchSize: 0
; MemoryBound: 0
; FloatMode: 240
; IeeeMode: 1
; LDSByteSize: 0 bytes/workgroup (compile time only)
; SGPRBlocks: 0
; VGPRBlocks: 3
; NumSGPRsForWavesPerEU: 38
; NumVGPRsForWavesPerEU: 29
; Occupancy: 16
; WaveLimiterHint : 1
; COMPUTE_PGM_RSRC2:SCRATCH_EN: 0
; COMPUTE_PGM_RSRC2:USER_SGPR: 6
; COMPUTE_PGM_RSRC2:TRAP_HANDLER: 0
; COMPUTE_PGM_RSRC2:TGID_X_EN: 1
; COMPUTE_PGM_RSRC2:TGID_Y_EN: 0
; COMPUTE_PGM_RSRC2:TGID_Z_EN: 0
; COMPUTE_PGM_RSRC2:TIDIG_COMP_CNT: 0
	.section	.text._ZN9rocsparseL35bsr2csr_block_per_row_33_256_kernelILj1024ELj128ELj32EillEEv20rocsparse_direction_T4_S2_21rocsparse_index_base_PKT2_PKT3_PKS2_S2_S3_PS4_PS7_PS2_,"axG",@progbits,_ZN9rocsparseL35bsr2csr_block_per_row_33_256_kernelILj1024ELj128ELj32EillEEv20rocsparse_direction_T4_S2_21rocsparse_index_base_PKT2_PKT3_PKS2_S2_S3_PS4_PS7_PS2_,comdat
	.globl	_ZN9rocsparseL35bsr2csr_block_per_row_33_256_kernelILj1024ELj128ELj32EillEEv20rocsparse_direction_T4_S2_21rocsparse_index_base_PKT2_PKT3_PKS2_S2_S3_PS4_PS7_PS2_ ; -- Begin function _ZN9rocsparseL35bsr2csr_block_per_row_33_256_kernelILj1024ELj128ELj32EillEEv20rocsparse_direction_T4_S2_21rocsparse_index_base_PKT2_PKT3_PKS2_S2_S3_PS4_PS7_PS2_
	.p2align	8
	.type	_ZN9rocsparseL35bsr2csr_block_per_row_33_256_kernelILj1024ELj128ELj32EillEEv20rocsparse_direction_T4_S2_21rocsparse_index_base_PKT2_PKT3_PKS2_S2_S3_PS4_PS7_PS2_,@function
_ZN9rocsparseL35bsr2csr_block_per_row_33_256_kernelILj1024ELj128ELj32EillEEv20rocsparse_direction_T4_S2_21rocsparse_index_base_PKT2_PKT3_PKS2_S2_S3_PS4_PS7_PS2_: ; @_ZN9rocsparseL35bsr2csr_block_per_row_33_256_kernelILj1024ELj128ELj32EillEEv20rocsparse_direction_T4_S2_21rocsparse_index_base_PKT2_PKT3_PKS2_S2_S3_PS4_PS7_PS2_
; %bb.0:
	s_load_dwordx2 s[0:1], s[4:5], 0x28
	s_mov_b32 s11, 0
	s_clause 0x1
	s_load_dword s16, s[4:5], 0x40
	s_load_dwordx2 s[2:3], s[4:5], 0x50
	s_mov_b32 s7, s11
	v_or_b32_e32 v1, s6, v0
	s_lshl_b64 s[8:9], s[6:7], 3
	s_waitcnt lgkmcnt(0)
	s_add_u32 s0, s0, s8
	s_addc_u32 s1, s1, s9
	s_load_dwordx4 s[12:15], s[0:1], 0x0
	s_mov_b32 s0, exec_lo
	v_cmpx_eq_u32_e32 0, v1
	s_cbranch_execz .LBB50_2
; %bb.1:
	s_mov_b32 s17, s11
	v_mov_b32_e32 v1, s16
	v_mov_b32_e32 v3, 0
	;; [unrolled: 1-line block ×3, first 2 shown]
	global_store_dwordx2 v3, v[1:2], s[2:3]
.LBB50_2:
	s_or_b32 exec_lo, exec_lo, s0
	s_clause 0x1
	s_load_dword s10, s[4:5], 0x18
	s_load_dwordx2 s[18:19], s[4:5], 0x38
	v_mov_b32_e32 v22, 0
	v_lshrrev_b32_e32 v21, 5, v0
	v_lshlrev_b32_e32 v3, 3, v21
	s_waitcnt lgkmcnt(0)
	s_sub_u32 s20, s12, s10
	s_subb_u32 s21, s13, 0
	s_mul_hi_u32 s0, s18, s20
	s_mul_i32 s7, s18, s21
	s_sub_u32 s22, s14, s10
	s_mul_i32 s1, s19, s6
	s_mul_hi_u32 s17, s18, s6
	s_mul_i32 s24, s18, s6
	s_mul_i32 s6, s19, s20
	;; [unrolled: 1-line block ×3, first 2 shown]
	s_subb_u32 s23, s15, 0
	s_add_i32 s0, s0, s7
	s_mul_i32 s8, s28, s19
	s_mul_hi_u32 s7, s28, s18
	s_add_i32 s29, s0, s6
	s_add_i32 s0, s7, s8
	s_mul_i32 s6, s29, s18
	s_mul_i32 s8, s28, s18
	s_add_i32 s6, s0, s6
	s_sub_u32 s50, s22, s20
	s_subb_u32 s49, s23, s21
	s_mul_i32 s0, s50, s19
	s_mul_hi_u32 s7, s50, s18
	s_mul_i32 s9, s49, s18
	s_add_i32 s0, s7, s0
	s_mul_i32 s7, s50, s18
	s_add_i32 s0, s0, s9
	s_add_u32 s8, s8, s16
	s_addc_u32 s6, s6, 0
	s_add_u32 s8, s8, s7
	s_addc_u32 s9, s6, s0
	s_add_i32 s25, s17, s1
	v_cmp_gt_i64_e64 s1, s[18:19], v[21:22]
	s_lshl_b64 s[24:25], s[24:25], 3
	s_add_u32 s24, s2, s24
	s_addc_u32 s25, s3, s25
	s_and_saveexec_b32 s2, s1
	s_cbranch_execz .LBB50_4
; %bb.3:
	v_mad_u64_u32 v[1:2], null, v21, s7, s[8:9]
	v_mad_u64_u32 v[4:5], null, v21, s0, v[2:3]
	v_mov_b32_e32 v2, v4
	global_store_dwordx2 v3, v[1:2], s[24:25] offset:8
.LBB50_4:
	s_or_b32 exec_lo, exec_lo, s2
	v_or_b32_e32 v1, 32, v21
	v_mov_b32_e32 v2, v22
	v_cmp_gt_i64_e64 s2, s[18:19], v[1:2]
	s_and_saveexec_b32 s3, s2
	s_cbranch_execz .LBB50_6
; %bb.5:
	v_mad_u64_u32 v[4:5], null, v1, s7, s[8:9]
	v_mov_b32_e32 v2, v5
	v_mad_u64_u32 v[1:2], null, v1, s0, v[2:3]
	v_mov_b32_e32 v5, v1
	global_store_dwordx2 v3, v[4:5], s[24:25] offset:264
.LBB50_6:
	s_or_b32 exec_lo, exec_lo, s3
	v_or_b32_e32 v1, 64, v21
	v_mov_b32_e32 v2, v22
	v_cmp_gt_i64_e64 s3, s[18:19], v[1:2]
	s_and_saveexec_b32 s6, s3
	s_cbranch_execz .LBB50_8
; %bb.7:
	v_mad_u64_u32 v[4:5], null, v1, s7, s[8:9]
	v_mov_b32_e32 v2, v5
	v_mad_u64_u32 v[1:2], null, v1, s0, v[2:3]
	v_mov_b32_e32 v5, v1
	global_store_dwordx2 v3, v[4:5], s[24:25] offset:520
.LBB50_8:
	;; [unrolled: 13-line block ×3, first 2 shown]
	s_or_b32 exec_lo, exec_lo, s17
	v_cmp_lt_i64_e64 s0, s[12:13], s[14:15]
	s_and_b32 vcc_lo, exec_lo, s0
	s_cbranch_vccz .LBB50_45
; %bb.11:
	s_clause 0x2
	s_load_dwordx2 s[34:35], s[4:5], 0x30
	s_load_dwordx2 s[26:27], s[4:5], 0x48
	s_load_dword s0, s[4:5], 0x0
	v_and_b32_e32 v0, 31, v0
	v_mov_b32_e32 v1, 0
	v_lshlrev_b32_e32 v23, 2, v21
	s_clause 0x1
	s_load_dwordx2 s[24:25], s[4:5], 0x20
	s_load_dwordx2 s[30:31], s[4:5], 0x58
	v_or_b32_e32 v2, 32, v0
	v_mov_b32_e32 v3, v1
	v_or_b32_e32 v4, 64, v0
	v_mov_b32_e32 v5, v1
	v_or_b32_e32 v6, 0x60, v0
	v_mov_b32_e32 v7, v1
	v_cmp_gt_i64_e32 vcc_lo, s[18:19], v[0:1]
	v_cmp_gt_i64_e64 s7, s[18:19], v[2:3]
	v_cmp_gt_i64_e64 s8, s[18:19], v[4:5]
	v_mov_b32_e32 v8, v1
	v_cmp_gt_i64_e64 s9, s[18:19], v[6:7]
	v_lshlrev_b32_e32 v7, 2, v0
	v_mov_b32_e32 v24, v1
	s_mul_hi_u32 s5, s18, s18
	s_waitcnt lgkmcnt(0)
	s_cmp_eq_u32 s0, 0
	s_cselect_b32 s0, -1, 0
	s_and_b32 s37, s2, vcc_lo
	s_and_b32 s38, s2, s7
	s_and_b32 s39, s2, s8
	;; [unrolled: 1-line block ×3, first 2 shown]
	s_and_b32 s41, s3, vcc_lo
	s_and_b32 s42, s3, s7
	s_and_b32 s43, s3, s8
	;; [unrolled: 1-line block ×3, first 2 shown]
	s_lshl_b64 s[2:3], s[28:29], 2
	s_and_b32 s17, s1, vcc_lo
	v_add_co_u32 v3, s4, s2, v23
	v_add_co_ci_u32_e64 v5, null, s3, 0, s4
	s_and_b32 s45, s6, vcc_lo
	v_add_co_u32 v9, vcc_lo, 0x180, v3
	v_add_co_ci_u32_e64 v10, null, 0, v5, vcc_lo
	v_add_co_u32 v11, vcc_lo, 0x100, v3
	v_add_co_ci_u32_e64 v12, null, 0, v5, vcc_lo
	;; [unrolled: 2-line block ×3, first 2 shown]
	v_mul_lo_u32 v5, s18, v5
	v_mul_lo_u32 v26, s19, v13
	;; [unrolled: 1-line block ×4, first 2 shown]
	v_mad_u64_u32 v[13:14], null, s18, v13, v[7:8]
	v_mad_u64_u32 v[15:16], null, s18, v3, v[7:8]
	v_add_co_u32 v28, s2, s2, v7
	v_mul_lo_u32 v1, s18, v10
	v_mul_lo_u32 v19, s19, v9
	v_mad_u64_u32 v[9:10], null, s18, v9, v[7:8]
	v_add_co_ci_u32_e64 v29, null, s3, 0, s2
	v_mul_lo_u32 v20, s18, v12
	v_mul_lo_u32 v22, s19, v11
	v_mad_u64_u32 v[11:12], null, s18, v11, v[7:8]
	v_add3_u32 v14, v26, v14, v25
	v_add3_u32 v16, v27, v16, v5
	v_mad_u64_u32 v[26:27], null, v21, s50, s[28:29]
	v_mul_lo_u32 v3, s18, v29
	v_mul_lo_u32 v8, s19, v28
	v_mad_u64_u32 v[17:18], null, s18, v28, v[23:24]
	v_add3_u32 v10, v19, v10, v1
	v_add_co_u32 v1, vcc_lo, 0x80, v28
	v_add3_u32 v12, v22, v12, v20
	s_mul_i32 s4, s18, s19
	s_mul_i32 s2, s18, s18
	v_mul_lo_u32 v25, s19, v1
	v_mad_u64_u32 v[19:20], null, s18, v1, v[23:24]
	v_mov_b32_e32 v1, v27
	v_add3_u32 v18, v8, v18, v3
	v_add_co_ci_u32_e64 v3, null, 0, v29, vcc_lo
	v_add_co_u32 v5, vcc_lo, 0x100, v28
	v_add_co_ci_u32_e64 v8, null, 0, v29, vcc_lo
	v_add_co_u32 v27, vcc_lo, 0x180, v28
	v_add_co_ci_u32_e64 v30, null, 0, v29, vcc_lo
	v_mad_u64_u32 v[28:29], null, v21, s49, v[1:2]
	v_mul_lo_u32 v31, s19, v5
	v_mad_u64_u32 v[21:22], null, s18, v5, v[23:24]
	v_mul_lo_u32 v1, s18, v30
	v_mul_lo_u32 v5, s19, v27
	v_mad_u64_u32 v[23:24], null, s18, v27, v[23:24]
	v_mul_lo_u32 v27, s19, v26
	v_mul_lo_u32 v32, s18, v28
	v_mad_u64_u32 v[29:30], null, s18, v26, 0
	s_add_i32 s5, s5, s4
	v_mul_lo_u32 v3, s18, v3
	s_add_i32 s3, s5, s4
	s_and_b32 s33, s1, s7
	s_and_b32 s46, s6, s7
	;; [unrolled: 1-line block ×3, first 2 shown]
	v_add3_u32 v30, v30, v32, v27
	v_mov_b32_e32 v27, v28
	s_and_b32 s48, s6, s9
	v_mul_lo_u32 v8, s18, v8
	s_lshl_b64 s[4:5], s[12:13], 3
	s_lshl_b64 s[6:7], s[10:11], 3
	s_and_b32 s36, s1, s8
	s_and_b32 s1, s1, s9
	s_lshl_b64 s[2:3], s[2:3], 2
	s_sub_u32 s4, s4, s6
	s_subb_u32 s5, s5, s7
	v_mad_u64_u32 v[33:34], null, 0x60, s14, v[26:27]
	s_add_u32 s4, s34, s4
	s_addc_u32 s5, s35, s5
	s_lshl_b64 s[6:7], s[14:15], 5
	v_add3_u32 v20, v25, v20, v3
	v_add_co_u32 v3, vcc_lo, v26, s6
	v_add3_u32 v22, v31, v22, v8
	v_lshlrev_b64 v[31:32], 3, v[29:30]
	v_add3_u32 v24, v5, v24, v1
	v_add_co_ci_u32_e64 v5, null, s7, v28, vcc_lo
	s_lshl_b64 s[6:7], s[12:13], 5
	v_mov_b32_e32 v8, v34
	v_sub_co_u32 v25, vcc_lo, v3, s6
	v_subrev_co_ci_u32_e64 v27, null, s7, v5, vcc_lo
	v_add_co_u32 v3, vcc_lo, s30, v31
	v_add_co_ci_u32_e64 v5, null, s31, v32, vcc_lo
	v_mad_u64_u32 v[31:32], null, 0x60, s15, v[8:9]
	v_lshlrev_b64 v[29:30], 2, v[29:30]
	s_mul_i32 s6, s13, 0x60
	s_mul_hi_u32 s7, s12, 0x60
	v_mul_lo_u32 v36, s19, v25
	v_mul_lo_u32 v27, s18, v27
	v_mad_u64_u32 v[34:35], null, s18, v25, 0
	s_add_i32 s7, s7, s6
	s_mul_i32 s6, s12, 0x60
	v_lshlrev_b32_e32 v1, 3, v0
	v_sub_co_u32 v32, vcc_lo, v33, s6
	v_subrev_co_ci_u32_e64 v31, null, s7, v31, vcc_lo
	v_add_co_u32 v8, vcc_lo, s26, v29
	s_lshl_b64 s[6:7], s[14:15], 6
	v_add_co_ci_u32_e64 v25, null, s27, v30, vcc_lo
	v_add_co_u32 v26, vcc_lo, v26, s6
	v_add3_u32 v35, v35, v27, v36
	v_add_co_ci_u32_e64 v27, null, s7, v28, vcc_lo
	s_lshl_b64 s[6:7], s[12:13], 6
	v_mul_lo_u32 v33, s19, v32
	v_mul_lo_u32 v36, s18, v31
	v_mad_u64_u32 v[30:31], null, s18, v32, 0
	v_sub_co_u32 v32, vcc_lo, v26, s6
	v_subrev_co_ci_u32_e64 v37, null, s7, v27, vcc_lo
	v_lshlrev_b64 v[26:27], 2, v[34:35]
	v_lshlrev_b64 v[28:29], 3, v[34:35]
	v_add3_u32 v31, v31, v36, v33
	v_mul_lo_u32 v38, s19, v32
	v_mul_lo_u32 v39, s18, v37
	v_mad_u64_u32 v[34:35], null, s18, v32, 0
	v_lshlrev_b64 v[32:33], 3, v[30:31]
	v_add_co_u32 v26, vcc_lo, s26, v26
	v_lshlrev_b64 v[36:37], 2, v[30:31]
	v_add_co_ci_u32_e64 v27, null, s27, v27, vcc_lo
	v_add3_u32 v35, v35, v39, v38
	v_add_co_u32 v28, vcc_lo, s30, v28
	v_add_co_ci_u32_e64 v29, null, s31, v29, vcc_lo
	v_add_co_u32 v30, vcc_lo, s30, v32
	v_add_co_ci_u32_e64 v31, null, s31, v33, vcc_lo
	v_lshlrev_b64 v[38:39], 2, v[34:35]
	v_add_co_u32 v32, vcc_lo, s26, v36
	v_add_co_ci_u32_e64 v33, null, s27, v37, vcc_lo
	v_lshlrev_b64 v[36:37], 3, v[34:35]
	v_add_co_u32 v34, vcc_lo, s26, v38
	v_add_co_ci_u32_e64 v35, null, s27, v39, vcc_lo
	s_lshl_b64 s[6:7], s[18:19], 3
	v_add_co_u32 v36, vcc_lo, s30, v36
	v_add_co_ci_u32_e64 v37, null, s31, v37, vcc_lo
	s_lshl_b64 s[8:9], s[18:19], 2
	s_branch .LBB50_13
.LBB50_12:                              ;   in Loop: Header=BB50_13 Depth=1
	s_or_b32 exec_lo, exec_lo, s13
	v_add_co_u32 v3, vcc_lo, v3, s6
	v_add_co_ci_u32_e64 v5, null, s7, v5, vcc_lo
	v_add_co_u32 v8, vcc_lo, v8, s8
	v_add_co_ci_u32_e64 v25, null, s9, v25, vcc_lo
	;; [unrolled: 2-line block ×4, first 2 shown]
	v_add_co_u32 v30, vcc_lo, v30, s6
	s_add_u32 s20, s20, 1
	v_add_co_ci_u32_e64 v31, null, s7, v31, vcc_lo
	v_add_co_u32 v32, vcc_lo, v32, s8
	s_addc_u32 s21, s21, 0
	v_add_co_ci_u32_e64 v33, null, s9, v33, vcc_lo
	v_add_co_u32 v34, vcc_lo, v34, s8
	v_cmp_ge_i64_e64 s11, s[20:21], s[22:23]
	v_add_co_ci_u32_e64 v35, null, s9, v35, vcc_lo
	v_add_co_u32 v36, vcc_lo, v36, s6
	s_add_u32 s24, s24, s2
	v_add_co_ci_u32_e64 v37, null, s7, v37, vcc_lo
	s_addc_u32 s25, s25, s3
	s_add_u32 s4, s4, 8
	s_addc_u32 s5, s5, 0
	s_and_b32 vcc_lo, exec_lo, s11
	s_cbranch_vccnz .LBB50_45
.LBB50_13:                              ; =>This Inner Loop Header: Depth=1
	s_load_dwordx2 s[12:13], s[4:5], 0x0
	s_waitcnt lgkmcnt(0)
	s_sub_u32 s11, s12, s10
	s_subb_u32 s13, s13, 0
	s_mul_i32 s12, s11, s19
	s_mul_hi_u32 s14, s11, s18
	s_mul_i32 s13, s13, s18
	s_add_i32 s12, s14, s12
	s_mul_i32 s11, s11, s18
	s_add_i32 s12, s12, s13
	s_add_u32 s11, s11, s16
	s_addc_u32 s12, s12, 0
	s_and_saveexec_b32 s13, s17
	s_cbranch_execnz .LBB50_29
; %bb.14:                               ;   in Loop: Header=BB50_13 Depth=1
	s_or_b32 exec_lo, exec_lo, s13
	s_and_saveexec_b32 s13, s33
	s_cbranch_execnz .LBB50_30
.LBB50_15:                              ;   in Loop: Header=BB50_13 Depth=1
	s_or_b32 exec_lo, exec_lo, s13
	s_and_saveexec_b32 s13, s36
	s_cbranch_execnz .LBB50_31
.LBB50_16:                              ;   in Loop: Header=BB50_13 Depth=1
	s_or_b32 exec_lo, exec_lo, s13
	s_and_saveexec_b32 s13, s1
	s_cbranch_execnz .LBB50_32
.LBB50_17:                              ;   in Loop: Header=BB50_13 Depth=1
	s_or_b32 exec_lo, exec_lo, s13
	s_and_saveexec_b32 s13, s37
	s_cbranch_execnz .LBB50_33
.LBB50_18:                              ;   in Loop: Header=BB50_13 Depth=1
	s_or_b32 exec_lo, exec_lo, s13
	s_and_saveexec_b32 s13, s38
	s_cbranch_execnz .LBB50_34
.LBB50_19:                              ;   in Loop: Header=BB50_13 Depth=1
	s_or_b32 exec_lo, exec_lo, s13
	s_and_saveexec_b32 s13, s39
	s_cbranch_execnz .LBB50_35
.LBB50_20:                              ;   in Loop: Header=BB50_13 Depth=1
	s_or_b32 exec_lo, exec_lo, s13
	s_and_saveexec_b32 s13, s40
	s_cbranch_execnz .LBB50_36
.LBB50_21:                              ;   in Loop: Header=BB50_13 Depth=1
	s_or_b32 exec_lo, exec_lo, s13
	s_and_saveexec_b32 s13, s41
	s_cbranch_execnz .LBB50_37
.LBB50_22:                              ;   in Loop: Header=BB50_13 Depth=1
	s_or_b32 exec_lo, exec_lo, s13
	s_and_saveexec_b32 s13, s42
	s_cbranch_execnz .LBB50_38
.LBB50_23:                              ;   in Loop: Header=BB50_13 Depth=1
	s_or_b32 exec_lo, exec_lo, s13
	s_and_saveexec_b32 s13, s43
	s_cbranch_execnz .LBB50_39
.LBB50_24:                              ;   in Loop: Header=BB50_13 Depth=1
	s_or_b32 exec_lo, exec_lo, s13
	s_and_saveexec_b32 s13, s44
	s_cbranch_execnz .LBB50_40
.LBB50_25:                              ;   in Loop: Header=BB50_13 Depth=1
	s_or_b32 exec_lo, exec_lo, s13
	s_and_saveexec_b32 s13, s45
	s_cbranch_execnz .LBB50_41
.LBB50_26:                              ;   in Loop: Header=BB50_13 Depth=1
	s_or_b32 exec_lo, exec_lo, s13
	s_and_saveexec_b32 s13, s46
	s_cbranch_execnz .LBB50_42
.LBB50_27:                              ;   in Loop: Header=BB50_13 Depth=1
	s_or_b32 exec_lo, exec_lo, s13
	s_and_saveexec_b32 s13, s47
	s_cbranch_execnz .LBB50_43
.LBB50_28:                              ;   in Loop: Header=BB50_13 Depth=1
	s_or_b32 exec_lo, exec_lo, s13
	s_and_saveexec_b32 s13, s48
	s_cbranch_execz .LBB50_12
	s_branch .LBB50_44
.LBB50_29:                              ;   in Loop: Header=BB50_13 Depth=1
	v_add_co_u32 v38, vcc_lo, s24, v15
	v_add_co_ci_u32_e64 v39, null, s25, v16, vcc_lo
	v_add_co_u32 v40, vcc_lo, s24, v17
	v_add_co_ci_u32_e64 v41, null, s25, v18, vcc_lo
	v_cndmask_b32_e64 v38, v40, v38, s0
	v_add_co_u32 v40, vcc_lo, v3, v1
	v_cndmask_b32_e64 v39, v41, v39, s0
	v_add_co_ci_u32_e64 v41, null, 0, v5, vcc_lo
	v_add_co_u32 v42, vcc_lo, v8, v7
	global_load_dword v44, v[38:39], off
	v_add_co_u32 v38, s14, s11, v0
	v_add_co_ci_u32_e64 v39, null, s12, 0, s14
	v_add_co_ci_u32_e64 v43, null, 0, v25, vcc_lo
	global_store_dwordx2 v[40:41], v[38:39], off
	s_waitcnt vmcnt(0)
	global_store_dword v[42:43], v44, off
	s_or_b32 exec_lo, exec_lo, s13
	s_and_saveexec_b32 s13, s33
	s_cbranch_execz .LBB50_15
.LBB50_30:                              ;   in Loop: Header=BB50_13 Depth=1
	v_add_co_u32 v38, vcc_lo, s24, v15
	v_add_co_ci_u32_e64 v39, null, s25, v16, vcc_lo
	v_add_co_u32 v38, vcc_lo, 0x80, v38
	v_add_co_ci_u32_e64 v39, null, 0, v39, vcc_lo
	;; [unrolled: 2-line block ×3, first 2 shown]
	v_cndmask_b32_e64 v38, v40, v38, s0
	v_add_co_u32 v40, vcc_lo, v3, v1
	v_cndmask_b32_e64 v39, v41, v39, s0
	v_add_co_ci_u32_e64 v41, null, 0, v5, vcc_lo
	v_add_co_u32 v42, vcc_lo, v8, v7
	global_load_dword v44, v[38:39], off
	v_add_co_u32 v38, s14, s11, v2
	v_add_co_ci_u32_e64 v39, null, s12, 0, s14
	v_add_co_ci_u32_e64 v43, null, 0, v25, vcc_lo
	global_store_dwordx2 v[40:41], v[38:39], off offset:256
	s_waitcnt vmcnt(0)
	global_store_dword v[42:43], v44, off offset:128
	s_or_b32 exec_lo, exec_lo, s13
	s_and_saveexec_b32 s13, s36
	s_cbranch_execz .LBB50_16
.LBB50_31:                              ;   in Loop: Header=BB50_13 Depth=1
	v_add_co_u32 v38, vcc_lo, s24, v15
	v_add_co_ci_u32_e64 v39, null, s25, v16, vcc_lo
	v_add_co_u32 v38, vcc_lo, 0x100, v38
	v_add_co_ci_u32_e64 v39, null, 0, v39, vcc_lo
	v_add_co_u32 v40, vcc_lo, s24, v21
	v_add_co_ci_u32_e64 v41, null, s25, v22, vcc_lo
	v_cndmask_b32_e64 v38, v40, v38, s0
	v_add_co_u32 v40, vcc_lo, v3, v1
	v_cndmask_b32_e64 v39, v41, v39, s0
	v_add_co_ci_u32_e64 v41, null, 0, v5, vcc_lo
	v_add_co_u32 v42, vcc_lo, v8, v7
	global_load_dword v44, v[38:39], off
	v_add_co_u32 v38, s14, s11, v4
	v_add_co_ci_u32_e64 v39, null, s12, 0, s14
	v_add_co_ci_u32_e64 v43, null, 0, v25, vcc_lo
	global_store_dwordx2 v[40:41], v[38:39], off offset:512
	s_waitcnt vmcnt(0)
	global_store_dword v[42:43], v44, off offset:256
	s_or_b32 exec_lo, exec_lo, s13
	s_and_saveexec_b32 s13, s1
	s_cbranch_execz .LBB50_17
.LBB50_32:                              ;   in Loop: Header=BB50_13 Depth=1
	v_add_co_u32 v38, vcc_lo, s24, v15
	v_add_co_ci_u32_e64 v39, null, s25, v16, vcc_lo
	v_add_co_u32 v38, vcc_lo, 0x180, v38
	v_add_co_ci_u32_e64 v39, null, 0, v39, vcc_lo
	;; [unrolled: 2-line block ×3, first 2 shown]
	v_cndmask_b32_e64 v38, v40, v38, s0
	v_add_co_u32 v40, vcc_lo, v3, v1
	v_cndmask_b32_e64 v39, v41, v39, s0
	v_add_co_ci_u32_e64 v41, null, 0, v5, vcc_lo
	v_add_co_u32 v42, vcc_lo, v8, v7
	global_load_dword v44, v[38:39], off
	v_add_co_u32 v38, s14, s11, v6
	v_add_co_ci_u32_e64 v39, null, s12, 0, s14
	v_add_co_ci_u32_e64 v43, null, 0, v25, vcc_lo
	global_store_dwordx2 v[40:41], v[38:39], off offset:768
	s_waitcnt vmcnt(0)
	global_store_dword v[42:43], v44, off offset:384
	s_or_b32 exec_lo, exec_lo, s13
	s_and_saveexec_b32 s13, s37
	s_cbranch_execz .LBB50_18
.LBB50_33:                              ;   in Loop: Header=BB50_13 Depth=1
	v_add_co_u32 v38, vcc_lo, s24, v17
	v_add_co_ci_u32_e64 v39, null, s25, v18, vcc_lo
	v_add_co_u32 v40, vcc_lo, s24, v13
	v_add_co_ci_u32_e64 v41, null, s25, v14, vcc_lo
	;; [unrolled: 2-line block ×3, first 2 shown]
	v_cndmask_b32_e64 v38, v38, v40, s0
	v_add_co_u32 v40, vcc_lo, v28, v1
	v_cndmask_b32_e64 v39, v39, v41, s0
	v_add_co_ci_u32_e64 v41, null, 0, v29, vcc_lo
	v_add_co_u32 v42, vcc_lo, v26, v7
	global_load_dword v44, v[38:39], off
	v_add_co_u32 v38, s14, s11, v0
	v_add_co_ci_u32_e64 v39, null, s12, 0, s14
	v_add_co_ci_u32_e64 v43, null, 0, v27, vcc_lo
	global_store_dwordx2 v[40:41], v[38:39], off
	s_waitcnt vmcnt(0)
	global_store_dword v[42:43], v44, off
	s_or_b32 exec_lo, exec_lo, s13
	s_and_saveexec_b32 s13, s38
	s_cbranch_execz .LBB50_19
.LBB50_34:                              ;   in Loop: Header=BB50_13 Depth=1
	v_add_co_u32 v38, vcc_lo, s24, v13
	v_add_co_ci_u32_e64 v39, null, s25, v14, vcc_lo
	v_add_co_u32 v40, vcc_lo, s24, v19
	v_add_co_ci_u32_e64 v41, null, s25, v20, vcc_lo
	v_cndmask_b32_e64 v38, v40, v38, s0
	v_add_co_u32 v40, vcc_lo, v28, v1
	v_cndmask_b32_e64 v39, v41, v39, s0
	v_add_co_ci_u32_e64 v41, null, 0, v29, vcc_lo
	v_add_co_u32 v42, vcc_lo, v26, v7
	global_load_dword v44, v[38:39], off offset:128
	v_add_co_u32 v38, s14, s11, v2
	v_add_co_ci_u32_e64 v39, null, s12, 0, s14
	v_add_co_ci_u32_e64 v43, null, 0, v27, vcc_lo
	global_store_dwordx2 v[40:41], v[38:39], off offset:256
	s_waitcnt vmcnt(0)
	global_store_dword v[42:43], v44, off offset:128
	s_or_b32 exec_lo, exec_lo, s13
	s_and_saveexec_b32 s13, s39
	s_cbranch_execz .LBB50_20
.LBB50_35:                              ;   in Loop: Header=BB50_13 Depth=1
	v_add_co_u32 v38, vcc_lo, s24, v13
	v_add_co_ci_u32_e64 v39, null, s25, v14, vcc_lo
	v_add_co_u32 v40, vcc_lo, s24, v21
	v_add_co_ci_u32_e64 v41, null, s25, v22, vcc_lo
	;; [unrolled: 2-line block ×4, first 2 shown]
	v_cndmask_b32_e64 v38, v40, v38, s0
	v_add_co_u32 v40, vcc_lo, v28, v1
	v_cndmask_b32_e64 v39, v41, v39, s0
	v_add_co_ci_u32_e64 v41, null, 0, v29, vcc_lo
	v_add_co_u32 v42, vcc_lo, v26, v7
	global_load_dword v44, v[38:39], off
	v_add_co_u32 v38, s14, s11, v4
	v_add_co_ci_u32_e64 v39, null, s12, 0, s14
	v_add_co_ci_u32_e64 v43, null, 0, v27, vcc_lo
	global_store_dwordx2 v[40:41], v[38:39], off offset:512
	s_waitcnt vmcnt(0)
	global_store_dword v[42:43], v44, off offset:256
	s_or_b32 exec_lo, exec_lo, s13
	s_and_saveexec_b32 s13, s40
	s_cbranch_execz .LBB50_21
.LBB50_36:                              ;   in Loop: Header=BB50_13 Depth=1
	v_add_co_u32 v38, vcc_lo, s24, v13
	v_add_co_ci_u32_e64 v39, null, s25, v14, vcc_lo
	v_add_co_u32 v40, vcc_lo, s24, v23
	v_add_co_ci_u32_e64 v41, null, s25, v24, vcc_lo
	;; [unrolled: 2-line block ×4, first 2 shown]
	v_cndmask_b32_e64 v38, v40, v38, s0
	v_add_co_u32 v40, vcc_lo, v28, v1
	v_cndmask_b32_e64 v39, v41, v39, s0
	v_add_co_ci_u32_e64 v41, null, 0, v29, vcc_lo
	v_add_co_u32 v42, vcc_lo, v26, v7
	global_load_dword v44, v[38:39], off
	v_add_co_u32 v38, s14, s11, v6
	v_add_co_ci_u32_e64 v39, null, s12, 0, s14
	v_add_co_ci_u32_e64 v43, null, 0, v27, vcc_lo
	global_store_dwordx2 v[40:41], v[38:39], off offset:768
	s_waitcnt vmcnt(0)
	global_store_dword v[42:43], v44, off offset:384
	s_or_b32 exec_lo, exec_lo, s13
	s_and_saveexec_b32 s13, s41
	s_cbranch_execz .LBB50_22
.LBB50_37:                              ;   in Loop: Header=BB50_13 Depth=1
	v_add_co_u32 v38, vcc_lo, s24, v17
	v_add_co_ci_u32_e64 v39, null, s25, v18, vcc_lo
	v_add_co_u32 v40, vcc_lo, s24, v11
	v_add_co_ci_u32_e64 v41, null, s25, v12, vcc_lo
	;; [unrolled: 2-line block ×3, first 2 shown]
	v_cndmask_b32_e64 v38, v38, v40, s0
	v_add_co_u32 v40, vcc_lo, v36, v1
	v_cndmask_b32_e64 v39, v39, v41, s0
	v_add_co_ci_u32_e64 v41, null, 0, v37, vcc_lo
	v_add_co_u32 v42, vcc_lo, v34, v7
	global_load_dword v44, v[38:39], off
	v_add_co_u32 v38, s14, s11, v0
	v_add_co_ci_u32_e64 v39, null, s12, 0, s14
	v_add_co_ci_u32_e64 v43, null, 0, v35, vcc_lo
	global_store_dwordx2 v[40:41], v[38:39], off
	s_waitcnt vmcnt(0)
	global_store_dword v[42:43], v44, off
	s_or_b32 exec_lo, exec_lo, s13
	s_and_saveexec_b32 s13, s42
	s_cbranch_execz .LBB50_23
.LBB50_38:                              ;   in Loop: Header=BB50_13 Depth=1
	v_add_co_u32 v38, vcc_lo, s24, v11
	v_add_co_ci_u32_e64 v39, null, s25, v12, vcc_lo
	v_add_co_u32 v40, vcc_lo, s24, v19
	v_add_co_ci_u32_e64 v41, null, s25, v20, vcc_lo
	;; [unrolled: 2-line block ×4, first 2 shown]
	v_cndmask_b32_e64 v38, v40, v38, s0
	v_add_co_u32 v40, vcc_lo, v36, v1
	v_cndmask_b32_e64 v39, v41, v39, s0
	v_add_co_ci_u32_e64 v41, null, 0, v37, vcc_lo
	v_add_co_u32 v42, vcc_lo, v34, v7
	global_load_dword v44, v[38:39], off
	v_add_co_u32 v38, s14, s11, v2
	v_add_co_ci_u32_e64 v39, null, s12, 0, s14
	v_add_co_ci_u32_e64 v43, null, 0, v35, vcc_lo
	global_store_dwordx2 v[40:41], v[38:39], off offset:256
	s_waitcnt vmcnt(0)
	global_store_dword v[42:43], v44, off offset:128
	s_or_b32 exec_lo, exec_lo, s13
	s_and_saveexec_b32 s13, s43
	s_cbranch_execz .LBB50_24
.LBB50_39:                              ;   in Loop: Header=BB50_13 Depth=1
	v_add_co_u32 v38, vcc_lo, s24, v11
	v_add_co_ci_u32_e64 v39, null, s25, v12, vcc_lo
	v_add_co_u32 v40, vcc_lo, s24, v21
	v_add_co_ci_u32_e64 v41, null, s25, v22, vcc_lo
	v_cndmask_b32_e64 v38, v40, v38, s0
	v_add_co_u32 v40, vcc_lo, v36, v1
	v_cndmask_b32_e64 v39, v41, v39, s0
	v_add_co_ci_u32_e64 v41, null, 0, v37, vcc_lo
	v_add_co_u32 v42, vcc_lo, v34, v7
	global_load_dword v44, v[38:39], off offset:256
	v_add_co_u32 v38, s14, s11, v4
	v_add_co_ci_u32_e64 v39, null, s12, 0, s14
	v_add_co_ci_u32_e64 v43, null, 0, v35, vcc_lo
	global_store_dwordx2 v[40:41], v[38:39], off offset:512
	s_waitcnt vmcnt(0)
	global_store_dword v[42:43], v44, off offset:256
	s_or_b32 exec_lo, exec_lo, s13
	s_and_saveexec_b32 s13, s44
	s_cbranch_execz .LBB50_25
.LBB50_40:                              ;   in Loop: Header=BB50_13 Depth=1
	v_add_co_u32 v38, vcc_lo, s24, v11
	v_add_co_ci_u32_e64 v39, null, s25, v12, vcc_lo
	v_add_co_u32 v40, vcc_lo, s24, v23
	v_add_co_ci_u32_e64 v41, null, s25, v24, vcc_lo
	;; [unrolled: 2-line block ×4, first 2 shown]
	v_cndmask_b32_e64 v38, v40, v38, s0
	v_add_co_u32 v40, vcc_lo, v36, v1
	v_cndmask_b32_e64 v39, v41, v39, s0
	v_add_co_ci_u32_e64 v41, null, 0, v37, vcc_lo
	v_add_co_u32 v42, vcc_lo, v34, v7
	global_load_dword v44, v[38:39], off
	v_add_co_u32 v38, s14, s11, v6
	v_add_co_ci_u32_e64 v39, null, s12, 0, s14
	v_add_co_ci_u32_e64 v43, null, 0, v35, vcc_lo
	global_store_dwordx2 v[40:41], v[38:39], off offset:768
	s_waitcnt vmcnt(0)
	global_store_dword v[42:43], v44, off offset:384
	s_or_b32 exec_lo, exec_lo, s13
	s_and_saveexec_b32 s13, s45
	s_cbranch_execz .LBB50_26
.LBB50_41:                              ;   in Loop: Header=BB50_13 Depth=1
	v_add_co_u32 v38, vcc_lo, s24, v17
	v_add_co_ci_u32_e64 v39, null, s25, v18, vcc_lo
	v_add_co_u32 v40, vcc_lo, s24, v9
	v_add_co_ci_u32_e64 v41, null, s25, v10, vcc_lo
	;; [unrolled: 2-line block ×3, first 2 shown]
	v_cndmask_b32_e64 v38, v38, v40, s0
	v_add_co_u32 v40, vcc_lo, v30, v1
	v_cndmask_b32_e64 v39, v39, v41, s0
	v_add_co_ci_u32_e64 v41, null, 0, v31, vcc_lo
	v_add_co_u32 v42, vcc_lo, v32, v7
	global_load_dword v44, v[38:39], off
	v_add_co_u32 v38, s14, s11, v0
	v_add_co_ci_u32_e64 v39, null, s12, 0, s14
	v_add_co_ci_u32_e64 v43, null, 0, v33, vcc_lo
	global_store_dwordx2 v[40:41], v[38:39], off
	s_waitcnt vmcnt(0)
	global_store_dword v[42:43], v44, off
	s_or_b32 exec_lo, exec_lo, s13
	s_and_saveexec_b32 s13, s46
	s_cbranch_execz .LBB50_27
.LBB50_42:                              ;   in Loop: Header=BB50_13 Depth=1
	v_add_co_u32 v38, vcc_lo, s24, v9
	v_add_co_ci_u32_e64 v39, null, s25, v10, vcc_lo
	v_add_co_u32 v40, vcc_lo, s24, v19
	v_add_co_ci_u32_e64 v41, null, s25, v20, vcc_lo
	;; [unrolled: 2-line block ×4, first 2 shown]
	v_cndmask_b32_e64 v38, v40, v38, s0
	v_add_co_u32 v40, vcc_lo, v30, v1
	v_cndmask_b32_e64 v39, v41, v39, s0
	v_add_co_ci_u32_e64 v41, null, 0, v31, vcc_lo
	v_add_co_u32 v42, vcc_lo, v32, v7
	global_load_dword v44, v[38:39], off
	v_add_co_u32 v38, s14, s11, v2
	v_add_co_ci_u32_e64 v39, null, s12, 0, s14
	v_add_co_ci_u32_e64 v43, null, 0, v33, vcc_lo
	global_store_dwordx2 v[40:41], v[38:39], off offset:256
	s_waitcnt vmcnt(0)
	global_store_dword v[42:43], v44, off offset:128
	s_or_b32 exec_lo, exec_lo, s13
	s_and_saveexec_b32 s13, s47
	s_cbranch_execz .LBB50_28
.LBB50_43:                              ;   in Loop: Header=BB50_13 Depth=1
	v_add_co_u32 v38, vcc_lo, s24, v9
	v_add_co_ci_u32_e64 v39, null, s25, v10, vcc_lo
	v_add_co_u32 v40, vcc_lo, s24, v21
	v_add_co_ci_u32_e64 v41, null, s25, v22, vcc_lo
	;; [unrolled: 2-line block ×4, first 2 shown]
	v_cndmask_b32_e64 v38, v40, v38, s0
	v_add_co_u32 v40, vcc_lo, v30, v1
	v_cndmask_b32_e64 v39, v41, v39, s0
	v_add_co_ci_u32_e64 v41, null, 0, v31, vcc_lo
	v_add_co_u32 v42, vcc_lo, v32, v7
	global_load_dword v44, v[38:39], off
	v_add_co_u32 v38, s14, s11, v4
	v_add_co_ci_u32_e64 v39, null, s12, 0, s14
	v_add_co_ci_u32_e64 v43, null, 0, v33, vcc_lo
	global_store_dwordx2 v[40:41], v[38:39], off offset:512
	s_waitcnt vmcnt(0)
	global_store_dword v[42:43], v44, off offset:256
	s_or_b32 exec_lo, exec_lo, s13
	s_and_saveexec_b32 s13, s48
	s_cbranch_execz .LBB50_12
.LBB50_44:                              ;   in Loop: Header=BB50_13 Depth=1
	v_add_co_u32 v38, vcc_lo, s24, v9
	v_add_co_ci_u32_e64 v39, null, s25, v10, vcc_lo
	v_add_co_u32 v40, vcc_lo, s24, v23
	v_add_co_ci_u32_e64 v41, null, s25, v24, vcc_lo
	v_cndmask_b32_e64 v38, v40, v38, s0
	v_add_co_u32 v40, vcc_lo, v30, v1
	v_cndmask_b32_e64 v39, v41, v39, s0
	v_add_co_ci_u32_e64 v41, null, 0, v31, vcc_lo
	v_add_co_u32 v42, vcc_lo, v32, v7
	global_load_dword v44, v[38:39], off offset:384
	v_add_co_u32 v38, s11, s11, v6
	v_add_co_ci_u32_e64 v39, null, s12, 0, s11
	v_add_co_ci_u32_e64 v43, null, 0, v33, vcc_lo
	global_store_dwordx2 v[40:41], v[38:39], off offset:768
	s_waitcnt vmcnt(0)
	global_store_dword v[42:43], v44, off offset:384
	s_branch .LBB50_12
.LBB50_45:
	s_endpgm
	.section	.rodata,"a",@progbits
	.p2align	6, 0x0
	.amdhsa_kernel _ZN9rocsparseL35bsr2csr_block_per_row_33_256_kernelILj1024ELj128ELj32EillEEv20rocsparse_direction_T4_S2_21rocsparse_index_base_PKT2_PKT3_PKS2_S2_S3_PS4_PS7_PS2_
		.amdhsa_group_segment_fixed_size 0
		.amdhsa_private_segment_fixed_size 0
		.amdhsa_kernarg_size 96
		.amdhsa_user_sgpr_count 6
		.amdhsa_user_sgpr_private_segment_buffer 1
		.amdhsa_user_sgpr_dispatch_ptr 0
		.amdhsa_user_sgpr_queue_ptr 0
		.amdhsa_user_sgpr_kernarg_segment_ptr 1
		.amdhsa_user_sgpr_dispatch_id 0
		.amdhsa_user_sgpr_flat_scratch_init 0
		.amdhsa_user_sgpr_private_segment_size 0
		.amdhsa_wavefront_size32 1
		.amdhsa_uses_dynamic_stack 0
		.amdhsa_system_sgpr_private_segment_wavefront_offset 0
		.amdhsa_system_sgpr_workgroup_id_x 1
		.amdhsa_system_sgpr_workgroup_id_y 0
		.amdhsa_system_sgpr_workgroup_id_z 0
		.amdhsa_system_sgpr_workgroup_info 0
		.amdhsa_system_vgpr_workitem_id 0
		.amdhsa_next_free_vgpr 45
		.amdhsa_next_free_sgpr 51
		.amdhsa_reserve_vcc 1
		.amdhsa_reserve_flat_scratch 0
		.amdhsa_float_round_mode_32 0
		.amdhsa_float_round_mode_16_64 0
		.amdhsa_float_denorm_mode_32 3
		.amdhsa_float_denorm_mode_16_64 3
		.amdhsa_dx10_clamp 1
		.amdhsa_ieee_mode 1
		.amdhsa_fp16_overflow 0
		.amdhsa_workgroup_processor_mode 1
		.amdhsa_memory_ordered 1
		.amdhsa_forward_progress 1
		.amdhsa_shared_vgpr_count 0
		.amdhsa_exception_fp_ieee_invalid_op 0
		.amdhsa_exception_fp_denorm_src 0
		.amdhsa_exception_fp_ieee_div_zero 0
		.amdhsa_exception_fp_ieee_overflow 0
		.amdhsa_exception_fp_ieee_underflow 0
		.amdhsa_exception_fp_ieee_inexact 0
		.amdhsa_exception_int_div_zero 0
	.end_amdhsa_kernel
	.section	.text._ZN9rocsparseL35bsr2csr_block_per_row_33_256_kernelILj1024ELj128ELj32EillEEv20rocsparse_direction_T4_S2_21rocsparse_index_base_PKT2_PKT3_PKS2_S2_S3_PS4_PS7_PS2_,"axG",@progbits,_ZN9rocsparseL35bsr2csr_block_per_row_33_256_kernelILj1024ELj128ELj32EillEEv20rocsparse_direction_T4_S2_21rocsparse_index_base_PKT2_PKT3_PKS2_S2_S3_PS4_PS7_PS2_,comdat
.Lfunc_end50:
	.size	_ZN9rocsparseL35bsr2csr_block_per_row_33_256_kernelILj1024ELj128ELj32EillEEv20rocsparse_direction_T4_S2_21rocsparse_index_base_PKT2_PKT3_PKS2_S2_S3_PS4_PS7_PS2_, .Lfunc_end50-_ZN9rocsparseL35bsr2csr_block_per_row_33_256_kernelILj1024ELj128ELj32EillEEv20rocsparse_direction_T4_S2_21rocsparse_index_base_PKT2_PKT3_PKS2_S2_S3_PS4_PS7_PS2_
                                        ; -- End function
	.set _ZN9rocsparseL35bsr2csr_block_per_row_33_256_kernelILj1024ELj128ELj32EillEEv20rocsparse_direction_T4_S2_21rocsparse_index_base_PKT2_PKT3_PKS2_S2_S3_PS4_PS7_PS2_.num_vgpr, 45
	.set _ZN9rocsparseL35bsr2csr_block_per_row_33_256_kernelILj1024ELj128ELj32EillEEv20rocsparse_direction_T4_S2_21rocsparse_index_base_PKT2_PKT3_PKS2_S2_S3_PS4_PS7_PS2_.num_agpr, 0
	.set _ZN9rocsparseL35bsr2csr_block_per_row_33_256_kernelILj1024ELj128ELj32EillEEv20rocsparse_direction_T4_S2_21rocsparse_index_base_PKT2_PKT3_PKS2_S2_S3_PS4_PS7_PS2_.numbered_sgpr, 51
	.set _ZN9rocsparseL35bsr2csr_block_per_row_33_256_kernelILj1024ELj128ELj32EillEEv20rocsparse_direction_T4_S2_21rocsparse_index_base_PKT2_PKT3_PKS2_S2_S3_PS4_PS7_PS2_.num_named_barrier, 0
	.set _ZN9rocsparseL35bsr2csr_block_per_row_33_256_kernelILj1024ELj128ELj32EillEEv20rocsparse_direction_T4_S2_21rocsparse_index_base_PKT2_PKT3_PKS2_S2_S3_PS4_PS7_PS2_.private_seg_size, 0
	.set _ZN9rocsparseL35bsr2csr_block_per_row_33_256_kernelILj1024ELj128ELj32EillEEv20rocsparse_direction_T4_S2_21rocsparse_index_base_PKT2_PKT3_PKS2_S2_S3_PS4_PS7_PS2_.uses_vcc, 1
	.set _ZN9rocsparseL35bsr2csr_block_per_row_33_256_kernelILj1024ELj128ELj32EillEEv20rocsparse_direction_T4_S2_21rocsparse_index_base_PKT2_PKT3_PKS2_S2_S3_PS4_PS7_PS2_.uses_flat_scratch, 0
	.set _ZN9rocsparseL35bsr2csr_block_per_row_33_256_kernelILj1024ELj128ELj32EillEEv20rocsparse_direction_T4_S2_21rocsparse_index_base_PKT2_PKT3_PKS2_S2_S3_PS4_PS7_PS2_.has_dyn_sized_stack, 0
	.set _ZN9rocsparseL35bsr2csr_block_per_row_33_256_kernelILj1024ELj128ELj32EillEEv20rocsparse_direction_T4_S2_21rocsparse_index_base_PKT2_PKT3_PKS2_S2_S3_PS4_PS7_PS2_.has_recursion, 0
	.set _ZN9rocsparseL35bsr2csr_block_per_row_33_256_kernelILj1024ELj128ELj32EillEEv20rocsparse_direction_T4_S2_21rocsparse_index_base_PKT2_PKT3_PKS2_S2_S3_PS4_PS7_PS2_.has_indirect_call, 0
	.section	.AMDGPU.csdata,"",@progbits
; Kernel info:
; codeLenInByte = 4652
; TotalNumSgprs: 53
; NumVgprs: 45
; ScratchSize: 0
; MemoryBound: 0
; FloatMode: 240
; IeeeMode: 1
; LDSByteSize: 0 bytes/workgroup (compile time only)
; SGPRBlocks: 0
; VGPRBlocks: 5
; NumSGPRsForWavesPerEU: 53
; NumVGPRsForWavesPerEU: 45
; Occupancy: 16
; WaveLimiterHint : 1
; COMPUTE_PGM_RSRC2:SCRATCH_EN: 0
; COMPUTE_PGM_RSRC2:USER_SGPR: 6
; COMPUTE_PGM_RSRC2:TRAP_HANDLER: 0
; COMPUTE_PGM_RSRC2:TGID_X_EN: 1
; COMPUTE_PGM_RSRC2:TGID_Y_EN: 0
; COMPUTE_PGM_RSRC2:TGID_Z_EN: 0
; COMPUTE_PGM_RSRC2:TIDIG_COMP_CNT: 0
	.section	.text._ZN9rocsparseL35bsr2csr_block_per_row_33_256_kernelILj1024ELj256ELj32EillEEv20rocsparse_direction_T4_S2_21rocsparse_index_base_PKT2_PKT3_PKS2_S2_S3_PS4_PS7_PS2_,"axG",@progbits,_ZN9rocsparseL35bsr2csr_block_per_row_33_256_kernelILj1024ELj256ELj32EillEEv20rocsparse_direction_T4_S2_21rocsparse_index_base_PKT2_PKT3_PKS2_S2_S3_PS4_PS7_PS2_,comdat
	.globl	_ZN9rocsparseL35bsr2csr_block_per_row_33_256_kernelILj1024ELj256ELj32EillEEv20rocsparse_direction_T4_S2_21rocsparse_index_base_PKT2_PKT3_PKS2_S2_S3_PS4_PS7_PS2_ ; -- Begin function _ZN9rocsparseL35bsr2csr_block_per_row_33_256_kernelILj1024ELj256ELj32EillEEv20rocsparse_direction_T4_S2_21rocsparse_index_base_PKT2_PKT3_PKS2_S2_S3_PS4_PS7_PS2_
	.p2align	8
	.type	_ZN9rocsparseL35bsr2csr_block_per_row_33_256_kernelILj1024ELj256ELj32EillEEv20rocsparse_direction_T4_S2_21rocsparse_index_base_PKT2_PKT3_PKS2_S2_S3_PS4_PS7_PS2_,@function
_ZN9rocsparseL35bsr2csr_block_per_row_33_256_kernelILj1024ELj256ELj32EillEEv20rocsparse_direction_T4_S2_21rocsparse_index_base_PKT2_PKT3_PKS2_S2_S3_PS4_PS7_PS2_: ; @_ZN9rocsparseL35bsr2csr_block_per_row_33_256_kernelILj1024ELj256ELj32EillEEv20rocsparse_direction_T4_S2_21rocsparse_index_base_PKT2_PKT3_PKS2_S2_S3_PS4_PS7_PS2_
; %bb.0:
	s_load_dwordx2 s[0:1], s[4:5], 0x28
	s_mov_b32 s19, 0
	s_clause 0x1
	s_load_dword s18, s[4:5], 0x40
	s_load_dwordx2 s[2:3], s[4:5], 0x50
	s_mov_b32 s7, s19
	v_or_b32_e32 v1, s6, v0
	s_lshl_b64 s[8:9], s[6:7], 3
	s_waitcnt lgkmcnt(0)
	s_add_u32 s0, s0, s8
	s_addc_u32 s1, s1, s9
	s_load_dwordx4 s[12:15], s[0:1], 0x0
	s_mov_b32 s0, exec_lo
	v_cmpx_eq_u32_e32 0, v1
	s_cbranch_execz .LBB51_2
; %bb.1:
	v_mov_b32_e32 v1, s18
	v_mov_b32_e32 v3, 0
	;; [unrolled: 1-line block ×3, first 2 shown]
	global_store_dwordx2 v3, v[1:2], s[2:3]
.LBB51_2:
	s_or_b32 exec_lo, exec_lo, s0
	s_clause 0x1
	s_load_dword s19, s[4:5], 0x18
	s_load_dwordx2 s[20:21], s[4:5], 0x38
	v_mov_b32_e32 v2, 0
	v_lshrrev_b32_e32 v1, 5, v0
	v_lshlrev_b32_e32 v5, 3, v1
	s_waitcnt lgkmcnt(0)
	s_sub_u32 s22, s12, s19
	s_subb_u32 s23, s13, 0
	s_mul_hi_u32 s0, s20, s22
	s_mul_i32 s10, s20, s23
	s_sub_u32 s24, s14, s19
	s_mul_i32 s8, s21, s22
	s_mul_i32 s9, s20, s22
	s_subb_u32 s25, s15, 0
	s_add_i32 s0, s0, s10
	s_mul_i32 s11, s9, s21
	s_mul_hi_u32 s10, s9, s20
	s_add_i32 s0, s0, s8
	s_add_i32 s8, s10, s11
	s_mul_i32 s0, s0, s20
	s_mul_i32 s9, s9, s20
	s_add_i32 s8, s8, s0
	s_sub_u32 s40, s24, s22
	s_subb_u32 s41, s25, s23
	s_mul_i32 s0, s40, s21
	s_mul_hi_u32 s10, s40, s20
	s_mul_i32 s16, s41, s20
	s_add_i32 s0, s10, s0
	s_mul_i32 s11, s40, s20
	s_add_i32 s0, s0, s16
	s_add_u32 s9, s9, s18
	s_mul_i32 s1, s21, s6
	s_mul_hi_u32 s7, s20, s6
	s_addc_u32 s8, s8, 0
	s_add_u32 s16, s9, s11
	s_mul_i32 s6, s20, s6
	s_addc_u32 s17, s8, s0
	s_add_i32 s7, s7, s1
	v_cmp_gt_i64_e64 s1, s[20:21], v[1:2]
	s_lshl_b64 s[6:7], s[6:7], 3
	s_add_u32 s26, s2, s6
	s_addc_u32 s27, s3, s7
	s_and_saveexec_b32 s2, s1
	s_cbranch_execz .LBB51_4
; %bb.3:
	v_mad_u64_u32 v[3:4], null, v1, s11, s[16:17]
	v_mad_u64_u32 v[6:7], null, v1, s0, v[4:5]
	v_mov_b32_e32 v4, v6
	global_store_dwordx2 v5, v[3:4], s[26:27] offset:8
.LBB51_4:
	s_or_b32 exec_lo, exec_lo, s2
	v_or_b32_e32 v3, 32, v1
	v_mov_b32_e32 v4, v2
	v_cmp_gt_i64_e64 s2, s[20:21], v[3:4]
	s_and_saveexec_b32 s3, s2
	s_cbranch_execz .LBB51_6
; %bb.5:
	v_mad_u64_u32 v[6:7], null, v3, s11, s[16:17]
	v_mov_b32_e32 v4, v7
	v_mad_u64_u32 v[3:4], null, v3, s0, v[4:5]
	v_mov_b32_e32 v7, v3
	global_store_dwordx2 v5, v[6:7], s[26:27] offset:264
.LBB51_6:
	s_or_b32 exec_lo, exec_lo, s3
	v_or_b32_e32 v3, 64, v1
	v_mov_b32_e32 v4, v2
	v_cmp_gt_i64_e64 s3, s[20:21], v[3:4]
	s_and_saveexec_b32 s6, s3
	s_cbranch_execz .LBB51_8
; %bb.7:
	v_mad_u64_u32 v[6:7], null, v3, s11, s[16:17]
	v_mov_b32_e32 v4, v7
	v_mad_u64_u32 v[3:4], null, v3, s0, v[4:5]
	v_mov_b32_e32 v7, v3
	global_store_dwordx2 v5, v[6:7], s[26:27] offset:520
.LBB51_8:
	;; [unrolled: 13-line block ×7, first 2 shown]
	s_or_b32 exec_lo, exec_lo, s28
	v_cmp_lt_i64_e64 s0, s[12:13], s[14:15]
	s_and_b32 vcc_lo, exec_lo, s0
	s_cbranch_vccz .LBB51_149
; %bb.19:
	s_clause 0x2
	s_load_dwordx2 s[26:27], s[4:5], 0x30
	s_load_dwordx2 s[28:29], s[4:5], 0x48
	s_load_dword s0, s[4:5], 0x0
	v_and_b32_e32 v2, 31, v0
	s_mul_i32 s11, s20, s21
	s_mul_hi_u32 s12, s20, s20
	v_mov_b32_e32 v3, 0
	s_add_i32 s12, s12, s11
	v_mad_u64_u32 v[15:16], null, v2, s20, 0
	s_add_i32 s17, s12, s11
	s_mul_i32 s33, s20, s20
	s_clause 0x1
	s_load_dwordx2 s[30:31], s[4:5], 0x20
	s_load_dwordx2 s[34:35], s[4:5], 0x58
	s_mul_i32 s4, s22, s17
	s_mul_hi_u32 s5, s22, s33
	v_mov_b32_e32 v0, v16
	v_or_b32_e32 v4, 32, v2
	v_mov_b32_e32 v5, v3
	s_add_i32 s4, s5, s4
	s_mul_i32 s5, s23, s33
	v_mad_u64_u32 v[7:8], null, v2, s21, v[0:1]
	s_add_i32 s37, s4, s5
	s_waitcnt lgkmcnt(0)
	s_cmp_eq_u32 s0, 0
	v_cmp_gt_i64_e64 s4, s[20:21], v[4:5]
	v_or_b32_e32 v5, 64, v2
	v_mov_b32_e32 v6, v3
	s_cselect_b32 s0, -1, 0
	s_lshl_b64 s[38:39], s[20:21], 5
	v_mov_b32_e32 v16, v7
	v_add_co_u32 v17, s5, v15, s38
	v_add_co_ci_u32_e64 v18, null, s39, v7, s5
	v_cmp_gt_i64_e64 s5, s[20:21], v[5:6]
	v_or_b32_e32 v6, 0x60, v2
	v_mov_b32_e32 v7, v3
	v_add_co_u32 v19, s11, v17, s38
	v_add_co_ci_u32_e64 v20, null, s39, v18, s11
	v_cmp_gt_i64_e64 s11, s[20:21], v[6:7]
	v_or_b32_e32 v7, 0x80, v2
	;; [unrolled: 5-line block ×3, first 2 shown]
	v_mov_b32_e32 v9, v3
	v_mad_u64_u32 v[11:12], null, v1, s40, 0
	v_mad_u64_u32 v[25:26], null, v1, s20, 0
	v_add_co_u32 v23, s13, v21, s38
	v_add_co_ci_u32_e64 v24, null, s39, v22, s13
	v_cmp_gt_i64_e64 s13, s[20:21], v[8:9]
	v_or_b32_e32 v9, 0xc0, v2
	v_mov_b32_e32 v10, v3
	v_add_co_u32 v27, s14, v23, s38
	v_mov_b32_e32 v0, v12
	v_add_co_ci_u32_e64 v28, null, s39, v24, s14
	v_cmp_gt_i64_e64 s14, s[20:21], v[9:10]
	v_mov_b32_e32 v10, v26
	v_or_b32_e32 v12, 0xe0, v2
	v_mov_b32_e32 v13, v3
	v_mad_u64_u32 v[29:30], null, v1, s41, v[0:1]
	v_mad_u64_u32 v[30:31], null, v1, s21, v[10:11]
	v_add_co_u32 v31, s15, v27, s38
	v_cmp_gt_i64_e32 vcc_lo, s[20:21], v[2:3]
	v_add_co_ci_u32_e64 v32, null, s39, v28, s15
	v_cmp_gt_i64_e64 s15, s[20:21], v[12:13]
	v_add_co_u32 v33, s16, v31, s38
	s_lshl_b64 s[92:93], s[40:41], 5
	v_add_co_ci_u32_e64 v34, null, s39, v32, s16
	s_and_b32 s16, s1, vcc_lo
	s_and_b32 s42, s1, s4
	s_and_b32 s43, s1, s5
	s_and_b32 s44, s1, s11
	s_and_b32 s45, s1, s12
	s_and_b32 s46, s1, s13
	s_and_b32 s47, s1, s14
	s_and_b32 s48, s1, s15
	v_add_co_u32 v3, s1, v11, s92
	v_add_co_ci_u32_e64 v10, null, s93, v29, s1
	v_mov_b32_e32 v26, v30
	v_add_co_u32 v49, s1, v3, s92
	v_add_co_ci_u32_e64 v50, null, s93, v10, s1
	v_mov_b32_e32 v0, v29
	v_add_co_u32 v51, s1, v49, s92
	v_add_co_ci_u32_e64 v52, null, s93, v50, s1
	v_lshlrev_b64 v[13:14], 2, v[25:26]
	v_add_co_u32 v53, s1, v51, s92
	v_add_co_ci_u32_e64 v54, null, s93, v52, s1
	v_lshlrev_b64 v[15:16], 2, v[15:16]
	;; [unrolled: 3-line block ×4, first 2 shown]
	v_add_co_u32 v59, s1, v57, s92
	v_lshlrev_b64 v[21:22], 2, v[21:22]
	v_lshlrev_b64 v[23:24], 2, v[23:24]
	;; [unrolled: 1-line block ×5, first 2 shown]
	v_add_co_ci_u32_e64 v60, null, s93, v58, s1
	s_mul_i32 s36, s22, s33
	s_and_b32 s40, s2, vcc_lo
	s_and_b32 s41, s2, s4
	s_and_b32 s49, s2, s5
	s_and_b32 s50, s2, s11
	s_and_b32 s51, s2, s12
	s_and_b32 s52, s2, s13
	s_and_b32 s53, s2, s14
	s_and_b32 s54, s2, s15
	s_and_b32 s55, s3, vcc_lo
	s_and_b32 s56, s3, s4
	s_and_b32 s57, s3, s5
	s_and_b32 s58, s3, s11
	s_and_b32 s59, s3, s12
	s_and_b32 s60, s3, s13
	s_and_b32 s61, s3, s14
	s_and_b32 s62, s3, s15
	;; [unrolled: 8-line block ×7, first 2 shown]
	s_mov_b64 s[2:3], s[22:23]
	s_branch .LBB51_21
.LBB51_20:                              ;   in Loop: Header=BB51_21 Depth=1
	s_or_b32 exec_lo, exec_lo, s4
	s_add_u32 s2, s2, 1
	s_addc_u32 s3, s3, 0
	v_cmp_ge_i64_e64 s4, s[2:3], s[24:25]
	s_and_b32 vcc_lo, exec_lo, s4
	s_cbranch_vccnz .LBB51_149
.LBB51_21:                              ; =>This Inner Loop Header: Depth=1
	s_lshl_b64 s[4:5], s[2:3], 3
	s_mul_i32 s95, s2, s17
	s_add_u32 s4, s26, s4
	s_addc_u32 s5, s27, s5
	s_mul_hi_u32 s96, s2, s33
	s_load_dwordx2 s[4:5], s[4:5], 0x0
	s_mul_i32 s97, s3, s33
	s_mul_i32 s94, s2, s33
	v_lshlrev_b32_e32 v33, 2, v1
	v_lshlrev_b32_e32 v63, 2, v2
	s_waitcnt lgkmcnt(0)
	s_sub_u32 s4, s4, s19
	s_subb_u32 s5, s5, 0
	s_sub_u32 s15, s2, s22
	s_mul_i32 s98, s4, s21
	s_mul_hi_u32 s99, s4, s20
	s_subb_u32 s93, s3, s23
	v_add_co_u32 v31, vcc_lo, v11, s15
	s_mul_i32 s5, s5, s20
	s_add_i32 s98, s99, s98
	s_mul_i32 s4, s4, s20
	v_add_co_ci_u32_e64 v32, null, s93, v0, vcc_lo
	s_add_i32 s98, s98, s5
	s_add_u32 s4, s4, s18
	s_addc_u32 s5, s98, 0
	s_add_i32 s95, s96, s95
	v_mul_lo_u32 v34, v31, s21
	v_mad_u64_u32 v[47:48], null, v31, s20, s[36:37]
	s_add_i32 s95, s95, s97
	v_mul_lo_u32 v35, v32, s20
	s_lshl_b64 s[94:95], s[94:95], 2
	v_add_co_u32 v31, s96, s4, v2
	s_add_u32 s94, s30, s94
	v_add_co_ci_u32_e64 v32, null, s5, 0, s96
	s_addc_u32 s95, s31, s95
	v_add_co_u32 v61, s96, s94, v33
	v_add_co_u32 v64, vcc_lo, s94, v13
	v_add_co_ci_u32_e64 v62, null, s95, 0, s96
	v_add3_u32 v48, v35, v48, v34
	v_add_co_ci_u32_e64 v65, null, s95, v14, vcc_lo
	s_and_saveexec_b32 s94, s16
	s_cbranch_execz .LBB51_23
; %bb.22:                               ;   in Loop: Header=BB51_21 Depth=1
	v_add_co_u32 v33, vcc_lo, v64, v63
	v_add_co_ci_u32_e64 v34, null, 0, v65, vcc_lo
	v_add_co_u32 v35, vcc_lo, v61, v15
	v_add_co_ci_u32_e64 v36, null, v62, v16, vcc_lo
	v_cndmask_b32_e64 v33, v35, v33, s0
	v_cndmask_b32_e64 v34, v36, v34, s0
	global_load_dword v37, v[33:34], off
	v_add_co_u32 v33, vcc_lo, v47, v2
	v_add_co_ci_u32_e64 v34, null, 0, v48, vcc_lo
	v_lshlrev_b64 v[35:36], 3, v[33:34]
	v_lshlrev_b64 v[33:34], 2, v[33:34]
	v_add_co_u32 v35, vcc_lo, s34, v35
	v_add_co_ci_u32_e64 v36, null, s35, v36, vcc_lo
	v_add_co_u32 v33, vcc_lo, s28, v33
	v_add_co_ci_u32_e64 v34, null, s29, v34, vcc_lo
	global_store_dwordx2 v[35:36], v[31:32], off
	s_waitcnt vmcnt(0)
	global_store_dword v[33:34], v37, off
.LBB51_23:                              ;   in Loop: Header=BB51_21 Depth=1
	s_or_b32 exec_lo, exec_lo, s94
	v_add_co_u32 v33, s94, s4, v4
	v_add_co_ci_u32_e64 v34, null, s5, 0, s94
	s_and_saveexec_b32 s94, s42
	s_cbranch_execz .LBB51_25
; %bb.24:                               ;   in Loop: Header=BB51_21 Depth=1
	v_add_co_u32 v35, vcc_lo, v64, v63
	v_add_co_ci_u32_e64 v36, null, 0, v65, vcc_lo
	v_add_co_u32 v35, vcc_lo, 0x80, v35
	v_add_co_ci_u32_e64 v36, null, 0, v36, vcc_lo
	v_add_co_u32 v37, vcc_lo, v61, v17
	v_add_co_ci_u32_e64 v38, null, v62, v18, vcc_lo
	v_cndmask_b32_e64 v35, v37, v35, s0
	v_cndmask_b32_e64 v36, v38, v36, s0
	global_load_dword v39, v[35:36], off
	v_add_co_u32 v35, vcc_lo, v47, v2
	v_add_co_ci_u32_e64 v36, null, 0, v48, vcc_lo
	v_lshlrev_b64 v[37:38], 3, v[35:36]
	v_lshlrev_b64 v[35:36], 2, v[35:36]
	v_add_co_u32 v37, vcc_lo, s34, v37
	v_add_co_ci_u32_e64 v38, null, s35, v38, vcc_lo
	v_add_co_u32 v35, vcc_lo, s28, v35
	v_add_co_ci_u32_e64 v36, null, s29, v36, vcc_lo
	global_store_dwordx2 v[37:38], v[33:34], off offset:256
	s_waitcnt vmcnt(0)
	global_store_dword v[35:36], v39, off offset:128
.LBB51_25:                              ;   in Loop: Header=BB51_21 Depth=1
	s_or_b32 exec_lo, exec_lo, s94
	v_add_co_u32 v35, s94, s4, v5
	v_add_co_ci_u32_e64 v36, null, s5, 0, s94
	s_and_saveexec_b32 s94, s43
	s_cbranch_execz .LBB51_27
; %bb.26:                               ;   in Loop: Header=BB51_21 Depth=1
	v_add_co_u32 v37, vcc_lo, v64, v63
	v_add_co_ci_u32_e64 v38, null, 0, v65, vcc_lo
	v_add_co_u32 v37, vcc_lo, 0x100, v37
	v_add_co_ci_u32_e64 v38, null, 0, v38, vcc_lo
	v_add_co_u32 v39, vcc_lo, v61, v19
	v_add_co_ci_u32_e64 v40, null, v62, v20, vcc_lo
	v_cndmask_b32_e64 v37, v39, v37, s0
	v_cndmask_b32_e64 v38, v40, v38, s0
	global_load_dword v41, v[37:38], off
	v_add_co_u32 v37, vcc_lo, v47, v2
	v_add_co_ci_u32_e64 v38, null, 0, v48, vcc_lo
	v_lshlrev_b64 v[39:40], 3, v[37:38]
	v_lshlrev_b64 v[37:38], 2, v[37:38]
	v_add_co_u32 v39, vcc_lo, s34, v39
	v_add_co_ci_u32_e64 v40, null, s35, v40, vcc_lo
	v_add_co_u32 v37, vcc_lo, s28, v37
	v_add_co_ci_u32_e64 v38, null, s29, v38, vcc_lo
	global_store_dwordx2 v[39:40], v[35:36], off offset:512
	s_waitcnt vmcnt(0)
	global_store_dword v[37:38], v41, off offset:256
.LBB51_27:                              ;   in Loop: Header=BB51_21 Depth=1
	s_or_b32 exec_lo, exec_lo, s94
	v_add_co_u32 v37, s94, s4, v6
	v_add_co_ci_u32_e64 v38, null, s5, 0, s94
	s_and_saveexec_b32 s94, s44
	s_cbranch_execz .LBB51_29
; %bb.28:                               ;   in Loop: Header=BB51_21 Depth=1
	v_add_co_u32 v39, vcc_lo, v64, v63
	v_add_co_ci_u32_e64 v40, null, 0, v65, vcc_lo
	v_add_co_u32 v39, vcc_lo, 0x180, v39
	v_add_co_ci_u32_e64 v40, null, 0, v40, vcc_lo
	v_add_co_u32 v41, vcc_lo, v61, v21
	v_add_co_ci_u32_e64 v42, null, v62, v22, vcc_lo
	v_cndmask_b32_e64 v39, v41, v39, s0
	v_cndmask_b32_e64 v40, v42, v40, s0
	global_load_dword v43, v[39:40], off
	v_add_co_u32 v39, vcc_lo, v47, v2
	v_add_co_ci_u32_e64 v40, null, 0, v48, vcc_lo
	v_lshlrev_b64 v[41:42], 3, v[39:40]
	v_lshlrev_b64 v[39:40], 2, v[39:40]
	v_add_co_u32 v41, vcc_lo, s34, v41
	v_add_co_ci_u32_e64 v42, null, s35, v42, vcc_lo
	v_add_co_u32 v39, vcc_lo, s28, v39
	v_add_co_ci_u32_e64 v40, null, s29, v40, vcc_lo
	global_store_dwordx2 v[41:42], v[37:38], off offset:768
	s_waitcnt vmcnt(0)
	global_store_dword v[39:40], v43, off offset:384
.LBB51_29:                              ;   in Loop: Header=BB51_21 Depth=1
	s_or_b32 exec_lo, exec_lo, s94
	v_add_co_u32 v39, s94, s4, v7
	v_add_co_ci_u32_e64 v40, null, s5, 0, s94
	s_and_saveexec_b32 s94, s45
	s_cbranch_execz .LBB51_31
; %bb.30:                               ;   in Loop: Header=BB51_21 Depth=1
	v_add_co_u32 v41, vcc_lo, v64, v63
	v_add_co_ci_u32_e64 v42, null, 0, v65, vcc_lo
	v_add_co_u32 v41, vcc_lo, 0x200, v41
	v_add_co_ci_u32_e64 v42, null, 0, v42, vcc_lo
	v_add_co_u32 v43, vcc_lo, v61, v23
	v_add_co_ci_u32_e64 v44, null, v62, v24, vcc_lo
	v_cndmask_b32_e64 v41, v43, v41, s0
	v_cndmask_b32_e64 v42, v44, v42, s0
	global_load_dword v45, v[41:42], off
	v_add_co_u32 v41, vcc_lo, v47, v2
	v_add_co_ci_u32_e64 v42, null, 0, v48, vcc_lo
	v_lshlrev_b64 v[43:44], 3, v[41:42]
	v_lshlrev_b64 v[41:42], 2, v[41:42]
	v_add_co_u32 v43, vcc_lo, s34, v43
	v_add_co_ci_u32_e64 v44, null, s35, v44, vcc_lo
	v_add_co_u32 v41, vcc_lo, s28, v41
	v_add_co_ci_u32_e64 v42, null, s29, v42, vcc_lo
	global_store_dwordx2 v[43:44], v[39:40], off offset:1024
	s_waitcnt vmcnt(0)
	global_store_dword v[41:42], v45, off offset:512
.LBB51_31:                              ;   in Loop: Header=BB51_21 Depth=1
	s_or_b32 exec_lo, exec_lo, s94
	v_add_co_u32 v41, s94, s4, v8
	v_add_co_ci_u32_e64 v42, null, s5, 0, s94
	s_and_saveexec_b32 s94, s46
	s_cbranch_execz .LBB51_33
; %bb.32:                               ;   in Loop: Header=BB51_21 Depth=1
	v_add_co_u32 v43, vcc_lo, v64, v63
	v_add_co_ci_u32_e64 v44, null, 0, v65, vcc_lo
	v_add_co_u32 v43, vcc_lo, 0x280, v43
	v_add_co_ci_u32_e64 v44, null, 0, v44, vcc_lo
	v_add_co_u32 v45, vcc_lo, v61, v25
	v_add_co_ci_u32_e64 v46, null, v62, v26, vcc_lo
	v_cndmask_b32_e64 v43, v45, v43, s0
	v_cndmask_b32_e64 v44, v46, v44, s0
	global_load_dword v66, v[43:44], off
	v_add_co_u32 v43, vcc_lo, v47, v2
	v_add_co_ci_u32_e64 v44, null, 0, v48, vcc_lo
	v_lshlrev_b64 v[45:46], 3, v[43:44]
	v_lshlrev_b64 v[43:44], 2, v[43:44]
	v_add_co_u32 v45, vcc_lo, s34, v45
	v_add_co_ci_u32_e64 v46, null, s35, v46, vcc_lo
	v_add_co_u32 v43, vcc_lo, s28, v43
	v_add_co_ci_u32_e64 v44, null, s29, v44, vcc_lo
	global_store_dwordx2 v[45:46], v[41:42], off offset:1280
	s_waitcnt vmcnt(0)
	global_store_dword v[43:44], v66, off offset:640
.LBB51_33:                              ;   in Loop: Header=BB51_21 Depth=1
	s_or_b32 exec_lo, exec_lo, s94
	v_add_co_u32 v43, s94, s4, v9
	v_add_co_ci_u32_e64 v44, null, s5, 0, s94
	s_and_saveexec_b32 s94, s47
	s_cbranch_execz .LBB51_35
; %bb.34:                               ;   in Loop: Header=BB51_21 Depth=1
	v_add_co_u32 v45, vcc_lo, v64, v63
	v_add_co_ci_u32_e64 v46, null, 0, v65, vcc_lo
	v_add_co_u32 v45, vcc_lo, 0x300, v45
	v_add_co_ci_u32_e64 v46, null, 0, v46, vcc_lo
	v_add_co_u32 v66, vcc_lo, v61, v27
	v_add_co_ci_u32_e64 v67, null, v62, v28, vcc_lo
	v_cndmask_b32_e64 v45, v66, v45, s0
	v_cndmask_b32_e64 v46, v67, v46, s0
	global_load_dword v68, v[45:46], off
	v_add_co_u32 v45, vcc_lo, v47, v2
	v_add_co_ci_u32_e64 v46, null, 0, v48, vcc_lo
	v_lshlrev_b64 v[66:67], 3, v[45:46]
	v_lshlrev_b64 v[45:46], 2, v[45:46]
	v_add_co_u32 v66, vcc_lo, s34, v66
	v_add_co_ci_u32_e64 v67, null, s35, v67, vcc_lo
	v_add_co_u32 v45, vcc_lo, s28, v45
	v_add_co_ci_u32_e64 v46, null, s29, v46, vcc_lo
	global_store_dwordx2 v[66:67], v[43:44], off offset:1536
	s_waitcnt vmcnt(0)
	global_store_dword v[45:46], v68, off offset:768
.LBB51_35:                              ;   in Loop: Header=BB51_21 Depth=1
	s_or_b32 exec_lo, exec_lo, s94
	v_add_co_u32 v45, s4, s4, v12
	v_add_co_ci_u32_e64 v46, null, s5, 0, s4
	s_and_saveexec_b32 s4, s48
	s_cbranch_execz .LBB51_37
; %bb.36:                               ;   in Loop: Header=BB51_21 Depth=1
	v_add_co_u32 v66, vcc_lo, v64, v63
	v_add_co_ci_u32_e64 v67, null, 0, v65, vcc_lo
	v_add_co_u32 v66, vcc_lo, 0x380, v66
	v_add_co_ci_u32_e64 v67, null, 0, v67, vcc_lo
	;; [unrolled: 2-line block ×3, first 2 shown]
	v_add_co_u32 v47, vcc_lo, v47, v2
	v_cndmask_b32_e64 v66, v68, v66, s0
	v_cndmask_b32_e64 v67, v69, v67, s0
	v_add_co_ci_u32_e64 v48, null, 0, v48, vcc_lo
	global_load_dword v68, v[66:67], off
	v_lshlrev_b64 v[66:67], 3, v[47:48]
	v_lshlrev_b64 v[47:48], 2, v[47:48]
	v_add_co_u32 v66, vcc_lo, s34, v66
	v_add_co_ci_u32_e64 v67, null, s35, v67, vcc_lo
	v_add_co_u32 v47, vcc_lo, s28, v47
	v_add_co_ci_u32_e64 v48, null, s29, v48, vcc_lo
	global_store_dwordx2 v[66:67], v[45:46], off offset:1792
	s_waitcnt vmcnt(0)
	global_store_dword v[47:48], v68, off offset:896
.LBB51_37:                              ;   in Loop: Header=BB51_21 Depth=1
	s_or_b32 exec_lo, exec_lo, s4
	v_add_co_u32 v47, vcc_lo, v3, s15
	v_add_co_ci_u32_e64 v48, null, s93, v10, vcc_lo
	s_lshl_b64 s[4:5], s[38:39], 2
	v_mul_lo_u32 v66, v47, s21
	v_add_co_u32 v64, vcc_lo, v64, s4
	v_mul_lo_u32 v67, v48, s20
	v_mad_u64_u32 v[47:48], null, v47, s20, s[36:37]
	v_add_co_ci_u32_e64 v65, null, s5, v65, vcc_lo
	v_add3_u32 v48, v67, v48, v66
	s_and_saveexec_b32 s94, s40
	s_cbranch_execnz .LBB51_99
; %bb.38:                               ;   in Loop: Header=BB51_21 Depth=1
	s_or_b32 exec_lo, exec_lo, s94
	s_and_saveexec_b32 s94, s41
	s_cbranch_execnz .LBB51_100
.LBB51_39:                              ;   in Loop: Header=BB51_21 Depth=1
	s_or_b32 exec_lo, exec_lo, s94
	s_and_saveexec_b32 s94, s49
	s_cbranch_execnz .LBB51_101
.LBB51_40:                              ;   in Loop: Header=BB51_21 Depth=1
	s_or_b32 exec_lo, exec_lo, s94
	s_and_saveexec_b32 s94, s50
	s_cbranch_execnz .LBB51_102
.LBB51_41:                              ;   in Loop: Header=BB51_21 Depth=1
	s_or_b32 exec_lo, exec_lo, s94
	s_and_saveexec_b32 s94, s51
	s_cbranch_execnz .LBB51_103
.LBB51_42:                              ;   in Loop: Header=BB51_21 Depth=1
	s_or_b32 exec_lo, exec_lo, s94
	s_and_saveexec_b32 s94, s52
	s_cbranch_execnz .LBB51_104
.LBB51_43:                              ;   in Loop: Header=BB51_21 Depth=1
	s_or_b32 exec_lo, exec_lo, s94
	s_and_saveexec_b32 s94, s53
	s_cbranch_execnz .LBB51_105
.LBB51_44:                              ;   in Loop: Header=BB51_21 Depth=1
	s_or_b32 exec_lo, exec_lo, s94
	s_and_saveexec_b32 s94, s54
	s_cbranch_execz .LBB51_46
.LBB51_45:                              ;   in Loop: Header=BB51_21 Depth=1
	v_add_co_u32 v66, vcc_lo, v64, v63
	v_add_co_ci_u32_e64 v67, null, 0, v65, vcc_lo
	v_add_co_u32 v68, vcc_lo, v61, v29
	v_add_co_ci_u32_e64 v69, null, v62, v30, vcc_lo
	;; [unrolled: 2-line block ×4, first 2 shown]
	v_add_co_u32 v47, vcc_lo, v47, v2
	v_cndmask_b32_e64 v66, v68, v66, s0
	v_cndmask_b32_e64 v67, v69, v67, s0
	v_add_co_ci_u32_e64 v48, null, 0, v48, vcc_lo
	global_load_dword v68, v[66:67], off
	v_lshlrev_b64 v[66:67], 3, v[47:48]
	v_lshlrev_b64 v[47:48], 2, v[47:48]
	v_add_co_u32 v66, vcc_lo, s34, v66
	v_add_co_ci_u32_e64 v67, null, s35, v67, vcc_lo
	v_add_co_u32 v47, vcc_lo, s28, v47
	v_add_co_ci_u32_e64 v48, null, s29, v48, vcc_lo
	global_store_dwordx2 v[66:67], v[45:46], off offset:1792
	s_waitcnt vmcnt(0)
	global_store_dword v[47:48], v68, off offset:896
.LBB51_46:                              ;   in Loop: Header=BB51_21 Depth=1
	s_or_b32 exec_lo, exec_lo, s94
	v_add_co_u32 v47, vcc_lo, v49, s15
	v_add_co_ci_u32_e64 v48, null, s93, v50, vcc_lo
	v_add_co_u32 v64, vcc_lo, v64, s4
	v_mul_lo_u32 v66, v47, s21
	v_mul_lo_u32 v67, v48, s20
	v_mad_u64_u32 v[47:48], null, v47, s20, s[36:37]
	v_add_co_ci_u32_e64 v65, null, s5, v65, vcc_lo
	v_add3_u32 v48, v67, v48, v66
	s_and_saveexec_b32 s94, s55
	s_cbranch_execnz .LBB51_106
; %bb.47:                               ;   in Loop: Header=BB51_21 Depth=1
	s_or_b32 exec_lo, exec_lo, s94
	s_and_saveexec_b32 s94, s56
	s_cbranch_execnz .LBB51_107
.LBB51_48:                              ;   in Loop: Header=BB51_21 Depth=1
	s_or_b32 exec_lo, exec_lo, s94
	s_and_saveexec_b32 s94, s57
	s_cbranch_execnz .LBB51_108
.LBB51_49:                              ;   in Loop: Header=BB51_21 Depth=1
	s_or_b32 exec_lo, exec_lo, s94
	s_and_saveexec_b32 s94, s58
	s_cbranch_execnz .LBB51_109
.LBB51_50:                              ;   in Loop: Header=BB51_21 Depth=1
	s_or_b32 exec_lo, exec_lo, s94
	s_and_saveexec_b32 s94, s59
	s_cbranch_execnz .LBB51_110
.LBB51_51:                              ;   in Loop: Header=BB51_21 Depth=1
	s_or_b32 exec_lo, exec_lo, s94
	s_and_saveexec_b32 s94, s60
	s_cbranch_execnz .LBB51_111
.LBB51_52:                              ;   in Loop: Header=BB51_21 Depth=1
	s_or_b32 exec_lo, exec_lo, s94
	s_and_saveexec_b32 s94, s61
	s_cbranch_execnz .LBB51_112
.LBB51_53:                              ;   in Loop: Header=BB51_21 Depth=1
	s_or_b32 exec_lo, exec_lo, s94
	s_and_saveexec_b32 s94, s62
	s_cbranch_execz .LBB51_55
.LBB51_54:                              ;   in Loop: Header=BB51_21 Depth=1
	v_add_co_u32 v66, vcc_lo, v64, v63
	v_add_co_ci_u32_e64 v67, null, 0, v65, vcc_lo
	v_add_co_u32 v68, vcc_lo, v61, v29
	v_add_co_ci_u32_e64 v69, null, v62, v30, vcc_lo
	;; [unrolled: 2-line block ×4, first 2 shown]
	v_add_co_u32 v47, vcc_lo, v47, v2
	v_cndmask_b32_e64 v66, v68, v66, s0
	v_cndmask_b32_e64 v67, v69, v67, s0
	v_add_co_ci_u32_e64 v48, null, 0, v48, vcc_lo
	global_load_dword v68, v[66:67], off
	v_lshlrev_b64 v[66:67], 3, v[47:48]
	v_lshlrev_b64 v[47:48], 2, v[47:48]
	v_add_co_u32 v66, vcc_lo, s34, v66
	v_add_co_ci_u32_e64 v67, null, s35, v67, vcc_lo
	v_add_co_u32 v47, vcc_lo, s28, v47
	v_add_co_ci_u32_e64 v48, null, s29, v48, vcc_lo
	global_store_dwordx2 v[66:67], v[45:46], off offset:1792
	s_waitcnt vmcnt(0)
	global_store_dword v[47:48], v68, off offset:896
.LBB51_55:                              ;   in Loop: Header=BB51_21 Depth=1
	s_or_b32 exec_lo, exec_lo, s94
	v_add_co_u32 v47, vcc_lo, v51, s15
	v_add_co_ci_u32_e64 v48, null, s93, v52, vcc_lo
	v_add_co_u32 v64, vcc_lo, v64, s4
	v_mul_lo_u32 v66, v47, s21
	v_mul_lo_u32 v67, v48, s20
	v_mad_u64_u32 v[47:48], null, v47, s20, s[36:37]
	v_add_co_ci_u32_e64 v65, null, s5, v65, vcc_lo
	v_add3_u32 v48, v67, v48, v66
	s_and_saveexec_b32 s94, s63
	s_cbranch_execnz .LBB51_113
; %bb.56:                               ;   in Loop: Header=BB51_21 Depth=1
	s_or_b32 exec_lo, exec_lo, s94
	s_and_saveexec_b32 s94, s64
	s_cbranch_execnz .LBB51_114
.LBB51_57:                              ;   in Loop: Header=BB51_21 Depth=1
	s_or_b32 exec_lo, exec_lo, s94
	s_and_saveexec_b32 s94, s65
	s_cbranch_execnz .LBB51_115
.LBB51_58:                              ;   in Loop: Header=BB51_21 Depth=1
	s_or_b32 exec_lo, exec_lo, s94
	s_and_saveexec_b32 s94, s66
	s_cbranch_execnz .LBB51_116
.LBB51_59:                              ;   in Loop: Header=BB51_21 Depth=1
	s_or_b32 exec_lo, exec_lo, s94
	s_and_saveexec_b32 s94, s67
	s_cbranch_execnz .LBB51_117
.LBB51_60:                              ;   in Loop: Header=BB51_21 Depth=1
	s_or_b32 exec_lo, exec_lo, s94
	s_and_saveexec_b32 s94, s68
	s_cbranch_execnz .LBB51_118
.LBB51_61:                              ;   in Loop: Header=BB51_21 Depth=1
	s_or_b32 exec_lo, exec_lo, s94
	s_and_saveexec_b32 s94, s69
	s_cbranch_execnz .LBB51_119
.LBB51_62:                              ;   in Loop: Header=BB51_21 Depth=1
	s_or_b32 exec_lo, exec_lo, s94
	s_and_saveexec_b32 s94, s6
	s_cbranch_execz .LBB51_64
.LBB51_63:                              ;   in Loop: Header=BB51_21 Depth=1
	v_add_co_u32 v66, vcc_lo, v64, v63
	v_add_co_ci_u32_e64 v67, null, 0, v65, vcc_lo
	v_add_co_u32 v68, vcc_lo, v61, v29
	v_add_co_ci_u32_e64 v69, null, v62, v30, vcc_lo
	;; [unrolled: 2-line block ×4, first 2 shown]
	v_add_co_u32 v47, vcc_lo, v47, v2
	v_cndmask_b32_e64 v66, v68, v66, s0
	v_cndmask_b32_e64 v67, v69, v67, s0
	v_add_co_ci_u32_e64 v48, null, 0, v48, vcc_lo
	global_load_dword v68, v[66:67], off
	v_lshlrev_b64 v[66:67], 3, v[47:48]
	v_lshlrev_b64 v[47:48], 2, v[47:48]
	v_add_co_u32 v66, vcc_lo, s34, v66
	v_add_co_ci_u32_e64 v67, null, s35, v67, vcc_lo
	v_add_co_u32 v47, vcc_lo, s28, v47
	v_add_co_ci_u32_e64 v48, null, s29, v48, vcc_lo
	global_store_dwordx2 v[66:67], v[45:46], off offset:1792
	s_waitcnt vmcnt(0)
	global_store_dword v[47:48], v68, off offset:896
.LBB51_64:                              ;   in Loop: Header=BB51_21 Depth=1
	s_or_b32 exec_lo, exec_lo, s94
	v_add_co_u32 v47, vcc_lo, v53, s15
	v_add_co_ci_u32_e64 v48, null, s93, v54, vcc_lo
	v_add_co_u32 v64, vcc_lo, v64, s4
	v_mul_lo_u32 v66, v47, s21
	v_mul_lo_u32 v67, v48, s20
	v_mad_u64_u32 v[47:48], null, v47, s20, s[36:37]
	v_add_co_ci_u32_e64 v65, null, s5, v65, vcc_lo
	v_add3_u32 v48, v67, v48, v66
	s_and_saveexec_b32 s94, s70
	s_cbranch_execnz .LBB51_120
; %bb.65:                               ;   in Loop: Header=BB51_21 Depth=1
	s_or_b32 exec_lo, exec_lo, s94
	s_and_saveexec_b32 s94, s71
	s_cbranch_execnz .LBB51_121
.LBB51_66:                              ;   in Loop: Header=BB51_21 Depth=1
	s_or_b32 exec_lo, exec_lo, s94
	s_and_saveexec_b32 s94, s72
	s_cbranch_execnz .LBB51_122
.LBB51_67:                              ;   in Loop: Header=BB51_21 Depth=1
	s_or_b32 exec_lo, exec_lo, s94
	s_and_saveexec_b32 s94, s73
	s_cbranch_execnz .LBB51_123
.LBB51_68:                              ;   in Loop: Header=BB51_21 Depth=1
	s_or_b32 exec_lo, exec_lo, s94
	s_and_saveexec_b32 s94, s74
	s_cbranch_execnz .LBB51_124
.LBB51_69:                              ;   in Loop: Header=BB51_21 Depth=1
	s_or_b32 exec_lo, exec_lo, s94
	s_and_saveexec_b32 s94, s75
	s_cbranch_execnz .LBB51_125
.LBB51_70:                              ;   in Loop: Header=BB51_21 Depth=1
	s_or_b32 exec_lo, exec_lo, s94
	s_and_saveexec_b32 s94, s76
	s_cbranch_execnz .LBB51_126
.LBB51_71:                              ;   in Loop: Header=BB51_21 Depth=1
	s_or_b32 exec_lo, exec_lo, s94
	s_and_saveexec_b32 s94, s7
	s_cbranch_execz .LBB51_73
.LBB51_72:                              ;   in Loop: Header=BB51_21 Depth=1
	v_add_co_u32 v66, vcc_lo, v64, v63
	v_add_co_ci_u32_e64 v67, null, 0, v65, vcc_lo
	v_add_co_u32 v68, vcc_lo, v61, v29
	v_add_co_ci_u32_e64 v69, null, v62, v30, vcc_lo
	;; [unrolled: 2-line block ×4, first 2 shown]
	v_add_co_u32 v47, vcc_lo, v47, v2
	v_cndmask_b32_e64 v66, v68, v66, s0
	v_cndmask_b32_e64 v67, v69, v67, s0
	v_add_co_ci_u32_e64 v48, null, 0, v48, vcc_lo
	global_load_dword v68, v[66:67], off
	v_lshlrev_b64 v[66:67], 3, v[47:48]
	v_lshlrev_b64 v[47:48], 2, v[47:48]
	v_add_co_u32 v66, vcc_lo, s34, v66
	v_add_co_ci_u32_e64 v67, null, s35, v67, vcc_lo
	v_add_co_u32 v47, vcc_lo, s28, v47
	v_add_co_ci_u32_e64 v48, null, s29, v48, vcc_lo
	global_store_dwordx2 v[66:67], v[45:46], off offset:1792
	s_waitcnt vmcnt(0)
	global_store_dword v[47:48], v68, off offset:896
.LBB51_73:                              ;   in Loop: Header=BB51_21 Depth=1
	s_or_b32 exec_lo, exec_lo, s94
	v_add_co_u32 v47, vcc_lo, v55, s15
	v_add_co_ci_u32_e64 v48, null, s93, v56, vcc_lo
	v_add_co_u32 v64, vcc_lo, v64, s4
	v_mul_lo_u32 v66, v47, s21
	v_mul_lo_u32 v67, v48, s20
	v_mad_u64_u32 v[47:48], null, v47, s20, s[36:37]
	v_add_co_ci_u32_e64 v65, null, s5, v65, vcc_lo
	v_add3_u32 v48, v67, v48, v66
	s_and_saveexec_b32 s94, s77
	s_cbranch_execnz .LBB51_127
; %bb.74:                               ;   in Loop: Header=BB51_21 Depth=1
	s_or_b32 exec_lo, exec_lo, s94
	s_and_saveexec_b32 s94, s78
	s_cbranch_execnz .LBB51_128
.LBB51_75:                              ;   in Loop: Header=BB51_21 Depth=1
	s_or_b32 exec_lo, exec_lo, s94
	s_and_saveexec_b32 s94, s79
	s_cbranch_execnz .LBB51_129
.LBB51_76:                              ;   in Loop: Header=BB51_21 Depth=1
	s_or_b32 exec_lo, exec_lo, s94
	s_and_saveexec_b32 s94, s80
	s_cbranch_execnz .LBB51_130
.LBB51_77:                              ;   in Loop: Header=BB51_21 Depth=1
	s_or_b32 exec_lo, exec_lo, s94
	s_and_saveexec_b32 s94, s81
	s_cbranch_execnz .LBB51_131
.LBB51_78:                              ;   in Loop: Header=BB51_21 Depth=1
	s_or_b32 exec_lo, exec_lo, s94
	s_and_saveexec_b32 s94, s82
	s_cbranch_execnz .LBB51_132
.LBB51_79:                              ;   in Loop: Header=BB51_21 Depth=1
	s_or_b32 exec_lo, exec_lo, s94
	s_and_saveexec_b32 s94, s83
	s_cbranch_execnz .LBB51_133
.LBB51_80:                              ;   in Loop: Header=BB51_21 Depth=1
	s_or_b32 exec_lo, exec_lo, s94
	s_and_saveexec_b32 s94, s8
	s_cbranch_execz .LBB51_82
.LBB51_81:                              ;   in Loop: Header=BB51_21 Depth=1
	v_add_co_u32 v66, vcc_lo, v64, v63
	v_add_co_ci_u32_e64 v67, null, 0, v65, vcc_lo
	v_add_co_u32 v68, vcc_lo, v61, v29
	v_add_co_ci_u32_e64 v69, null, v62, v30, vcc_lo
	;; [unrolled: 2-line block ×4, first 2 shown]
	v_add_co_u32 v47, vcc_lo, v47, v2
	v_cndmask_b32_e64 v66, v68, v66, s0
	v_cndmask_b32_e64 v67, v69, v67, s0
	v_add_co_ci_u32_e64 v48, null, 0, v48, vcc_lo
	global_load_dword v68, v[66:67], off
	v_lshlrev_b64 v[66:67], 3, v[47:48]
	v_lshlrev_b64 v[47:48], 2, v[47:48]
	v_add_co_u32 v66, vcc_lo, s34, v66
	v_add_co_ci_u32_e64 v67, null, s35, v67, vcc_lo
	v_add_co_u32 v47, vcc_lo, s28, v47
	v_add_co_ci_u32_e64 v48, null, s29, v48, vcc_lo
	global_store_dwordx2 v[66:67], v[45:46], off offset:1792
	s_waitcnt vmcnt(0)
	global_store_dword v[47:48], v68, off offset:896
.LBB51_82:                              ;   in Loop: Header=BB51_21 Depth=1
	s_or_b32 exec_lo, exec_lo, s94
	v_add_co_u32 v47, vcc_lo, v57, s15
	v_add_co_ci_u32_e64 v48, null, s93, v58, vcc_lo
	v_add_co_u32 v64, vcc_lo, v64, s4
	v_mul_lo_u32 v66, v47, s21
	v_mul_lo_u32 v67, v48, s20
	v_mad_u64_u32 v[47:48], null, v47, s20, s[36:37]
	v_add_co_ci_u32_e64 v65, null, s5, v65, vcc_lo
	v_add3_u32 v48, v67, v48, v66
	s_and_saveexec_b32 s94, s84
	s_cbranch_execnz .LBB51_134
; %bb.83:                               ;   in Loop: Header=BB51_21 Depth=1
	s_or_b32 exec_lo, exec_lo, s94
	s_and_saveexec_b32 s94, s85
	s_cbranch_execnz .LBB51_135
.LBB51_84:                              ;   in Loop: Header=BB51_21 Depth=1
	s_or_b32 exec_lo, exec_lo, s94
	s_and_saveexec_b32 s94, s86
	s_cbranch_execnz .LBB51_136
.LBB51_85:                              ;   in Loop: Header=BB51_21 Depth=1
	s_or_b32 exec_lo, exec_lo, s94
	s_and_saveexec_b32 s94, s87
	s_cbranch_execnz .LBB51_137
.LBB51_86:                              ;   in Loop: Header=BB51_21 Depth=1
	s_or_b32 exec_lo, exec_lo, s94
	s_and_saveexec_b32 s94, s88
	s_cbranch_execnz .LBB51_138
.LBB51_87:                              ;   in Loop: Header=BB51_21 Depth=1
	s_or_b32 exec_lo, exec_lo, s94
	s_and_saveexec_b32 s94, s89
	s_cbranch_execnz .LBB51_139
.LBB51_88:                              ;   in Loop: Header=BB51_21 Depth=1
	s_or_b32 exec_lo, exec_lo, s94
	s_and_saveexec_b32 s94, s90
	s_cbranch_execnz .LBB51_140
.LBB51_89:                              ;   in Loop: Header=BB51_21 Depth=1
	s_or_b32 exec_lo, exec_lo, s94
	s_and_saveexec_b32 s94, s10
	s_cbranch_execz .LBB51_91
.LBB51_90:                              ;   in Loop: Header=BB51_21 Depth=1
	v_add_co_u32 v66, vcc_lo, v64, v63
	v_add_co_ci_u32_e64 v67, null, 0, v65, vcc_lo
	v_add_co_u32 v68, vcc_lo, v61, v29
	v_add_co_ci_u32_e64 v69, null, v62, v30, vcc_lo
	;; [unrolled: 2-line block ×4, first 2 shown]
	v_add_co_u32 v47, vcc_lo, v47, v2
	v_cndmask_b32_e64 v66, v68, v66, s0
	v_cndmask_b32_e64 v67, v69, v67, s0
	v_add_co_ci_u32_e64 v48, null, 0, v48, vcc_lo
	global_load_dword v68, v[66:67], off
	v_lshlrev_b64 v[66:67], 3, v[47:48]
	v_lshlrev_b64 v[47:48], 2, v[47:48]
	v_add_co_u32 v66, vcc_lo, s34, v66
	v_add_co_ci_u32_e64 v67, null, s35, v67, vcc_lo
	v_add_co_u32 v47, vcc_lo, s28, v47
	v_add_co_ci_u32_e64 v48, null, s29, v48, vcc_lo
	global_store_dwordx2 v[66:67], v[45:46], off offset:1792
	s_waitcnt vmcnt(0)
	global_store_dword v[47:48], v68, off offset:896
.LBB51_91:                              ;   in Loop: Header=BB51_21 Depth=1
	s_or_b32 exec_lo, exec_lo, s94
	v_add_co_u32 v47, vcc_lo, v59, s15
	v_add_co_ci_u32_e64 v48, null, s93, v60, vcc_lo
	v_add_co_u32 v64, vcc_lo, v64, s4
	v_mul_lo_u32 v66, v47, s21
	v_mul_lo_u32 v67, v48, s20
	v_mad_u64_u32 v[47:48], null, v47, s20, s[36:37]
	v_add_co_ci_u32_e64 v65, null, s5, v65, vcc_lo
	v_add3_u32 v48, v67, v48, v66
	s_and_saveexec_b32 s4, s1
	s_cbranch_execnz .LBB51_141
; %bb.92:                               ;   in Loop: Header=BB51_21 Depth=1
	s_or_b32 exec_lo, exec_lo, s4
	s_and_saveexec_b32 s4, s91
	s_cbranch_execnz .LBB51_142
.LBB51_93:                              ;   in Loop: Header=BB51_21 Depth=1
	s_or_b32 exec_lo, exec_lo, s4
	s_and_saveexec_b32 s4, s92
	s_cbranch_execnz .LBB51_143
.LBB51_94:                              ;   in Loop: Header=BB51_21 Depth=1
	s_or_b32 exec_lo, exec_lo, s4
	s_and_saveexec_b32 s4, s11
	s_cbranch_execnz .LBB51_144
.LBB51_95:                              ;   in Loop: Header=BB51_21 Depth=1
	s_or_b32 exec_lo, exec_lo, s4
	s_and_saveexec_b32 s4, s12
	s_cbranch_execnz .LBB51_145
.LBB51_96:                              ;   in Loop: Header=BB51_21 Depth=1
	s_or_b32 exec_lo, exec_lo, s4
	s_and_saveexec_b32 s4, s13
	s_cbranch_execnz .LBB51_146
.LBB51_97:                              ;   in Loop: Header=BB51_21 Depth=1
	s_or_b32 exec_lo, exec_lo, s4
	s_and_saveexec_b32 s4, s14
	s_cbranch_execnz .LBB51_147
.LBB51_98:                              ;   in Loop: Header=BB51_21 Depth=1
	s_or_b32 exec_lo, exec_lo, s4
	s_and_saveexec_b32 s4, s9
	s_cbranch_execz .LBB51_20
	s_branch .LBB51_148
.LBB51_99:                              ;   in Loop: Header=BB51_21 Depth=1
	v_add_co_u32 v66, vcc_lo, v61, v15
	v_add_co_ci_u32_e64 v67, null, v62, v16, vcc_lo
	v_add_co_u32 v68, vcc_lo, v64, v63
	v_add_co_ci_u32_e64 v69, null, 0, v65, vcc_lo
	;; [unrolled: 2-line block ×3, first 2 shown]
	v_cndmask_b32_e64 v66, v66, v68, s0
	v_cndmask_b32_e64 v67, v67, v69, s0
	global_load_dword v70, v[66:67], off
	v_add_co_u32 v66, vcc_lo, v47, v2
	v_add_co_ci_u32_e64 v67, null, 0, v48, vcc_lo
	v_lshlrev_b64 v[68:69], 3, v[66:67]
	v_lshlrev_b64 v[66:67], 2, v[66:67]
	v_add_co_u32 v68, vcc_lo, s34, v68
	v_add_co_ci_u32_e64 v69, null, s35, v69, vcc_lo
	v_add_co_u32 v66, vcc_lo, s28, v66
	v_add_co_ci_u32_e64 v67, null, s29, v67, vcc_lo
	global_store_dwordx2 v[68:69], v[31:32], off
	s_waitcnt vmcnt(0)
	global_store_dword v[66:67], v70, off
	s_or_b32 exec_lo, exec_lo, s94
	s_and_saveexec_b32 s94, s41
	s_cbranch_execz .LBB51_39
.LBB51_100:                             ;   in Loop: Header=BB51_21 Depth=1
	v_add_co_u32 v66, vcc_lo, v64, v63
	v_add_co_ci_u32_e64 v67, null, 0, v65, vcc_lo
	v_add_co_u32 v68, vcc_lo, v61, v17
	v_add_co_ci_u32_e64 v69, null, v62, v18, vcc_lo
	v_cndmask_b32_e64 v66, v68, v66, s0
	v_cndmask_b32_e64 v67, v69, v67, s0
	global_load_dword v70, v[66:67], off offset:128
	v_add_co_u32 v66, vcc_lo, v47, v2
	v_add_co_ci_u32_e64 v67, null, 0, v48, vcc_lo
	v_lshlrev_b64 v[68:69], 3, v[66:67]
	v_lshlrev_b64 v[66:67], 2, v[66:67]
	v_add_co_u32 v68, vcc_lo, s34, v68
	v_add_co_ci_u32_e64 v69, null, s35, v69, vcc_lo
	v_add_co_u32 v66, vcc_lo, s28, v66
	v_add_co_ci_u32_e64 v67, null, s29, v67, vcc_lo
	global_store_dwordx2 v[68:69], v[33:34], off offset:256
	s_waitcnt vmcnt(0)
	global_store_dword v[66:67], v70, off offset:128
	s_or_b32 exec_lo, exec_lo, s94
	s_and_saveexec_b32 s94, s49
	s_cbranch_execz .LBB51_40
.LBB51_101:                             ;   in Loop: Header=BB51_21 Depth=1
	v_add_co_u32 v66, vcc_lo, v64, v63
	v_add_co_ci_u32_e64 v67, null, 0, v65, vcc_lo
	v_add_co_u32 v68, vcc_lo, v61, v19
	v_add_co_ci_u32_e64 v69, null, v62, v20, vcc_lo
	;; [unrolled: 2-line block ×4, first 2 shown]
	v_cndmask_b32_e64 v66, v68, v66, s0
	v_cndmask_b32_e64 v67, v69, v67, s0
	global_load_dword v70, v[66:67], off
	v_add_co_u32 v66, vcc_lo, v47, v2
	v_add_co_ci_u32_e64 v67, null, 0, v48, vcc_lo
	v_lshlrev_b64 v[68:69], 3, v[66:67]
	v_lshlrev_b64 v[66:67], 2, v[66:67]
	v_add_co_u32 v68, vcc_lo, s34, v68
	v_add_co_ci_u32_e64 v69, null, s35, v69, vcc_lo
	v_add_co_u32 v66, vcc_lo, s28, v66
	v_add_co_ci_u32_e64 v67, null, s29, v67, vcc_lo
	global_store_dwordx2 v[68:69], v[35:36], off offset:512
	s_waitcnt vmcnt(0)
	global_store_dword v[66:67], v70, off offset:256
	s_or_b32 exec_lo, exec_lo, s94
	s_and_saveexec_b32 s94, s50
	s_cbranch_execz .LBB51_41
.LBB51_102:                             ;   in Loop: Header=BB51_21 Depth=1
	v_add_co_u32 v66, vcc_lo, v64, v63
	v_add_co_ci_u32_e64 v67, null, 0, v65, vcc_lo
	v_add_co_u32 v68, vcc_lo, v61, v21
	v_add_co_ci_u32_e64 v69, null, v62, v22, vcc_lo
	;; [unrolled: 2-line block ×4, first 2 shown]
	v_cndmask_b32_e64 v66, v68, v66, s0
	v_cndmask_b32_e64 v67, v69, v67, s0
	global_load_dword v70, v[66:67], off
	v_add_co_u32 v66, vcc_lo, v47, v2
	v_add_co_ci_u32_e64 v67, null, 0, v48, vcc_lo
	v_lshlrev_b64 v[68:69], 3, v[66:67]
	v_lshlrev_b64 v[66:67], 2, v[66:67]
	v_add_co_u32 v68, vcc_lo, s34, v68
	v_add_co_ci_u32_e64 v69, null, s35, v69, vcc_lo
	v_add_co_u32 v66, vcc_lo, s28, v66
	v_add_co_ci_u32_e64 v67, null, s29, v67, vcc_lo
	global_store_dwordx2 v[68:69], v[37:38], off offset:768
	s_waitcnt vmcnt(0)
	global_store_dword v[66:67], v70, off offset:384
	s_or_b32 exec_lo, exec_lo, s94
	s_and_saveexec_b32 s94, s51
	s_cbranch_execz .LBB51_42
.LBB51_103:                             ;   in Loop: Header=BB51_21 Depth=1
	v_add_co_u32 v66, vcc_lo, v64, v63
	v_add_co_ci_u32_e64 v67, null, 0, v65, vcc_lo
	v_add_co_u32 v68, vcc_lo, v61, v23
	v_add_co_ci_u32_e64 v69, null, v62, v24, vcc_lo
	;; [unrolled: 2-line block ×4, first 2 shown]
	v_cndmask_b32_e64 v66, v68, v66, s0
	v_cndmask_b32_e64 v67, v69, v67, s0
	global_load_dword v70, v[66:67], off
	v_add_co_u32 v66, vcc_lo, v47, v2
	v_add_co_ci_u32_e64 v67, null, 0, v48, vcc_lo
	v_lshlrev_b64 v[68:69], 3, v[66:67]
	v_lshlrev_b64 v[66:67], 2, v[66:67]
	v_add_co_u32 v68, vcc_lo, s34, v68
	v_add_co_ci_u32_e64 v69, null, s35, v69, vcc_lo
	v_add_co_u32 v66, vcc_lo, s28, v66
	v_add_co_ci_u32_e64 v67, null, s29, v67, vcc_lo
	global_store_dwordx2 v[68:69], v[39:40], off offset:1024
	s_waitcnt vmcnt(0)
	global_store_dword v[66:67], v70, off offset:512
	s_or_b32 exec_lo, exec_lo, s94
	s_and_saveexec_b32 s94, s52
	s_cbranch_execz .LBB51_43
.LBB51_104:                             ;   in Loop: Header=BB51_21 Depth=1
	v_add_co_u32 v66, vcc_lo, v64, v63
	v_add_co_ci_u32_e64 v67, null, 0, v65, vcc_lo
	v_add_co_u32 v68, vcc_lo, v61, v25
	v_add_co_ci_u32_e64 v69, null, v62, v26, vcc_lo
	;; [unrolled: 2-line block ×4, first 2 shown]
	v_cndmask_b32_e64 v66, v68, v66, s0
	v_cndmask_b32_e64 v67, v69, v67, s0
	global_load_dword v70, v[66:67], off
	v_add_co_u32 v66, vcc_lo, v47, v2
	v_add_co_ci_u32_e64 v67, null, 0, v48, vcc_lo
	v_lshlrev_b64 v[68:69], 3, v[66:67]
	v_lshlrev_b64 v[66:67], 2, v[66:67]
	v_add_co_u32 v68, vcc_lo, s34, v68
	v_add_co_ci_u32_e64 v69, null, s35, v69, vcc_lo
	v_add_co_u32 v66, vcc_lo, s28, v66
	v_add_co_ci_u32_e64 v67, null, s29, v67, vcc_lo
	global_store_dwordx2 v[68:69], v[41:42], off offset:1280
	s_waitcnt vmcnt(0)
	global_store_dword v[66:67], v70, off offset:640
	s_or_b32 exec_lo, exec_lo, s94
	s_and_saveexec_b32 s94, s53
	s_cbranch_execz .LBB51_44
.LBB51_105:                             ;   in Loop: Header=BB51_21 Depth=1
	v_add_co_u32 v66, vcc_lo, v64, v63
	v_add_co_ci_u32_e64 v67, null, 0, v65, vcc_lo
	v_add_co_u32 v68, vcc_lo, v61, v27
	v_add_co_ci_u32_e64 v69, null, v62, v28, vcc_lo
	;; [unrolled: 2-line block ×4, first 2 shown]
	v_cndmask_b32_e64 v66, v68, v66, s0
	v_cndmask_b32_e64 v67, v69, v67, s0
	global_load_dword v70, v[66:67], off
	v_add_co_u32 v66, vcc_lo, v47, v2
	v_add_co_ci_u32_e64 v67, null, 0, v48, vcc_lo
	v_lshlrev_b64 v[68:69], 3, v[66:67]
	v_lshlrev_b64 v[66:67], 2, v[66:67]
	v_add_co_u32 v68, vcc_lo, s34, v68
	v_add_co_ci_u32_e64 v69, null, s35, v69, vcc_lo
	v_add_co_u32 v66, vcc_lo, s28, v66
	v_add_co_ci_u32_e64 v67, null, s29, v67, vcc_lo
	global_store_dwordx2 v[68:69], v[43:44], off offset:1536
	s_waitcnt vmcnt(0)
	global_store_dword v[66:67], v70, off offset:768
	s_or_b32 exec_lo, exec_lo, s94
	s_and_saveexec_b32 s94, s54
	s_cbranch_execnz .LBB51_45
	s_branch .LBB51_46
.LBB51_106:                             ;   in Loop: Header=BB51_21 Depth=1
	v_add_co_u32 v66, vcc_lo, v61, v15
	v_add_co_ci_u32_e64 v67, null, v62, v16, vcc_lo
	v_add_co_u32 v68, vcc_lo, v64, v63
	v_add_co_ci_u32_e64 v69, null, 0, v65, vcc_lo
	;; [unrolled: 2-line block ×3, first 2 shown]
	v_cndmask_b32_e64 v66, v66, v68, s0
	v_cndmask_b32_e64 v67, v67, v69, s0
	global_load_dword v70, v[66:67], off
	v_add_co_u32 v66, vcc_lo, v47, v2
	v_add_co_ci_u32_e64 v67, null, 0, v48, vcc_lo
	v_lshlrev_b64 v[68:69], 3, v[66:67]
	v_lshlrev_b64 v[66:67], 2, v[66:67]
	v_add_co_u32 v68, vcc_lo, s34, v68
	v_add_co_ci_u32_e64 v69, null, s35, v69, vcc_lo
	v_add_co_u32 v66, vcc_lo, s28, v66
	v_add_co_ci_u32_e64 v67, null, s29, v67, vcc_lo
	global_store_dwordx2 v[68:69], v[31:32], off
	s_waitcnt vmcnt(0)
	global_store_dword v[66:67], v70, off
	s_or_b32 exec_lo, exec_lo, s94
	s_and_saveexec_b32 s94, s56
	s_cbranch_execz .LBB51_48
.LBB51_107:                             ;   in Loop: Header=BB51_21 Depth=1
	v_add_co_u32 v66, vcc_lo, v64, v63
	v_add_co_ci_u32_e64 v67, null, 0, v65, vcc_lo
	v_add_co_u32 v68, vcc_lo, v61, v17
	v_add_co_ci_u32_e64 v69, null, v62, v18, vcc_lo
	;; [unrolled: 2-line block ×4, first 2 shown]
	v_cndmask_b32_e64 v66, v68, v66, s0
	v_cndmask_b32_e64 v67, v69, v67, s0
	global_load_dword v70, v[66:67], off
	v_add_co_u32 v66, vcc_lo, v47, v2
	v_add_co_ci_u32_e64 v67, null, 0, v48, vcc_lo
	v_lshlrev_b64 v[68:69], 3, v[66:67]
	v_lshlrev_b64 v[66:67], 2, v[66:67]
	v_add_co_u32 v68, vcc_lo, s34, v68
	v_add_co_ci_u32_e64 v69, null, s35, v69, vcc_lo
	v_add_co_u32 v66, vcc_lo, s28, v66
	v_add_co_ci_u32_e64 v67, null, s29, v67, vcc_lo
	global_store_dwordx2 v[68:69], v[33:34], off offset:256
	s_waitcnt vmcnt(0)
	global_store_dword v[66:67], v70, off offset:128
	s_or_b32 exec_lo, exec_lo, s94
	s_and_saveexec_b32 s94, s57
	s_cbranch_execz .LBB51_49
.LBB51_108:                             ;   in Loop: Header=BB51_21 Depth=1
	v_add_co_u32 v66, vcc_lo, v64, v63
	v_add_co_ci_u32_e64 v67, null, 0, v65, vcc_lo
	v_add_co_u32 v68, vcc_lo, v61, v19
	v_add_co_ci_u32_e64 v69, null, v62, v20, vcc_lo
	v_cndmask_b32_e64 v66, v68, v66, s0
	v_cndmask_b32_e64 v67, v69, v67, s0
	global_load_dword v70, v[66:67], off offset:256
	v_add_co_u32 v66, vcc_lo, v47, v2
	v_add_co_ci_u32_e64 v67, null, 0, v48, vcc_lo
	v_lshlrev_b64 v[68:69], 3, v[66:67]
	v_lshlrev_b64 v[66:67], 2, v[66:67]
	v_add_co_u32 v68, vcc_lo, s34, v68
	v_add_co_ci_u32_e64 v69, null, s35, v69, vcc_lo
	v_add_co_u32 v66, vcc_lo, s28, v66
	v_add_co_ci_u32_e64 v67, null, s29, v67, vcc_lo
	global_store_dwordx2 v[68:69], v[35:36], off offset:512
	s_waitcnt vmcnt(0)
	global_store_dword v[66:67], v70, off offset:256
	s_or_b32 exec_lo, exec_lo, s94
	s_and_saveexec_b32 s94, s58
	s_cbranch_execz .LBB51_50
.LBB51_109:                             ;   in Loop: Header=BB51_21 Depth=1
	v_add_co_u32 v66, vcc_lo, v64, v63
	v_add_co_ci_u32_e64 v67, null, 0, v65, vcc_lo
	v_add_co_u32 v68, vcc_lo, v61, v21
	v_add_co_ci_u32_e64 v69, null, v62, v22, vcc_lo
	;; [unrolled: 2-line block ×4, first 2 shown]
	v_cndmask_b32_e64 v66, v68, v66, s0
	v_cndmask_b32_e64 v67, v69, v67, s0
	global_load_dword v70, v[66:67], off
	v_add_co_u32 v66, vcc_lo, v47, v2
	v_add_co_ci_u32_e64 v67, null, 0, v48, vcc_lo
	v_lshlrev_b64 v[68:69], 3, v[66:67]
	v_lshlrev_b64 v[66:67], 2, v[66:67]
	v_add_co_u32 v68, vcc_lo, s34, v68
	v_add_co_ci_u32_e64 v69, null, s35, v69, vcc_lo
	v_add_co_u32 v66, vcc_lo, s28, v66
	v_add_co_ci_u32_e64 v67, null, s29, v67, vcc_lo
	global_store_dwordx2 v[68:69], v[37:38], off offset:768
	s_waitcnt vmcnt(0)
	global_store_dword v[66:67], v70, off offset:384
	s_or_b32 exec_lo, exec_lo, s94
	s_and_saveexec_b32 s94, s59
	s_cbranch_execz .LBB51_51
.LBB51_110:                             ;   in Loop: Header=BB51_21 Depth=1
	v_add_co_u32 v66, vcc_lo, v64, v63
	v_add_co_ci_u32_e64 v67, null, 0, v65, vcc_lo
	v_add_co_u32 v68, vcc_lo, v61, v23
	v_add_co_ci_u32_e64 v69, null, v62, v24, vcc_lo
	v_add_co_u32 v66, vcc_lo, 0x200, v66
	v_add_co_ci_u32_e64 v67, null, 0, v67, vcc_lo
	v_add_co_u32 v68, vcc_lo, 0x100, v68
	v_add_co_ci_u32_e64 v69, null, 0, v69, vcc_lo
	v_cndmask_b32_e64 v66, v68, v66, s0
	v_cndmask_b32_e64 v67, v69, v67, s0
	global_load_dword v70, v[66:67], off
	v_add_co_u32 v66, vcc_lo, v47, v2
	v_add_co_ci_u32_e64 v67, null, 0, v48, vcc_lo
	v_lshlrev_b64 v[68:69], 3, v[66:67]
	v_lshlrev_b64 v[66:67], 2, v[66:67]
	v_add_co_u32 v68, vcc_lo, s34, v68
	v_add_co_ci_u32_e64 v69, null, s35, v69, vcc_lo
	v_add_co_u32 v66, vcc_lo, s28, v66
	v_add_co_ci_u32_e64 v67, null, s29, v67, vcc_lo
	global_store_dwordx2 v[68:69], v[39:40], off offset:1024
	s_waitcnt vmcnt(0)
	global_store_dword v[66:67], v70, off offset:512
	s_or_b32 exec_lo, exec_lo, s94
	s_and_saveexec_b32 s94, s60
	s_cbranch_execz .LBB51_52
.LBB51_111:                             ;   in Loop: Header=BB51_21 Depth=1
	v_add_co_u32 v66, vcc_lo, v64, v63
	v_add_co_ci_u32_e64 v67, null, 0, v65, vcc_lo
	v_add_co_u32 v68, vcc_lo, v61, v25
	v_add_co_ci_u32_e64 v69, null, v62, v26, vcc_lo
	;; [unrolled: 2-line block ×4, first 2 shown]
	v_cndmask_b32_e64 v66, v68, v66, s0
	v_cndmask_b32_e64 v67, v69, v67, s0
	global_load_dword v70, v[66:67], off
	v_add_co_u32 v66, vcc_lo, v47, v2
	v_add_co_ci_u32_e64 v67, null, 0, v48, vcc_lo
	v_lshlrev_b64 v[68:69], 3, v[66:67]
	v_lshlrev_b64 v[66:67], 2, v[66:67]
	v_add_co_u32 v68, vcc_lo, s34, v68
	v_add_co_ci_u32_e64 v69, null, s35, v69, vcc_lo
	v_add_co_u32 v66, vcc_lo, s28, v66
	v_add_co_ci_u32_e64 v67, null, s29, v67, vcc_lo
	global_store_dwordx2 v[68:69], v[41:42], off offset:1280
	s_waitcnt vmcnt(0)
	global_store_dword v[66:67], v70, off offset:640
	s_or_b32 exec_lo, exec_lo, s94
	s_and_saveexec_b32 s94, s61
	s_cbranch_execz .LBB51_53
.LBB51_112:                             ;   in Loop: Header=BB51_21 Depth=1
	v_add_co_u32 v66, vcc_lo, v64, v63
	v_add_co_ci_u32_e64 v67, null, 0, v65, vcc_lo
	v_add_co_u32 v68, vcc_lo, v61, v27
	v_add_co_ci_u32_e64 v69, null, v62, v28, vcc_lo
	;; [unrolled: 2-line block ×4, first 2 shown]
	v_cndmask_b32_e64 v66, v68, v66, s0
	v_cndmask_b32_e64 v67, v69, v67, s0
	global_load_dword v70, v[66:67], off
	v_add_co_u32 v66, vcc_lo, v47, v2
	v_add_co_ci_u32_e64 v67, null, 0, v48, vcc_lo
	v_lshlrev_b64 v[68:69], 3, v[66:67]
	v_lshlrev_b64 v[66:67], 2, v[66:67]
	v_add_co_u32 v68, vcc_lo, s34, v68
	v_add_co_ci_u32_e64 v69, null, s35, v69, vcc_lo
	v_add_co_u32 v66, vcc_lo, s28, v66
	v_add_co_ci_u32_e64 v67, null, s29, v67, vcc_lo
	global_store_dwordx2 v[68:69], v[43:44], off offset:1536
	s_waitcnt vmcnt(0)
	global_store_dword v[66:67], v70, off offset:768
	s_or_b32 exec_lo, exec_lo, s94
	s_and_saveexec_b32 s94, s62
	s_cbranch_execnz .LBB51_54
	s_branch .LBB51_55
.LBB51_113:                             ;   in Loop: Header=BB51_21 Depth=1
	v_add_co_u32 v66, vcc_lo, v61, v15
	v_add_co_ci_u32_e64 v67, null, v62, v16, vcc_lo
	v_add_co_u32 v68, vcc_lo, v64, v63
	v_add_co_ci_u32_e64 v69, null, 0, v65, vcc_lo
	;; [unrolled: 2-line block ×3, first 2 shown]
	v_cndmask_b32_e64 v66, v66, v68, s0
	v_cndmask_b32_e64 v67, v67, v69, s0
	global_load_dword v70, v[66:67], off
	v_add_co_u32 v66, vcc_lo, v47, v2
	v_add_co_ci_u32_e64 v67, null, 0, v48, vcc_lo
	v_lshlrev_b64 v[68:69], 3, v[66:67]
	v_lshlrev_b64 v[66:67], 2, v[66:67]
	v_add_co_u32 v68, vcc_lo, s34, v68
	v_add_co_ci_u32_e64 v69, null, s35, v69, vcc_lo
	v_add_co_u32 v66, vcc_lo, s28, v66
	v_add_co_ci_u32_e64 v67, null, s29, v67, vcc_lo
	global_store_dwordx2 v[68:69], v[31:32], off
	s_waitcnt vmcnt(0)
	global_store_dword v[66:67], v70, off
	s_or_b32 exec_lo, exec_lo, s94
	s_and_saveexec_b32 s94, s64
	s_cbranch_execz .LBB51_57
.LBB51_114:                             ;   in Loop: Header=BB51_21 Depth=1
	v_add_co_u32 v66, vcc_lo, v64, v63
	v_add_co_ci_u32_e64 v67, null, 0, v65, vcc_lo
	v_add_co_u32 v68, vcc_lo, v61, v17
	v_add_co_ci_u32_e64 v69, null, v62, v18, vcc_lo
	;; [unrolled: 2-line block ×4, first 2 shown]
	v_cndmask_b32_e64 v66, v68, v66, s0
	v_cndmask_b32_e64 v67, v69, v67, s0
	global_load_dword v70, v[66:67], off
	v_add_co_u32 v66, vcc_lo, v47, v2
	v_add_co_ci_u32_e64 v67, null, 0, v48, vcc_lo
	v_lshlrev_b64 v[68:69], 3, v[66:67]
	v_lshlrev_b64 v[66:67], 2, v[66:67]
	v_add_co_u32 v68, vcc_lo, s34, v68
	v_add_co_ci_u32_e64 v69, null, s35, v69, vcc_lo
	v_add_co_u32 v66, vcc_lo, s28, v66
	v_add_co_ci_u32_e64 v67, null, s29, v67, vcc_lo
	global_store_dwordx2 v[68:69], v[33:34], off offset:256
	s_waitcnt vmcnt(0)
	global_store_dword v[66:67], v70, off offset:128
	s_or_b32 exec_lo, exec_lo, s94
	s_and_saveexec_b32 s94, s65
	s_cbranch_execz .LBB51_58
.LBB51_115:                             ;   in Loop: Header=BB51_21 Depth=1
	v_add_co_u32 v66, vcc_lo, v64, v63
	v_add_co_ci_u32_e64 v67, null, 0, v65, vcc_lo
	v_add_co_u32 v68, vcc_lo, v61, v19
	v_add_co_ci_u32_e64 v69, null, v62, v20, vcc_lo
	v_add_co_u32 v66, vcc_lo, 0x100, v66
	v_add_co_ci_u32_e64 v67, null, 0, v67, vcc_lo
	v_add_co_u32 v68, vcc_lo, 0x180, v68
	v_add_co_ci_u32_e64 v69, null, 0, v69, vcc_lo
	v_cndmask_b32_e64 v66, v68, v66, s0
	v_cndmask_b32_e64 v67, v69, v67, s0
	global_load_dword v70, v[66:67], off
	v_add_co_u32 v66, vcc_lo, v47, v2
	v_add_co_ci_u32_e64 v67, null, 0, v48, vcc_lo
	v_lshlrev_b64 v[68:69], 3, v[66:67]
	v_lshlrev_b64 v[66:67], 2, v[66:67]
	v_add_co_u32 v68, vcc_lo, s34, v68
	v_add_co_ci_u32_e64 v69, null, s35, v69, vcc_lo
	v_add_co_u32 v66, vcc_lo, s28, v66
	v_add_co_ci_u32_e64 v67, null, s29, v67, vcc_lo
	global_store_dwordx2 v[68:69], v[35:36], off offset:512
	s_waitcnt vmcnt(0)
	global_store_dword v[66:67], v70, off offset:256
	s_or_b32 exec_lo, exec_lo, s94
	s_and_saveexec_b32 s94, s66
	s_cbranch_execz .LBB51_59
.LBB51_116:                             ;   in Loop: Header=BB51_21 Depth=1
	v_add_co_u32 v66, vcc_lo, v64, v63
	v_add_co_ci_u32_e64 v67, null, 0, v65, vcc_lo
	v_add_co_u32 v68, vcc_lo, v61, v21
	v_add_co_ci_u32_e64 v69, null, v62, v22, vcc_lo
	v_cndmask_b32_e64 v66, v68, v66, s0
	v_cndmask_b32_e64 v67, v69, v67, s0
	global_load_dword v70, v[66:67], off offset:384
	v_add_co_u32 v66, vcc_lo, v47, v2
	v_add_co_ci_u32_e64 v67, null, 0, v48, vcc_lo
	v_lshlrev_b64 v[68:69], 3, v[66:67]
	v_lshlrev_b64 v[66:67], 2, v[66:67]
	v_add_co_u32 v68, vcc_lo, s34, v68
	v_add_co_ci_u32_e64 v69, null, s35, v69, vcc_lo
	v_add_co_u32 v66, vcc_lo, s28, v66
	v_add_co_ci_u32_e64 v67, null, s29, v67, vcc_lo
	global_store_dwordx2 v[68:69], v[37:38], off offset:768
	s_waitcnt vmcnt(0)
	global_store_dword v[66:67], v70, off offset:384
	s_or_b32 exec_lo, exec_lo, s94
	s_and_saveexec_b32 s94, s67
	s_cbranch_execz .LBB51_60
.LBB51_117:                             ;   in Loop: Header=BB51_21 Depth=1
	v_add_co_u32 v66, vcc_lo, v64, v63
	v_add_co_ci_u32_e64 v67, null, 0, v65, vcc_lo
	v_add_co_u32 v68, vcc_lo, v61, v23
	v_add_co_ci_u32_e64 v69, null, v62, v24, vcc_lo
	;; [unrolled: 2-line block ×4, first 2 shown]
	v_cndmask_b32_e64 v66, v68, v66, s0
	v_cndmask_b32_e64 v67, v69, v67, s0
	global_load_dword v70, v[66:67], off
	v_add_co_u32 v66, vcc_lo, v47, v2
	v_add_co_ci_u32_e64 v67, null, 0, v48, vcc_lo
	v_lshlrev_b64 v[68:69], 3, v[66:67]
	v_lshlrev_b64 v[66:67], 2, v[66:67]
	v_add_co_u32 v68, vcc_lo, s34, v68
	v_add_co_ci_u32_e64 v69, null, s35, v69, vcc_lo
	v_add_co_u32 v66, vcc_lo, s28, v66
	v_add_co_ci_u32_e64 v67, null, s29, v67, vcc_lo
	global_store_dwordx2 v[68:69], v[39:40], off offset:1024
	s_waitcnt vmcnt(0)
	global_store_dword v[66:67], v70, off offset:512
	s_or_b32 exec_lo, exec_lo, s94
	s_and_saveexec_b32 s94, s68
	s_cbranch_execz .LBB51_61
.LBB51_118:                             ;   in Loop: Header=BB51_21 Depth=1
	v_add_co_u32 v66, vcc_lo, v64, v63
	v_add_co_ci_u32_e64 v67, null, 0, v65, vcc_lo
	v_add_co_u32 v68, vcc_lo, v61, v25
	v_add_co_ci_u32_e64 v69, null, v62, v26, vcc_lo
	;; [unrolled: 2-line block ×4, first 2 shown]
	v_cndmask_b32_e64 v66, v68, v66, s0
	v_cndmask_b32_e64 v67, v69, v67, s0
	global_load_dword v70, v[66:67], off
	v_add_co_u32 v66, vcc_lo, v47, v2
	v_add_co_ci_u32_e64 v67, null, 0, v48, vcc_lo
	v_lshlrev_b64 v[68:69], 3, v[66:67]
	v_lshlrev_b64 v[66:67], 2, v[66:67]
	v_add_co_u32 v68, vcc_lo, s34, v68
	v_add_co_ci_u32_e64 v69, null, s35, v69, vcc_lo
	v_add_co_u32 v66, vcc_lo, s28, v66
	v_add_co_ci_u32_e64 v67, null, s29, v67, vcc_lo
	global_store_dwordx2 v[68:69], v[41:42], off offset:1280
	s_waitcnt vmcnt(0)
	global_store_dword v[66:67], v70, off offset:640
	s_or_b32 exec_lo, exec_lo, s94
	s_and_saveexec_b32 s94, s69
	s_cbranch_execz .LBB51_62
.LBB51_119:                             ;   in Loop: Header=BB51_21 Depth=1
	v_add_co_u32 v66, vcc_lo, v64, v63
	v_add_co_ci_u32_e64 v67, null, 0, v65, vcc_lo
	v_add_co_u32 v68, vcc_lo, v61, v27
	v_add_co_ci_u32_e64 v69, null, v62, v28, vcc_lo
	;; [unrolled: 2-line block ×4, first 2 shown]
	v_cndmask_b32_e64 v66, v68, v66, s0
	v_cndmask_b32_e64 v67, v69, v67, s0
	global_load_dword v70, v[66:67], off
	v_add_co_u32 v66, vcc_lo, v47, v2
	v_add_co_ci_u32_e64 v67, null, 0, v48, vcc_lo
	v_lshlrev_b64 v[68:69], 3, v[66:67]
	v_lshlrev_b64 v[66:67], 2, v[66:67]
	v_add_co_u32 v68, vcc_lo, s34, v68
	v_add_co_ci_u32_e64 v69, null, s35, v69, vcc_lo
	v_add_co_u32 v66, vcc_lo, s28, v66
	v_add_co_ci_u32_e64 v67, null, s29, v67, vcc_lo
	global_store_dwordx2 v[68:69], v[43:44], off offset:1536
	s_waitcnt vmcnt(0)
	global_store_dword v[66:67], v70, off offset:768
	s_or_b32 exec_lo, exec_lo, s94
	s_and_saveexec_b32 s94, s6
	s_cbranch_execnz .LBB51_63
	s_branch .LBB51_64
.LBB51_120:                             ;   in Loop: Header=BB51_21 Depth=1
	v_add_co_u32 v66, vcc_lo, v61, v15
	v_add_co_ci_u32_e64 v67, null, v62, v16, vcc_lo
	v_add_co_u32 v68, vcc_lo, v64, v63
	v_add_co_ci_u32_e64 v69, null, 0, v65, vcc_lo
	;; [unrolled: 2-line block ×3, first 2 shown]
	v_cndmask_b32_e64 v66, v66, v68, s0
	v_cndmask_b32_e64 v67, v67, v69, s0
	global_load_dword v70, v[66:67], off
	v_add_co_u32 v66, vcc_lo, v47, v2
	v_add_co_ci_u32_e64 v67, null, 0, v48, vcc_lo
	v_lshlrev_b64 v[68:69], 3, v[66:67]
	v_lshlrev_b64 v[66:67], 2, v[66:67]
	v_add_co_u32 v68, vcc_lo, s34, v68
	v_add_co_ci_u32_e64 v69, null, s35, v69, vcc_lo
	v_add_co_u32 v66, vcc_lo, s28, v66
	v_add_co_ci_u32_e64 v67, null, s29, v67, vcc_lo
	global_store_dwordx2 v[68:69], v[31:32], off
	s_waitcnt vmcnt(0)
	global_store_dword v[66:67], v70, off
	s_or_b32 exec_lo, exec_lo, s94
	s_and_saveexec_b32 s94, s71
	s_cbranch_execz .LBB51_66
.LBB51_121:                             ;   in Loop: Header=BB51_21 Depth=1
	v_add_co_u32 v66, vcc_lo, v64, v63
	v_add_co_ci_u32_e64 v67, null, 0, v65, vcc_lo
	v_add_co_u32 v68, vcc_lo, v61, v17
	v_add_co_ci_u32_e64 v69, null, v62, v18, vcc_lo
	;; [unrolled: 2-line block ×4, first 2 shown]
	v_cndmask_b32_e64 v66, v68, v66, s0
	v_cndmask_b32_e64 v67, v69, v67, s0
	global_load_dword v70, v[66:67], off
	v_add_co_u32 v66, vcc_lo, v47, v2
	v_add_co_ci_u32_e64 v67, null, 0, v48, vcc_lo
	v_lshlrev_b64 v[68:69], 3, v[66:67]
	v_lshlrev_b64 v[66:67], 2, v[66:67]
	v_add_co_u32 v68, vcc_lo, s34, v68
	v_add_co_ci_u32_e64 v69, null, s35, v69, vcc_lo
	v_add_co_u32 v66, vcc_lo, s28, v66
	v_add_co_ci_u32_e64 v67, null, s29, v67, vcc_lo
	global_store_dwordx2 v[68:69], v[33:34], off offset:256
	s_waitcnt vmcnt(0)
	global_store_dword v[66:67], v70, off offset:128
	s_or_b32 exec_lo, exec_lo, s94
	s_and_saveexec_b32 s94, s72
	s_cbranch_execz .LBB51_67
.LBB51_122:                             ;   in Loop: Header=BB51_21 Depth=1
	v_add_co_u32 v66, vcc_lo, v64, v63
	v_add_co_ci_u32_e64 v67, null, 0, v65, vcc_lo
	v_add_co_u32 v68, vcc_lo, v61, v19
	v_add_co_ci_u32_e64 v69, null, v62, v20, vcc_lo
	;; [unrolled: 2-line block ×4, first 2 shown]
	v_cndmask_b32_e64 v66, v68, v66, s0
	v_cndmask_b32_e64 v67, v69, v67, s0
	global_load_dword v70, v[66:67], off
	v_add_co_u32 v66, vcc_lo, v47, v2
	v_add_co_ci_u32_e64 v67, null, 0, v48, vcc_lo
	v_lshlrev_b64 v[68:69], 3, v[66:67]
	v_lshlrev_b64 v[66:67], 2, v[66:67]
	v_add_co_u32 v68, vcc_lo, s34, v68
	v_add_co_ci_u32_e64 v69, null, s35, v69, vcc_lo
	v_add_co_u32 v66, vcc_lo, s28, v66
	v_add_co_ci_u32_e64 v67, null, s29, v67, vcc_lo
	global_store_dwordx2 v[68:69], v[35:36], off offset:512
	s_waitcnt vmcnt(0)
	global_store_dword v[66:67], v70, off offset:256
	s_or_b32 exec_lo, exec_lo, s94
	s_and_saveexec_b32 s94, s73
	s_cbranch_execz .LBB51_68
.LBB51_123:                             ;   in Loop: Header=BB51_21 Depth=1
	v_add_co_u32 v66, vcc_lo, v64, v63
	v_add_co_ci_u32_e64 v67, null, 0, v65, vcc_lo
	v_add_co_u32 v68, vcc_lo, v61, v21
	v_add_co_ci_u32_e64 v69, null, v62, v22, vcc_lo
	;; [unrolled: 2-line block ×4, first 2 shown]
	v_cndmask_b32_e64 v66, v68, v66, s0
	v_cndmask_b32_e64 v67, v69, v67, s0
	global_load_dword v70, v[66:67], off
	v_add_co_u32 v66, vcc_lo, v47, v2
	v_add_co_ci_u32_e64 v67, null, 0, v48, vcc_lo
	v_lshlrev_b64 v[68:69], 3, v[66:67]
	v_lshlrev_b64 v[66:67], 2, v[66:67]
	v_add_co_u32 v68, vcc_lo, s34, v68
	v_add_co_ci_u32_e64 v69, null, s35, v69, vcc_lo
	v_add_co_u32 v66, vcc_lo, s28, v66
	v_add_co_ci_u32_e64 v67, null, s29, v67, vcc_lo
	global_store_dwordx2 v[68:69], v[37:38], off offset:768
	s_waitcnt vmcnt(0)
	global_store_dword v[66:67], v70, off offset:384
	s_or_b32 exec_lo, exec_lo, s94
	s_and_saveexec_b32 s94, s74
	s_cbranch_execz .LBB51_69
.LBB51_124:                             ;   in Loop: Header=BB51_21 Depth=1
	v_add_co_u32 v66, vcc_lo, v64, v63
	v_add_co_ci_u32_e64 v67, null, 0, v65, vcc_lo
	v_add_co_u32 v68, vcc_lo, v61, v23
	v_add_co_ci_u32_e64 v69, null, v62, v24, vcc_lo
	v_cndmask_b32_e64 v66, v68, v66, s0
	v_cndmask_b32_e64 v67, v69, v67, s0
	global_load_dword v70, v[66:67], off offset:512
	v_add_co_u32 v66, vcc_lo, v47, v2
	v_add_co_ci_u32_e64 v67, null, 0, v48, vcc_lo
	v_lshlrev_b64 v[68:69], 3, v[66:67]
	v_lshlrev_b64 v[66:67], 2, v[66:67]
	v_add_co_u32 v68, vcc_lo, s34, v68
	v_add_co_ci_u32_e64 v69, null, s35, v69, vcc_lo
	v_add_co_u32 v66, vcc_lo, s28, v66
	v_add_co_ci_u32_e64 v67, null, s29, v67, vcc_lo
	global_store_dwordx2 v[68:69], v[39:40], off offset:1024
	s_waitcnt vmcnt(0)
	global_store_dword v[66:67], v70, off offset:512
	s_or_b32 exec_lo, exec_lo, s94
	s_and_saveexec_b32 s94, s75
	s_cbranch_execz .LBB51_70
.LBB51_125:                             ;   in Loop: Header=BB51_21 Depth=1
	v_add_co_u32 v66, vcc_lo, v64, v63
	v_add_co_ci_u32_e64 v67, null, 0, v65, vcc_lo
	v_add_co_u32 v68, vcc_lo, v61, v25
	v_add_co_ci_u32_e64 v69, null, v62, v26, vcc_lo
	;; [unrolled: 2-line block ×4, first 2 shown]
	v_cndmask_b32_e64 v66, v68, v66, s0
	v_cndmask_b32_e64 v67, v69, v67, s0
	global_load_dword v70, v[66:67], off
	v_add_co_u32 v66, vcc_lo, v47, v2
	v_add_co_ci_u32_e64 v67, null, 0, v48, vcc_lo
	v_lshlrev_b64 v[68:69], 3, v[66:67]
	v_lshlrev_b64 v[66:67], 2, v[66:67]
	v_add_co_u32 v68, vcc_lo, s34, v68
	v_add_co_ci_u32_e64 v69, null, s35, v69, vcc_lo
	v_add_co_u32 v66, vcc_lo, s28, v66
	v_add_co_ci_u32_e64 v67, null, s29, v67, vcc_lo
	global_store_dwordx2 v[68:69], v[41:42], off offset:1280
	s_waitcnt vmcnt(0)
	global_store_dword v[66:67], v70, off offset:640
	s_or_b32 exec_lo, exec_lo, s94
	s_and_saveexec_b32 s94, s76
	s_cbranch_execz .LBB51_71
.LBB51_126:                             ;   in Loop: Header=BB51_21 Depth=1
	v_add_co_u32 v66, vcc_lo, v64, v63
	v_add_co_ci_u32_e64 v67, null, 0, v65, vcc_lo
	v_add_co_u32 v68, vcc_lo, v61, v27
	v_add_co_ci_u32_e64 v69, null, v62, v28, vcc_lo
	;; [unrolled: 2-line block ×4, first 2 shown]
	v_cndmask_b32_e64 v66, v68, v66, s0
	v_cndmask_b32_e64 v67, v69, v67, s0
	global_load_dword v70, v[66:67], off
	v_add_co_u32 v66, vcc_lo, v47, v2
	v_add_co_ci_u32_e64 v67, null, 0, v48, vcc_lo
	v_lshlrev_b64 v[68:69], 3, v[66:67]
	v_lshlrev_b64 v[66:67], 2, v[66:67]
	v_add_co_u32 v68, vcc_lo, s34, v68
	v_add_co_ci_u32_e64 v69, null, s35, v69, vcc_lo
	v_add_co_u32 v66, vcc_lo, s28, v66
	v_add_co_ci_u32_e64 v67, null, s29, v67, vcc_lo
	global_store_dwordx2 v[68:69], v[43:44], off offset:1536
	s_waitcnt vmcnt(0)
	global_store_dword v[66:67], v70, off offset:768
	s_or_b32 exec_lo, exec_lo, s94
	s_and_saveexec_b32 s94, s7
	s_cbranch_execnz .LBB51_72
	s_branch .LBB51_73
.LBB51_127:                             ;   in Loop: Header=BB51_21 Depth=1
	v_add_co_u32 v66, vcc_lo, v61, v15
	v_add_co_ci_u32_e64 v67, null, v62, v16, vcc_lo
	v_add_co_u32 v68, vcc_lo, v64, v63
	v_add_co_ci_u32_e64 v69, null, 0, v65, vcc_lo
	;; [unrolled: 2-line block ×3, first 2 shown]
	v_cndmask_b32_e64 v66, v66, v68, s0
	v_cndmask_b32_e64 v67, v67, v69, s0
	global_load_dword v70, v[66:67], off
	v_add_co_u32 v66, vcc_lo, v47, v2
	v_add_co_ci_u32_e64 v67, null, 0, v48, vcc_lo
	v_lshlrev_b64 v[68:69], 3, v[66:67]
	v_lshlrev_b64 v[66:67], 2, v[66:67]
	v_add_co_u32 v68, vcc_lo, s34, v68
	v_add_co_ci_u32_e64 v69, null, s35, v69, vcc_lo
	v_add_co_u32 v66, vcc_lo, s28, v66
	v_add_co_ci_u32_e64 v67, null, s29, v67, vcc_lo
	global_store_dwordx2 v[68:69], v[31:32], off
	s_waitcnt vmcnt(0)
	global_store_dword v[66:67], v70, off
	s_or_b32 exec_lo, exec_lo, s94
	s_and_saveexec_b32 s94, s78
	s_cbranch_execz .LBB51_75
.LBB51_128:                             ;   in Loop: Header=BB51_21 Depth=1
	v_add_co_u32 v66, vcc_lo, v64, v63
	v_add_co_ci_u32_e64 v67, null, 0, v65, vcc_lo
	v_add_co_u32 v68, vcc_lo, v61, v17
	v_add_co_ci_u32_e64 v69, null, v62, v18, vcc_lo
	;; [unrolled: 2-line block ×4, first 2 shown]
	v_cndmask_b32_e64 v66, v68, v66, s0
	v_cndmask_b32_e64 v67, v69, v67, s0
	global_load_dword v70, v[66:67], off
	v_add_co_u32 v66, vcc_lo, v47, v2
	v_add_co_ci_u32_e64 v67, null, 0, v48, vcc_lo
	v_lshlrev_b64 v[68:69], 3, v[66:67]
	v_lshlrev_b64 v[66:67], 2, v[66:67]
	v_add_co_u32 v68, vcc_lo, s34, v68
	v_add_co_ci_u32_e64 v69, null, s35, v69, vcc_lo
	v_add_co_u32 v66, vcc_lo, s28, v66
	v_add_co_ci_u32_e64 v67, null, s29, v67, vcc_lo
	global_store_dwordx2 v[68:69], v[33:34], off offset:256
	s_waitcnt vmcnt(0)
	global_store_dword v[66:67], v70, off offset:128
	s_or_b32 exec_lo, exec_lo, s94
	s_and_saveexec_b32 s94, s79
	s_cbranch_execz .LBB51_76
.LBB51_129:                             ;   in Loop: Header=BB51_21 Depth=1
	v_add_co_u32 v66, vcc_lo, v64, v63
	v_add_co_ci_u32_e64 v67, null, 0, v65, vcc_lo
	v_add_co_u32 v68, vcc_lo, v61, v19
	v_add_co_ci_u32_e64 v69, null, v62, v20, vcc_lo
	v_add_co_u32 v66, vcc_lo, 0x100, v66
	v_add_co_ci_u32_e64 v67, null, 0, v67, vcc_lo
	v_add_co_u32 v68, vcc_lo, 0x280, v68
	v_add_co_ci_u32_e64 v69, null, 0, v69, vcc_lo
	v_cndmask_b32_e64 v66, v68, v66, s0
	v_cndmask_b32_e64 v67, v69, v67, s0
	global_load_dword v70, v[66:67], off
	v_add_co_u32 v66, vcc_lo, v47, v2
	v_add_co_ci_u32_e64 v67, null, 0, v48, vcc_lo
	v_lshlrev_b64 v[68:69], 3, v[66:67]
	v_lshlrev_b64 v[66:67], 2, v[66:67]
	v_add_co_u32 v68, vcc_lo, s34, v68
	v_add_co_ci_u32_e64 v69, null, s35, v69, vcc_lo
	v_add_co_u32 v66, vcc_lo, s28, v66
	v_add_co_ci_u32_e64 v67, null, s29, v67, vcc_lo
	global_store_dwordx2 v[68:69], v[35:36], off offset:512
	s_waitcnt vmcnt(0)
	global_store_dword v[66:67], v70, off offset:256
	s_or_b32 exec_lo, exec_lo, s94
	s_and_saveexec_b32 s94, s80
	s_cbranch_execz .LBB51_77
.LBB51_130:                             ;   in Loop: Header=BB51_21 Depth=1
	v_add_co_u32 v66, vcc_lo, v64, v63
	v_add_co_ci_u32_e64 v67, null, 0, v65, vcc_lo
	v_add_co_u32 v68, vcc_lo, v61, v21
	v_add_co_ci_u32_e64 v69, null, v62, v22, vcc_lo
	;; [unrolled: 2-line block ×4, first 2 shown]
	v_cndmask_b32_e64 v66, v68, v66, s0
	v_cndmask_b32_e64 v67, v69, v67, s0
	global_load_dword v70, v[66:67], off
	v_add_co_u32 v66, vcc_lo, v47, v2
	v_add_co_ci_u32_e64 v67, null, 0, v48, vcc_lo
	v_lshlrev_b64 v[68:69], 3, v[66:67]
	v_lshlrev_b64 v[66:67], 2, v[66:67]
	v_add_co_u32 v68, vcc_lo, s34, v68
	v_add_co_ci_u32_e64 v69, null, s35, v69, vcc_lo
	v_add_co_u32 v66, vcc_lo, s28, v66
	v_add_co_ci_u32_e64 v67, null, s29, v67, vcc_lo
	global_store_dwordx2 v[68:69], v[37:38], off offset:768
	s_waitcnt vmcnt(0)
	global_store_dword v[66:67], v70, off offset:384
	s_or_b32 exec_lo, exec_lo, s94
	s_and_saveexec_b32 s94, s81
	s_cbranch_execz .LBB51_78
.LBB51_131:                             ;   in Loop: Header=BB51_21 Depth=1
	v_add_co_u32 v66, vcc_lo, v64, v63
	v_add_co_ci_u32_e64 v67, null, 0, v65, vcc_lo
	v_add_co_u32 v68, vcc_lo, v61, v23
	v_add_co_ci_u32_e64 v69, null, v62, v24, vcc_lo
	;; [unrolled: 2-line block ×4, first 2 shown]
	v_cndmask_b32_e64 v66, v68, v66, s0
	v_cndmask_b32_e64 v67, v69, v67, s0
	global_load_dword v70, v[66:67], off
	v_add_co_u32 v66, vcc_lo, v47, v2
	v_add_co_ci_u32_e64 v67, null, 0, v48, vcc_lo
	v_lshlrev_b64 v[68:69], 3, v[66:67]
	v_lshlrev_b64 v[66:67], 2, v[66:67]
	v_add_co_u32 v68, vcc_lo, s34, v68
	v_add_co_ci_u32_e64 v69, null, s35, v69, vcc_lo
	v_add_co_u32 v66, vcc_lo, s28, v66
	v_add_co_ci_u32_e64 v67, null, s29, v67, vcc_lo
	global_store_dwordx2 v[68:69], v[39:40], off offset:1024
	s_waitcnt vmcnt(0)
	global_store_dword v[66:67], v70, off offset:512
	s_or_b32 exec_lo, exec_lo, s94
	s_and_saveexec_b32 s94, s82
	s_cbranch_execz .LBB51_79
.LBB51_132:                             ;   in Loop: Header=BB51_21 Depth=1
	v_add_co_u32 v66, vcc_lo, v64, v63
	v_add_co_ci_u32_e64 v67, null, 0, v65, vcc_lo
	v_add_co_u32 v68, vcc_lo, v61, v25
	v_add_co_ci_u32_e64 v69, null, v62, v26, vcc_lo
	v_cndmask_b32_e64 v66, v68, v66, s0
	v_cndmask_b32_e64 v67, v69, v67, s0
	global_load_dword v70, v[66:67], off offset:640
	v_add_co_u32 v66, vcc_lo, v47, v2
	v_add_co_ci_u32_e64 v67, null, 0, v48, vcc_lo
	v_lshlrev_b64 v[68:69], 3, v[66:67]
	v_lshlrev_b64 v[66:67], 2, v[66:67]
	v_add_co_u32 v68, vcc_lo, s34, v68
	v_add_co_ci_u32_e64 v69, null, s35, v69, vcc_lo
	v_add_co_u32 v66, vcc_lo, s28, v66
	v_add_co_ci_u32_e64 v67, null, s29, v67, vcc_lo
	global_store_dwordx2 v[68:69], v[41:42], off offset:1280
	s_waitcnt vmcnt(0)
	global_store_dword v[66:67], v70, off offset:640
	s_or_b32 exec_lo, exec_lo, s94
	s_and_saveexec_b32 s94, s83
	s_cbranch_execz .LBB51_80
.LBB51_133:                             ;   in Loop: Header=BB51_21 Depth=1
	v_add_co_u32 v66, vcc_lo, v64, v63
	v_add_co_ci_u32_e64 v67, null, 0, v65, vcc_lo
	v_add_co_u32 v68, vcc_lo, v61, v27
	v_add_co_ci_u32_e64 v69, null, v62, v28, vcc_lo
	;; [unrolled: 2-line block ×4, first 2 shown]
	v_cndmask_b32_e64 v66, v68, v66, s0
	v_cndmask_b32_e64 v67, v69, v67, s0
	global_load_dword v70, v[66:67], off
	v_add_co_u32 v66, vcc_lo, v47, v2
	v_add_co_ci_u32_e64 v67, null, 0, v48, vcc_lo
	v_lshlrev_b64 v[68:69], 3, v[66:67]
	v_lshlrev_b64 v[66:67], 2, v[66:67]
	v_add_co_u32 v68, vcc_lo, s34, v68
	v_add_co_ci_u32_e64 v69, null, s35, v69, vcc_lo
	v_add_co_u32 v66, vcc_lo, s28, v66
	v_add_co_ci_u32_e64 v67, null, s29, v67, vcc_lo
	global_store_dwordx2 v[68:69], v[43:44], off offset:1536
	s_waitcnt vmcnt(0)
	global_store_dword v[66:67], v70, off offset:768
	s_or_b32 exec_lo, exec_lo, s94
	s_and_saveexec_b32 s94, s8
	s_cbranch_execnz .LBB51_81
	s_branch .LBB51_82
.LBB51_134:                             ;   in Loop: Header=BB51_21 Depth=1
	v_add_co_u32 v66, vcc_lo, v61, v15
	v_add_co_ci_u32_e64 v67, null, v62, v16, vcc_lo
	v_add_co_u32 v68, vcc_lo, v64, v63
	v_add_co_ci_u32_e64 v69, null, 0, v65, vcc_lo
	;; [unrolled: 2-line block ×3, first 2 shown]
	v_cndmask_b32_e64 v66, v66, v68, s0
	v_cndmask_b32_e64 v67, v67, v69, s0
	global_load_dword v70, v[66:67], off
	v_add_co_u32 v66, vcc_lo, v47, v2
	v_add_co_ci_u32_e64 v67, null, 0, v48, vcc_lo
	v_lshlrev_b64 v[68:69], 3, v[66:67]
	v_lshlrev_b64 v[66:67], 2, v[66:67]
	v_add_co_u32 v68, vcc_lo, s34, v68
	v_add_co_ci_u32_e64 v69, null, s35, v69, vcc_lo
	v_add_co_u32 v66, vcc_lo, s28, v66
	v_add_co_ci_u32_e64 v67, null, s29, v67, vcc_lo
	global_store_dwordx2 v[68:69], v[31:32], off
	s_waitcnt vmcnt(0)
	global_store_dword v[66:67], v70, off
	s_or_b32 exec_lo, exec_lo, s94
	s_and_saveexec_b32 s94, s85
	s_cbranch_execz .LBB51_84
.LBB51_135:                             ;   in Loop: Header=BB51_21 Depth=1
	v_add_co_u32 v66, vcc_lo, v64, v63
	v_add_co_ci_u32_e64 v67, null, 0, v65, vcc_lo
	v_add_co_u32 v68, vcc_lo, v61, v17
	v_add_co_ci_u32_e64 v69, null, v62, v18, vcc_lo
	;; [unrolled: 2-line block ×4, first 2 shown]
	v_cndmask_b32_e64 v66, v68, v66, s0
	v_cndmask_b32_e64 v67, v69, v67, s0
	global_load_dword v70, v[66:67], off
	v_add_co_u32 v66, vcc_lo, v47, v2
	v_add_co_ci_u32_e64 v67, null, 0, v48, vcc_lo
	v_lshlrev_b64 v[68:69], 3, v[66:67]
	v_lshlrev_b64 v[66:67], 2, v[66:67]
	v_add_co_u32 v68, vcc_lo, s34, v68
	v_add_co_ci_u32_e64 v69, null, s35, v69, vcc_lo
	v_add_co_u32 v66, vcc_lo, s28, v66
	v_add_co_ci_u32_e64 v67, null, s29, v67, vcc_lo
	global_store_dwordx2 v[68:69], v[33:34], off offset:256
	s_waitcnt vmcnt(0)
	global_store_dword v[66:67], v70, off offset:128
	s_or_b32 exec_lo, exec_lo, s94
	s_and_saveexec_b32 s94, s86
	s_cbranch_execz .LBB51_85
.LBB51_136:                             ;   in Loop: Header=BB51_21 Depth=1
	v_add_co_u32 v66, vcc_lo, v64, v63
	v_add_co_ci_u32_e64 v67, null, 0, v65, vcc_lo
	v_add_co_u32 v68, vcc_lo, v61, v19
	v_add_co_ci_u32_e64 v69, null, v62, v20, vcc_lo
	;; [unrolled: 2-line block ×4, first 2 shown]
	v_cndmask_b32_e64 v66, v68, v66, s0
	v_cndmask_b32_e64 v67, v69, v67, s0
	global_load_dword v70, v[66:67], off
	v_add_co_u32 v66, vcc_lo, v47, v2
	v_add_co_ci_u32_e64 v67, null, 0, v48, vcc_lo
	v_lshlrev_b64 v[68:69], 3, v[66:67]
	v_lshlrev_b64 v[66:67], 2, v[66:67]
	v_add_co_u32 v68, vcc_lo, s34, v68
	v_add_co_ci_u32_e64 v69, null, s35, v69, vcc_lo
	v_add_co_u32 v66, vcc_lo, s28, v66
	v_add_co_ci_u32_e64 v67, null, s29, v67, vcc_lo
	global_store_dwordx2 v[68:69], v[35:36], off offset:512
	s_waitcnt vmcnt(0)
	global_store_dword v[66:67], v70, off offset:256
	s_or_b32 exec_lo, exec_lo, s94
	s_and_saveexec_b32 s94, s87
	s_cbranch_execz .LBB51_86
.LBB51_137:                             ;   in Loop: Header=BB51_21 Depth=1
	v_add_co_u32 v66, vcc_lo, v64, v63
	v_add_co_ci_u32_e64 v67, null, 0, v65, vcc_lo
	v_add_co_u32 v68, vcc_lo, v61, v21
	v_add_co_ci_u32_e64 v69, null, v62, v22, vcc_lo
	;; [unrolled: 2-line block ×4, first 2 shown]
	v_cndmask_b32_e64 v66, v68, v66, s0
	v_cndmask_b32_e64 v67, v69, v67, s0
	global_load_dword v70, v[66:67], off
	v_add_co_u32 v66, vcc_lo, v47, v2
	v_add_co_ci_u32_e64 v67, null, 0, v48, vcc_lo
	v_lshlrev_b64 v[68:69], 3, v[66:67]
	v_lshlrev_b64 v[66:67], 2, v[66:67]
	v_add_co_u32 v68, vcc_lo, s34, v68
	v_add_co_ci_u32_e64 v69, null, s35, v69, vcc_lo
	v_add_co_u32 v66, vcc_lo, s28, v66
	v_add_co_ci_u32_e64 v67, null, s29, v67, vcc_lo
	global_store_dwordx2 v[68:69], v[37:38], off offset:768
	s_waitcnt vmcnt(0)
	global_store_dword v[66:67], v70, off offset:384
	s_or_b32 exec_lo, exec_lo, s94
	s_and_saveexec_b32 s94, s88
	s_cbranch_execz .LBB51_87
.LBB51_138:                             ;   in Loop: Header=BB51_21 Depth=1
	v_add_co_u32 v66, vcc_lo, v64, v63
	v_add_co_ci_u32_e64 v67, null, 0, v65, vcc_lo
	v_add_co_u32 v68, vcc_lo, v61, v23
	v_add_co_ci_u32_e64 v69, null, v62, v24, vcc_lo
	;; [unrolled: 2-line block ×4, first 2 shown]
	v_cndmask_b32_e64 v66, v68, v66, s0
	v_cndmask_b32_e64 v67, v69, v67, s0
	global_load_dword v70, v[66:67], off
	v_add_co_u32 v66, vcc_lo, v47, v2
	v_add_co_ci_u32_e64 v67, null, 0, v48, vcc_lo
	v_lshlrev_b64 v[68:69], 3, v[66:67]
	v_lshlrev_b64 v[66:67], 2, v[66:67]
	v_add_co_u32 v68, vcc_lo, s34, v68
	v_add_co_ci_u32_e64 v69, null, s35, v69, vcc_lo
	v_add_co_u32 v66, vcc_lo, s28, v66
	v_add_co_ci_u32_e64 v67, null, s29, v67, vcc_lo
	global_store_dwordx2 v[68:69], v[39:40], off offset:1024
	s_waitcnt vmcnt(0)
	global_store_dword v[66:67], v70, off offset:512
	s_or_b32 exec_lo, exec_lo, s94
	s_and_saveexec_b32 s94, s89
	s_cbranch_execz .LBB51_88
.LBB51_139:                             ;   in Loop: Header=BB51_21 Depth=1
	v_add_co_u32 v66, vcc_lo, v64, v63
	v_add_co_ci_u32_e64 v67, null, 0, v65, vcc_lo
	v_add_co_u32 v68, vcc_lo, v61, v25
	v_add_co_ci_u32_e64 v69, null, v62, v26, vcc_lo
	;; [unrolled: 2-line block ×4, first 2 shown]
	v_cndmask_b32_e64 v66, v68, v66, s0
	v_cndmask_b32_e64 v67, v69, v67, s0
	global_load_dword v70, v[66:67], off
	v_add_co_u32 v66, vcc_lo, v47, v2
	v_add_co_ci_u32_e64 v67, null, 0, v48, vcc_lo
	v_lshlrev_b64 v[68:69], 3, v[66:67]
	v_lshlrev_b64 v[66:67], 2, v[66:67]
	v_add_co_u32 v68, vcc_lo, s34, v68
	v_add_co_ci_u32_e64 v69, null, s35, v69, vcc_lo
	v_add_co_u32 v66, vcc_lo, s28, v66
	v_add_co_ci_u32_e64 v67, null, s29, v67, vcc_lo
	global_store_dwordx2 v[68:69], v[41:42], off offset:1280
	s_waitcnt vmcnt(0)
	global_store_dword v[66:67], v70, off offset:640
	s_or_b32 exec_lo, exec_lo, s94
	s_and_saveexec_b32 s94, s90
	s_cbranch_execz .LBB51_89
.LBB51_140:                             ;   in Loop: Header=BB51_21 Depth=1
	v_add_co_u32 v66, vcc_lo, v64, v63
	v_add_co_ci_u32_e64 v67, null, 0, v65, vcc_lo
	v_add_co_u32 v68, vcc_lo, v61, v27
	v_add_co_ci_u32_e64 v69, null, v62, v28, vcc_lo
	v_cndmask_b32_e64 v66, v68, v66, s0
	v_cndmask_b32_e64 v67, v69, v67, s0
	global_load_dword v70, v[66:67], off offset:768
	v_add_co_u32 v66, vcc_lo, v47, v2
	v_add_co_ci_u32_e64 v67, null, 0, v48, vcc_lo
	v_lshlrev_b64 v[68:69], 3, v[66:67]
	v_lshlrev_b64 v[66:67], 2, v[66:67]
	v_add_co_u32 v68, vcc_lo, s34, v68
	v_add_co_ci_u32_e64 v69, null, s35, v69, vcc_lo
	v_add_co_u32 v66, vcc_lo, s28, v66
	v_add_co_ci_u32_e64 v67, null, s29, v67, vcc_lo
	global_store_dwordx2 v[68:69], v[43:44], off offset:1536
	s_waitcnt vmcnt(0)
	global_store_dword v[66:67], v70, off offset:768
	s_or_b32 exec_lo, exec_lo, s94
	s_and_saveexec_b32 s94, s10
	s_cbranch_execnz .LBB51_90
	s_branch .LBB51_91
.LBB51_141:                             ;   in Loop: Header=BB51_21 Depth=1
	v_add_co_u32 v66, vcc_lo, v61, v15
	v_add_co_ci_u32_e64 v67, null, v62, v16, vcc_lo
	v_add_co_u32 v68, vcc_lo, v64, v63
	v_add_co_ci_u32_e64 v69, null, 0, v65, vcc_lo
	;; [unrolled: 2-line block ×3, first 2 shown]
	v_cndmask_b32_e64 v66, v66, v68, s0
	v_cndmask_b32_e64 v67, v67, v69, s0
	global_load_dword v70, v[66:67], off
	v_add_co_u32 v66, vcc_lo, v47, v2
	v_add_co_ci_u32_e64 v67, null, 0, v48, vcc_lo
	v_lshlrev_b64 v[68:69], 3, v[66:67]
	v_lshlrev_b64 v[66:67], 2, v[66:67]
	v_add_co_u32 v68, vcc_lo, s34, v68
	v_add_co_ci_u32_e64 v69, null, s35, v69, vcc_lo
	v_add_co_u32 v66, vcc_lo, s28, v66
	v_add_co_ci_u32_e64 v67, null, s29, v67, vcc_lo
	global_store_dwordx2 v[68:69], v[31:32], off
	s_waitcnt vmcnt(0)
	global_store_dword v[66:67], v70, off
	s_or_b32 exec_lo, exec_lo, s4
	s_and_saveexec_b32 s4, s91
	s_cbranch_execz .LBB51_93
.LBB51_142:                             ;   in Loop: Header=BB51_21 Depth=1
	v_add_co_u32 v31, vcc_lo, v64, v63
	v_add_co_ci_u32_e64 v32, null, 0, v65, vcc_lo
	v_add_co_u32 v66, vcc_lo, v61, v17
	v_add_co_ci_u32_e64 v67, null, v62, v18, vcc_lo
	v_add_co_u32 v31, vcc_lo, 0x80, v31
	v_add_co_ci_u32_e64 v32, null, 0, v32, vcc_lo
	v_add_co_u32 v66, vcc_lo, 0x380, v66
	v_add_co_ci_u32_e64 v67, null, 0, v67, vcc_lo
	v_cndmask_b32_e64 v31, v66, v31, s0
	v_cndmask_b32_e64 v32, v67, v32, s0
	global_load_dword v68, v[31:32], off
	v_add_co_u32 v31, vcc_lo, v47, v2
	v_add_co_ci_u32_e64 v32, null, 0, v48, vcc_lo
	v_lshlrev_b64 v[66:67], 3, v[31:32]
	v_lshlrev_b64 v[31:32], 2, v[31:32]
	v_add_co_u32 v66, vcc_lo, s34, v66
	v_add_co_ci_u32_e64 v67, null, s35, v67, vcc_lo
	v_add_co_u32 v31, vcc_lo, s28, v31
	v_add_co_ci_u32_e64 v32, null, s29, v32, vcc_lo
	global_store_dwordx2 v[66:67], v[33:34], off offset:256
	s_waitcnt vmcnt(0)
	global_store_dword v[31:32], v68, off offset:128
	s_or_b32 exec_lo, exec_lo, s4
	s_and_saveexec_b32 s4, s92
	s_cbranch_execz .LBB51_94
.LBB51_143:                             ;   in Loop: Header=BB51_21 Depth=1
	v_add_co_u32 v31, vcc_lo, v64, v63
	v_add_co_ci_u32_e64 v32, null, 0, v65, vcc_lo
	v_add_co_u32 v33, vcc_lo, v61, v19
	v_add_co_ci_u32_e64 v34, null, v62, v20, vcc_lo
	;; [unrolled: 2-line block ×4, first 2 shown]
	v_cndmask_b32_e64 v31, v33, v31, s0
	v_cndmask_b32_e64 v32, v34, v32, s0
	global_load_dword v66, v[31:32], off
	v_add_co_u32 v31, vcc_lo, v47, v2
	v_add_co_ci_u32_e64 v32, null, 0, v48, vcc_lo
	v_lshlrev_b64 v[33:34], 3, v[31:32]
	v_lshlrev_b64 v[31:32], 2, v[31:32]
	v_add_co_u32 v33, vcc_lo, s34, v33
	v_add_co_ci_u32_e64 v34, null, s35, v34, vcc_lo
	v_add_co_u32 v31, vcc_lo, s28, v31
	v_add_co_ci_u32_e64 v32, null, s29, v32, vcc_lo
	global_store_dwordx2 v[33:34], v[35:36], off offset:512
	s_waitcnt vmcnt(0)
	global_store_dword v[31:32], v66, off offset:256
	s_or_b32 exec_lo, exec_lo, s4
	s_and_saveexec_b32 s4, s11
	s_cbranch_execz .LBB51_95
.LBB51_144:                             ;   in Loop: Header=BB51_21 Depth=1
	v_add_co_u32 v31, vcc_lo, v64, v63
	v_add_co_ci_u32_e64 v32, null, 0, v65, vcc_lo
	v_add_co_u32 v33, vcc_lo, v61, v21
	v_add_co_ci_u32_e64 v34, null, v62, v22, vcc_lo
	;; [unrolled: 2-line block ×4, first 2 shown]
	v_cndmask_b32_e64 v31, v33, v31, s0
	v_cndmask_b32_e64 v32, v34, v32, s0
	global_load_dword v35, v[31:32], off
	v_add_co_u32 v31, vcc_lo, v47, v2
	v_add_co_ci_u32_e64 v32, null, 0, v48, vcc_lo
	v_lshlrev_b64 v[33:34], 3, v[31:32]
	v_lshlrev_b64 v[31:32], 2, v[31:32]
	v_add_co_u32 v33, vcc_lo, s34, v33
	v_add_co_ci_u32_e64 v34, null, s35, v34, vcc_lo
	v_add_co_u32 v31, vcc_lo, s28, v31
	v_add_co_ci_u32_e64 v32, null, s29, v32, vcc_lo
	global_store_dwordx2 v[33:34], v[37:38], off offset:768
	s_waitcnt vmcnt(0)
	global_store_dword v[31:32], v35, off offset:384
	s_or_b32 exec_lo, exec_lo, s4
	s_and_saveexec_b32 s4, s12
	s_cbranch_execz .LBB51_96
.LBB51_145:                             ;   in Loop: Header=BB51_21 Depth=1
	v_add_co_u32 v31, vcc_lo, v64, v63
	v_add_co_ci_u32_e64 v32, null, 0, v65, vcc_lo
	v_add_co_u32 v33, vcc_lo, v61, v23
	v_add_co_ci_u32_e64 v34, null, v62, v24, vcc_lo
	;; [unrolled: 2-line block ×4, first 2 shown]
	v_cndmask_b32_e64 v31, v33, v31, s0
	v_cndmask_b32_e64 v32, v34, v32, s0
	global_load_dword v35, v[31:32], off
	v_add_co_u32 v31, vcc_lo, v47, v2
	v_add_co_ci_u32_e64 v32, null, 0, v48, vcc_lo
	v_lshlrev_b64 v[33:34], 3, v[31:32]
	v_lshlrev_b64 v[31:32], 2, v[31:32]
	v_add_co_u32 v33, vcc_lo, s34, v33
	v_add_co_ci_u32_e64 v34, null, s35, v34, vcc_lo
	v_add_co_u32 v31, vcc_lo, s28, v31
	v_add_co_ci_u32_e64 v32, null, s29, v32, vcc_lo
	global_store_dwordx2 v[33:34], v[39:40], off offset:1024
	s_waitcnt vmcnt(0)
	global_store_dword v[31:32], v35, off offset:512
	s_or_b32 exec_lo, exec_lo, s4
	s_and_saveexec_b32 s4, s13
	s_cbranch_execz .LBB51_97
.LBB51_146:                             ;   in Loop: Header=BB51_21 Depth=1
	v_add_co_u32 v31, vcc_lo, v64, v63
	v_add_co_ci_u32_e64 v32, null, 0, v65, vcc_lo
	v_add_co_u32 v33, vcc_lo, v61, v25
	v_add_co_ci_u32_e64 v34, null, v62, v26, vcc_lo
	;; [unrolled: 2-line block ×4, first 2 shown]
	v_cndmask_b32_e64 v31, v33, v31, s0
	v_cndmask_b32_e64 v32, v34, v32, s0
	global_load_dword v35, v[31:32], off
	v_add_co_u32 v31, vcc_lo, v47, v2
	v_add_co_ci_u32_e64 v32, null, 0, v48, vcc_lo
	v_lshlrev_b64 v[33:34], 3, v[31:32]
	v_lshlrev_b64 v[31:32], 2, v[31:32]
	v_add_co_u32 v33, vcc_lo, s34, v33
	v_add_co_ci_u32_e64 v34, null, s35, v34, vcc_lo
	v_add_co_u32 v31, vcc_lo, s28, v31
	v_add_co_ci_u32_e64 v32, null, s29, v32, vcc_lo
	global_store_dwordx2 v[33:34], v[41:42], off offset:1280
	s_waitcnt vmcnt(0)
	global_store_dword v[31:32], v35, off offset:640
	s_or_b32 exec_lo, exec_lo, s4
	s_and_saveexec_b32 s4, s14
	s_cbranch_execz .LBB51_98
.LBB51_147:                             ;   in Loop: Header=BB51_21 Depth=1
	v_add_co_u32 v31, vcc_lo, v64, v63
	v_add_co_ci_u32_e64 v32, null, 0, v65, vcc_lo
	v_add_co_u32 v33, vcc_lo, v61, v27
	v_add_co_ci_u32_e64 v34, null, v62, v28, vcc_lo
	;; [unrolled: 2-line block ×4, first 2 shown]
	v_cndmask_b32_e64 v31, v33, v31, s0
	v_cndmask_b32_e64 v32, v34, v32, s0
	global_load_dword v35, v[31:32], off
	v_add_co_u32 v31, vcc_lo, v47, v2
	v_add_co_ci_u32_e64 v32, null, 0, v48, vcc_lo
	v_lshlrev_b64 v[33:34], 3, v[31:32]
	v_lshlrev_b64 v[31:32], 2, v[31:32]
	v_add_co_u32 v33, vcc_lo, s34, v33
	v_add_co_ci_u32_e64 v34, null, s35, v34, vcc_lo
	v_add_co_u32 v31, vcc_lo, s28, v31
	v_add_co_ci_u32_e64 v32, null, s29, v32, vcc_lo
	global_store_dwordx2 v[33:34], v[43:44], off offset:1536
	s_waitcnt vmcnt(0)
	global_store_dword v[31:32], v35, off offset:768
	s_or_b32 exec_lo, exec_lo, s4
	s_and_saveexec_b32 s4, s9
	s_cbranch_execz .LBB51_20
.LBB51_148:                             ;   in Loop: Header=BB51_21 Depth=1
	v_add_co_u32 v31, vcc_lo, v64, v63
	v_add_co_ci_u32_e64 v32, null, 0, v65, vcc_lo
	v_add_co_u32 v33, vcc_lo, v61, v29
	v_add_co_ci_u32_e64 v34, null, v62, v30, vcc_lo
	v_cndmask_b32_e64 v31, v33, v31, s0
	v_cndmask_b32_e64 v32, v34, v32, s0
	global_load_dword v35, v[31:32], off offset:896
	v_add_co_u32 v31, vcc_lo, v47, v2
	v_add_co_ci_u32_e64 v32, null, 0, v48, vcc_lo
	v_lshlrev_b64 v[33:34], 3, v[31:32]
	v_lshlrev_b64 v[31:32], 2, v[31:32]
	v_add_co_u32 v33, vcc_lo, s34, v33
	v_add_co_ci_u32_e64 v34, null, s35, v34, vcc_lo
	v_add_co_u32 v31, vcc_lo, s28, v31
	v_add_co_ci_u32_e64 v32, null, s29, v32, vcc_lo
	global_store_dwordx2 v[33:34], v[45:46], off offset:1792
	s_waitcnt vmcnt(0)
	global_store_dword v[31:32], v35, off offset:896
	s_branch .LBB51_20
.LBB51_149:
	s_endpgm
	.section	.rodata,"a",@progbits
	.p2align	6, 0x0
	.amdhsa_kernel _ZN9rocsparseL35bsr2csr_block_per_row_33_256_kernelILj1024ELj256ELj32EillEEv20rocsparse_direction_T4_S2_21rocsparse_index_base_PKT2_PKT3_PKS2_S2_S3_PS4_PS7_PS2_
		.amdhsa_group_segment_fixed_size 0
		.amdhsa_private_segment_fixed_size 0
		.amdhsa_kernarg_size 96
		.amdhsa_user_sgpr_count 6
		.amdhsa_user_sgpr_private_segment_buffer 1
		.amdhsa_user_sgpr_dispatch_ptr 0
		.amdhsa_user_sgpr_queue_ptr 0
		.amdhsa_user_sgpr_kernarg_segment_ptr 1
		.amdhsa_user_sgpr_dispatch_id 0
		.amdhsa_user_sgpr_flat_scratch_init 0
		.amdhsa_user_sgpr_private_segment_size 0
		.amdhsa_wavefront_size32 1
		.amdhsa_uses_dynamic_stack 0
		.amdhsa_system_sgpr_private_segment_wavefront_offset 0
		.amdhsa_system_sgpr_workgroup_id_x 1
		.amdhsa_system_sgpr_workgroup_id_y 0
		.amdhsa_system_sgpr_workgroup_id_z 0
		.amdhsa_system_sgpr_workgroup_info 0
		.amdhsa_system_vgpr_workitem_id 0
		.amdhsa_next_free_vgpr 71
		.amdhsa_next_free_sgpr 100
		.amdhsa_reserve_vcc 1
		.amdhsa_reserve_flat_scratch 0
		.amdhsa_float_round_mode_32 0
		.amdhsa_float_round_mode_16_64 0
		.amdhsa_float_denorm_mode_32 3
		.amdhsa_float_denorm_mode_16_64 3
		.amdhsa_dx10_clamp 1
		.amdhsa_ieee_mode 1
		.amdhsa_fp16_overflow 0
		.amdhsa_workgroup_processor_mode 1
		.amdhsa_memory_ordered 1
		.amdhsa_forward_progress 1
		.amdhsa_shared_vgpr_count 0
		.amdhsa_exception_fp_ieee_invalid_op 0
		.amdhsa_exception_fp_denorm_src 0
		.amdhsa_exception_fp_ieee_div_zero 0
		.amdhsa_exception_fp_ieee_overflow 0
		.amdhsa_exception_fp_ieee_underflow 0
		.amdhsa_exception_fp_ieee_inexact 0
		.amdhsa_exception_int_div_zero 0
	.end_amdhsa_kernel
	.section	.text._ZN9rocsparseL35bsr2csr_block_per_row_33_256_kernelILj1024ELj256ELj32EillEEv20rocsparse_direction_T4_S2_21rocsparse_index_base_PKT2_PKT3_PKS2_S2_S3_PS4_PS7_PS2_,"axG",@progbits,_ZN9rocsparseL35bsr2csr_block_per_row_33_256_kernelILj1024ELj256ELj32EillEEv20rocsparse_direction_T4_S2_21rocsparse_index_base_PKT2_PKT3_PKS2_S2_S3_PS4_PS7_PS2_,comdat
.Lfunc_end51:
	.size	_ZN9rocsparseL35bsr2csr_block_per_row_33_256_kernelILj1024ELj256ELj32EillEEv20rocsparse_direction_T4_S2_21rocsparse_index_base_PKT2_PKT3_PKS2_S2_S3_PS4_PS7_PS2_, .Lfunc_end51-_ZN9rocsparseL35bsr2csr_block_per_row_33_256_kernelILj1024ELj256ELj32EillEEv20rocsparse_direction_T4_S2_21rocsparse_index_base_PKT2_PKT3_PKS2_S2_S3_PS4_PS7_PS2_
                                        ; -- End function
	.set _ZN9rocsparseL35bsr2csr_block_per_row_33_256_kernelILj1024ELj256ELj32EillEEv20rocsparse_direction_T4_S2_21rocsparse_index_base_PKT2_PKT3_PKS2_S2_S3_PS4_PS7_PS2_.num_vgpr, 71
	.set _ZN9rocsparseL35bsr2csr_block_per_row_33_256_kernelILj1024ELj256ELj32EillEEv20rocsparse_direction_T4_S2_21rocsparse_index_base_PKT2_PKT3_PKS2_S2_S3_PS4_PS7_PS2_.num_agpr, 0
	.set _ZN9rocsparseL35bsr2csr_block_per_row_33_256_kernelILj1024ELj256ELj32EillEEv20rocsparse_direction_T4_S2_21rocsparse_index_base_PKT2_PKT3_PKS2_S2_S3_PS4_PS7_PS2_.numbered_sgpr, 100
	.set _ZN9rocsparseL35bsr2csr_block_per_row_33_256_kernelILj1024ELj256ELj32EillEEv20rocsparse_direction_T4_S2_21rocsparse_index_base_PKT2_PKT3_PKS2_S2_S3_PS4_PS7_PS2_.num_named_barrier, 0
	.set _ZN9rocsparseL35bsr2csr_block_per_row_33_256_kernelILj1024ELj256ELj32EillEEv20rocsparse_direction_T4_S2_21rocsparse_index_base_PKT2_PKT3_PKS2_S2_S3_PS4_PS7_PS2_.private_seg_size, 0
	.set _ZN9rocsparseL35bsr2csr_block_per_row_33_256_kernelILj1024ELj256ELj32EillEEv20rocsparse_direction_T4_S2_21rocsparse_index_base_PKT2_PKT3_PKS2_S2_S3_PS4_PS7_PS2_.uses_vcc, 1
	.set _ZN9rocsparseL35bsr2csr_block_per_row_33_256_kernelILj1024ELj256ELj32EillEEv20rocsparse_direction_T4_S2_21rocsparse_index_base_PKT2_PKT3_PKS2_S2_S3_PS4_PS7_PS2_.uses_flat_scratch, 0
	.set _ZN9rocsparseL35bsr2csr_block_per_row_33_256_kernelILj1024ELj256ELj32EillEEv20rocsparse_direction_T4_S2_21rocsparse_index_base_PKT2_PKT3_PKS2_S2_S3_PS4_PS7_PS2_.has_dyn_sized_stack, 0
	.set _ZN9rocsparseL35bsr2csr_block_per_row_33_256_kernelILj1024ELj256ELj32EillEEv20rocsparse_direction_T4_S2_21rocsparse_index_base_PKT2_PKT3_PKS2_S2_S3_PS4_PS7_PS2_.has_recursion, 0
	.set _ZN9rocsparseL35bsr2csr_block_per_row_33_256_kernelILj1024ELj256ELj32EillEEv20rocsparse_direction_T4_S2_21rocsparse_index_base_PKT2_PKT3_PKS2_S2_S3_PS4_PS7_PS2_.has_indirect_call, 0
	.section	.AMDGPU.csdata,"",@progbits
; Kernel info:
; codeLenInByte = 14780
; TotalNumSgprs: 102
; NumVgprs: 71
; ScratchSize: 0
; MemoryBound: 0
; FloatMode: 240
; IeeeMode: 1
; LDSByteSize: 0 bytes/workgroup (compile time only)
; SGPRBlocks: 0
; VGPRBlocks: 8
; NumSGPRsForWavesPerEU: 102
; NumVGPRsForWavesPerEU: 71
; Occupancy: 12
; WaveLimiterHint : 1
; COMPUTE_PGM_RSRC2:SCRATCH_EN: 0
; COMPUTE_PGM_RSRC2:USER_SGPR: 6
; COMPUTE_PGM_RSRC2:TRAP_HANDLER: 0
; COMPUTE_PGM_RSRC2:TGID_X_EN: 1
; COMPUTE_PGM_RSRC2:TGID_Y_EN: 0
; COMPUTE_PGM_RSRC2:TGID_Z_EN: 0
; COMPUTE_PGM_RSRC2:TIDIG_COMP_CNT: 0
	.section	.text._ZN9rocsparseL35bsr2csr_block_dim_equals_one_kernelILj1024EliiEEvT2_S1_21rocsparse_index_base_PKT0_PKT1_PKS1_S2_PS3_PS6_PS1_,"axG",@progbits,_ZN9rocsparseL35bsr2csr_block_dim_equals_one_kernelILj1024EliiEEvT2_S1_21rocsparse_index_base_PKT0_PKT1_PKS1_S2_PS3_PS6_PS1_,comdat
	.globl	_ZN9rocsparseL35bsr2csr_block_dim_equals_one_kernelILj1024EliiEEvT2_S1_21rocsparse_index_base_PKT0_PKT1_PKS1_S2_PS3_PS6_PS1_ ; -- Begin function _ZN9rocsparseL35bsr2csr_block_dim_equals_one_kernelILj1024EliiEEvT2_S1_21rocsparse_index_base_PKT0_PKT1_PKS1_S2_PS3_PS6_PS1_
	.p2align	8
	.type	_ZN9rocsparseL35bsr2csr_block_dim_equals_one_kernelILj1024EliiEEvT2_S1_21rocsparse_index_base_PKT0_PKT1_PKS1_S2_PS3_PS6_PS1_,@function
_ZN9rocsparseL35bsr2csr_block_dim_equals_one_kernelILj1024EliiEEvT2_S1_21rocsparse_index_base_PKT0_PKT1_PKS1_S2_PS3_PS6_PS1_: ; @_ZN9rocsparseL35bsr2csr_block_dim_equals_one_kernelILj1024EliiEEvT2_S1_21rocsparse_index_base_PKT0_PKT1_PKS1_S2_PS3_PS6_PS1_
; %bb.0:
	s_clause 0x6
	s_load_dword s0, s[4:5], 0x0
	s_load_dword s16, s[4:5], 0x8
	s_load_dwordx4 s[8:11], s[4:5], 0x10
	s_load_dwordx2 s[2:3], s[4:5], 0x20
	s_load_dwordx2 s[12:13], s[4:5], 0x40
	s_load_dword s17, s[4:5], 0x28
	s_load_dwordx2 s[14:15], s[4:5], 0x30
	v_lshl_or_b32 v0, s6, 10, v0
	s_mov_b32 s1, exec_lo
	s_waitcnt lgkmcnt(0)
	v_cmpx_gt_i32_e64 s0, v0
	s_cbranch_execz .LBB52_6
; %bb.1:
	s_load_dwordx2 s[6:7], s[4:5], 0x38
	s_mov_b32 s18, exec_lo
                                        ; implicit-def: $sgpr19
	v_cmpx_ne_u32_e32 0, v0
	s_xor_b32 s18, exec_lo, s18
; %bb.2:
	s_sub_i32 s19, s17, s16
; %bb.3:
	s_or_saveexec_b32 s18, s18
	v_mov_b32_e32 v2, s19
	s_xor_b32 exec_lo, exec_lo, s18
	s_cbranch_execz .LBB52_5
; %bb.4:
	s_load_dword s19, s[10:11], 0x0
	s_sub_i32 s20, s17, s16
	v_mov_b32_e32 v1, 0
	v_mov_b32_e32 v2, s20
	s_waitcnt lgkmcnt(0)
	s_add_i32 s19, s20, s19
	v_mov_b32_e32 v3, s19
	global_store_dword v1, v3, s[6:7]
.LBB52_5:
	s_or_b32 exec_lo, exec_lo, s18
	v_ashrrev_i32_e32 v1, 31, v0
	v_lshlrev_b64 v[3:4], 2, v[0:1]
	v_add_co_u32 v5, vcc_lo, s10, v3
	v_add_co_ci_u32_e64 v6, null, s11, v4, vcc_lo
	global_load_dword v1, v[5:6], off offset:4
	s_waitcnt vmcnt(0)
	v_add_nc_u32_e32 v5, v2, v1
	s_waitcnt lgkmcnt(0)
	v_add_co_u32 v1, vcc_lo, s6, v3
	v_add_co_ci_u32_e64 v2, null, s7, v4, vcc_lo
	global_store_dword v[1:2], v5, off offset:4
.LBB52_6:
	s_or_b32 exec_lo, exec_lo, s1
	s_ashr_i32 s1, s0, 31
	s_lshl_b64 s[0:1], s[0:1], 2
	s_add_u32 s0, s10, s0
	s_addc_u32 s1, s11, s1
	s_clause 0x1
	s_load_dword s0, s[0:1], 0x0
	s_load_dword s1, s[10:11], 0x0
	s_waitcnt lgkmcnt(0)
	s_sub_i32 s1, s0, s1
	s_mov_b32 s0, exec_lo
	v_cmpx_gt_i32_e64 s1, v0
	s_cbranch_execz .LBB52_9
; %bb.7:
	s_load_dword s0, s[4:5], 0x48
	s_sub_i32 s4, s17, s16
	s_mov_b32 s6, 0
	s_waitcnt lgkmcnt(0)
	s_lshl_b32 s5, s0, 10
	s_inst_prefetch 0x1
	.p2align	6
.LBB52_8:                               ; =>This Inner Loop Header: Depth=1
	v_ashrrev_i32_e32 v1, 31, v0
	v_lshlrev_b64 v[2:3], 2, v[0:1]
	v_lshlrev_b64 v[6:7], 3, v[0:1]
	v_add_nc_u32_e32 v0, s5, v0
	v_add_co_u32 v4, vcc_lo, s2, v2
	v_add_co_ci_u32_e64 v5, null, s3, v3, vcc_lo
	v_add_co_u32 v1, s0, s12, v2
	v_add_co_ci_u32_e64 v2, null, s13, v3, s0
	global_load_dword v8, v[4:5], off
	v_add_co_u32 v4, vcc_lo, s8, v6
	v_add_co_ci_u32_e64 v5, null, s9, v7, vcc_lo
	v_cmp_le_i32_e32 vcc_lo, s1, v0
	v_add_co_u32 v6, s0, s14, v6
	global_load_dwordx2 v[4:5], v[4:5], off
	v_add_co_ci_u32_e64 v7, null, s15, v7, s0
	s_or_b32 s6, vcc_lo, s6
	s_waitcnt vmcnt(1)
	v_add_nc_u32_e32 v3, s4, v8
	global_store_dword v[1:2], v3, off
	s_waitcnt vmcnt(0)
	global_store_dwordx2 v[6:7], v[4:5], off
	s_andn2_b32 exec_lo, exec_lo, s6
	s_cbranch_execnz .LBB52_8
.LBB52_9:
	s_inst_prefetch 0x2
	s_endpgm
	.section	.rodata,"a",@progbits
	.p2align	6, 0x0
	.amdhsa_kernel _ZN9rocsparseL35bsr2csr_block_dim_equals_one_kernelILj1024EliiEEvT2_S1_21rocsparse_index_base_PKT0_PKT1_PKS1_S2_PS3_PS6_PS1_
		.amdhsa_group_segment_fixed_size 0
		.amdhsa_private_segment_fixed_size 0
		.amdhsa_kernarg_size 328
		.amdhsa_user_sgpr_count 6
		.amdhsa_user_sgpr_private_segment_buffer 1
		.amdhsa_user_sgpr_dispatch_ptr 0
		.amdhsa_user_sgpr_queue_ptr 0
		.amdhsa_user_sgpr_kernarg_segment_ptr 1
		.amdhsa_user_sgpr_dispatch_id 0
		.amdhsa_user_sgpr_flat_scratch_init 0
		.amdhsa_user_sgpr_private_segment_size 0
		.amdhsa_wavefront_size32 1
		.amdhsa_uses_dynamic_stack 0
		.amdhsa_system_sgpr_private_segment_wavefront_offset 0
		.amdhsa_system_sgpr_workgroup_id_x 1
		.amdhsa_system_sgpr_workgroup_id_y 0
		.amdhsa_system_sgpr_workgroup_id_z 0
		.amdhsa_system_sgpr_workgroup_info 0
		.amdhsa_system_vgpr_workitem_id 0
		.amdhsa_next_free_vgpr 9
		.amdhsa_next_free_sgpr 21
		.amdhsa_reserve_vcc 1
		.amdhsa_reserve_flat_scratch 0
		.amdhsa_float_round_mode_32 0
		.amdhsa_float_round_mode_16_64 0
		.amdhsa_float_denorm_mode_32 3
		.amdhsa_float_denorm_mode_16_64 3
		.amdhsa_dx10_clamp 1
		.amdhsa_ieee_mode 1
		.amdhsa_fp16_overflow 0
		.amdhsa_workgroup_processor_mode 1
		.amdhsa_memory_ordered 1
		.amdhsa_forward_progress 1
		.amdhsa_shared_vgpr_count 0
		.amdhsa_exception_fp_ieee_invalid_op 0
		.amdhsa_exception_fp_denorm_src 0
		.amdhsa_exception_fp_ieee_div_zero 0
		.amdhsa_exception_fp_ieee_overflow 0
		.amdhsa_exception_fp_ieee_underflow 0
		.amdhsa_exception_fp_ieee_inexact 0
		.amdhsa_exception_int_div_zero 0
	.end_amdhsa_kernel
	.section	.text._ZN9rocsparseL35bsr2csr_block_dim_equals_one_kernelILj1024EliiEEvT2_S1_21rocsparse_index_base_PKT0_PKT1_PKS1_S2_PS3_PS6_PS1_,"axG",@progbits,_ZN9rocsparseL35bsr2csr_block_dim_equals_one_kernelILj1024EliiEEvT2_S1_21rocsparse_index_base_PKT0_PKT1_PKS1_S2_PS3_PS6_PS1_,comdat
.Lfunc_end52:
	.size	_ZN9rocsparseL35bsr2csr_block_dim_equals_one_kernelILj1024EliiEEvT2_S1_21rocsparse_index_base_PKT0_PKT1_PKS1_S2_PS3_PS6_PS1_, .Lfunc_end52-_ZN9rocsparseL35bsr2csr_block_dim_equals_one_kernelILj1024EliiEEvT2_S1_21rocsparse_index_base_PKT0_PKT1_PKS1_S2_PS3_PS6_PS1_
                                        ; -- End function
	.set _ZN9rocsparseL35bsr2csr_block_dim_equals_one_kernelILj1024EliiEEvT2_S1_21rocsparse_index_base_PKT0_PKT1_PKS1_S2_PS3_PS6_PS1_.num_vgpr, 9
	.set _ZN9rocsparseL35bsr2csr_block_dim_equals_one_kernelILj1024EliiEEvT2_S1_21rocsparse_index_base_PKT0_PKT1_PKS1_S2_PS3_PS6_PS1_.num_agpr, 0
	.set _ZN9rocsparseL35bsr2csr_block_dim_equals_one_kernelILj1024EliiEEvT2_S1_21rocsparse_index_base_PKT0_PKT1_PKS1_S2_PS3_PS6_PS1_.numbered_sgpr, 21
	.set _ZN9rocsparseL35bsr2csr_block_dim_equals_one_kernelILj1024EliiEEvT2_S1_21rocsparse_index_base_PKT0_PKT1_PKS1_S2_PS3_PS6_PS1_.num_named_barrier, 0
	.set _ZN9rocsparseL35bsr2csr_block_dim_equals_one_kernelILj1024EliiEEvT2_S1_21rocsparse_index_base_PKT0_PKT1_PKS1_S2_PS3_PS6_PS1_.private_seg_size, 0
	.set _ZN9rocsparseL35bsr2csr_block_dim_equals_one_kernelILj1024EliiEEvT2_S1_21rocsparse_index_base_PKT0_PKT1_PKS1_S2_PS3_PS6_PS1_.uses_vcc, 1
	.set _ZN9rocsparseL35bsr2csr_block_dim_equals_one_kernelILj1024EliiEEvT2_S1_21rocsparse_index_base_PKT0_PKT1_PKS1_S2_PS3_PS6_PS1_.uses_flat_scratch, 0
	.set _ZN9rocsparseL35bsr2csr_block_dim_equals_one_kernelILj1024EliiEEvT2_S1_21rocsparse_index_base_PKT0_PKT1_PKS1_S2_PS3_PS6_PS1_.has_dyn_sized_stack, 0
	.set _ZN9rocsparseL35bsr2csr_block_dim_equals_one_kernelILj1024EliiEEvT2_S1_21rocsparse_index_base_PKT0_PKT1_PKS1_S2_PS3_PS6_PS1_.has_recursion, 0
	.set _ZN9rocsparseL35bsr2csr_block_dim_equals_one_kernelILj1024EliiEEvT2_S1_21rocsparse_index_base_PKT0_PKT1_PKS1_S2_PS3_PS6_PS1_.has_indirect_call, 0
	.section	.AMDGPU.csdata,"",@progbits
; Kernel info:
; codeLenInByte = 540
; TotalNumSgprs: 23
; NumVgprs: 9
; ScratchSize: 0
; MemoryBound: 0
; FloatMode: 240
; IeeeMode: 1
; LDSByteSize: 0 bytes/workgroup (compile time only)
; SGPRBlocks: 0
; VGPRBlocks: 1
; NumSGPRsForWavesPerEU: 23
; NumVGPRsForWavesPerEU: 9
; Occupancy: 16
; WaveLimiterHint : 0
; COMPUTE_PGM_RSRC2:SCRATCH_EN: 0
; COMPUTE_PGM_RSRC2:USER_SGPR: 6
; COMPUTE_PGM_RSRC2:TRAP_HANDLER: 0
; COMPUTE_PGM_RSRC2:TGID_X_EN: 1
; COMPUTE_PGM_RSRC2:TGID_Y_EN: 0
; COMPUTE_PGM_RSRC2:TGID_Z_EN: 0
; COMPUTE_PGM_RSRC2:TIDIG_COMP_CNT: 0
	.section	.text._ZN9rocsparseL32bsr2csr_block_per_row_2_7_kernelILj256ELj2EliiEEv20rocsparse_direction_T3_S2_21rocsparse_index_base_PKT1_PKT2_PKS2_S2_S3_PS4_PS7_PS2_,"axG",@progbits,_ZN9rocsparseL32bsr2csr_block_per_row_2_7_kernelILj256ELj2EliiEEv20rocsparse_direction_T3_S2_21rocsparse_index_base_PKT1_PKT2_PKS2_S2_S3_PS4_PS7_PS2_,comdat
	.globl	_ZN9rocsparseL32bsr2csr_block_per_row_2_7_kernelILj256ELj2EliiEEv20rocsparse_direction_T3_S2_21rocsparse_index_base_PKT1_PKT2_PKS2_S2_S3_PS4_PS7_PS2_ ; -- Begin function _ZN9rocsparseL32bsr2csr_block_per_row_2_7_kernelILj256ELj2EliiEEv20rocsparse_direction_T3_S2_21rocsparse_index_base_PKT1_PKT2_PKS2_S2_S3_PS4_PS7_PS2_
	.p2align	8
	.type	_ZN9rocsparseL32bsr2csr_block_per_row_2_7_kernelILj256ELj2EliiEEv20rocsparse_direction_T3_S2_21rocsparse_index_base_PKT1_PKT2_PKS2_S2_S3_PS4_PS7_PS2_,@function
_ZN9rocsparseL32bsr2csr_block_per_row_2_7_kernelILj256ELj2EliiEEv20rocsparse_direction_T3_S2_21rocsparse_index_base_PKT1_PKT2_PKS2_S2_S3_PS4_PS7_PS2_: ; @_ZN9rocsparseL32bsr2csr_block_per_row_2_7_kernelILj256ELj2EliiEEv20rocsparse_direction_T3_S2_21rocsparse_index_base_PKT1_PKT2_PKS2_S2_S3_PS4_PS7_PS2_
; %bb.0:
	s_load_dwordx2 s[0:1], s[4:5], 0x18
	s_ashr_i32 s7, s6, 31
	s_clause 0x1
	s_load_dword s10, s[4:5], 0x2c
	s_load_dwordx2 s[2:3], s[4:5], 0x38
	s_lshl_b64 s[8:9], s[6:7], 2
	v_or_b32_e32 v1, s6, v0
	s_mov_b32 s7, exec_lo
	s_waitcnt lgkmcnt(0)
	s_add_u32 s0, s0, s8
	s_addc_u32 s1, s1, s9
	s_load_dwordx2 s[0:1], s[0:1], 0x0
	v_cmpx_eq_u32_e32 0, v1
	s_cbranch_execz .LBB53_2
; %bb.1:
	v_mov_b32_e32 v1, 0
	v_mov_b32_e32 v2, s10
	global_store_dword v1, v2, s[2:3]
.LBB53_2:
	s_or_b32 exec_lo, exec_lo, s7
	s_load_dword s11, s[4:5], 0xc
	v_and_b32_e32 v4, 1, v0
	v_mov_b32_e32 v2, 0
	v_lshrrev_b32_e32 v0, 1, v0
	v_lshl_or_b32 v1, s6, 1, v4
	v_add_nc_u32_e32 v1, 1, v1
	v_lshlrev_b64 v[6:7], 2, v[1:2]
	s_waitcnt lgkmcnt(0)
	s_sub_i32 s6, s0, s11
	s_sub_i32 s12, s1, s11
	s_lshl_b32 s7, s6, 2
	s_sub_i32 s1, s12, s6
	v_add_co_u32 v6, vcc_lo, s2, v6
	s_lshl_b32 s1, s1, 1
	v_add_nc_u32_e32 v3, s6, v0
	v_mul_lo_u32 v5, s1, v4
	s_add_i32 s1, s1, s10
	v_add_co_ci_u32_e64 v7, null, s3, v7, vcc_lo
	v_add3_u32 v1, s1, s7, v5
	s_mov_b32 s1, exec_lo
	global_store_dword v[6:7], v1, off
	v_cmpx_gt_i32_e64 s12, v3
	s_cbranch_execz .LBB53_5
; %bb.3:
	s_clause 0x4
	s_load_dwordx2 s[2:3], s[4:5], 0x20
	s_load_dwordx2 s[6:7], s[4:5], 0x30
	s_load_dword s1, s[4:5], 0x0
	s_load_dwordx2 s[8:9], s[4:5], 0x10
	s_load_dwordx2 s[4:5], s[4:5], 0x40
	v_lshlrev_b32_e32 v0, 1, v0
	v_lshlrev_b32_e32 v1, 2, v3
	s_mov_b32 s13, 0
	v_or_b32_e32 v6, v1, v4
	s_waitcnt lgkmcnt(0)
	s_cmp_eq_u32 s1, 0
	s_cselect_b32 vcc_lo, -1, 0
	s_lshl_b32 s0, s0, 2
	v_add3_u32 v0, v5, s0, v0
	s_lshl_b32 s0, s11, 2
	v_lshl_or_b32 v5, v4, 1, v1
	v_subrev_nc_u32_e32 v0, s0, v0
.LBB53_4:                               ; =>This Inner Loop Header: Depth=1
	v_ashrrev_i32_e32 v4, 31, v3
	v_cndmask_b32_e32 v1, v6, v5, vcc_lo
	v_add_nc_u32_e32 v11, 1, v5
	v_add_nc_u32_e32 v5, 0x200, v5
	v_lshlrev_b64 v[7:8], 2, v[3:4]
	v_add_nc_u32_e32 v4, 2, v6
	v_lshlrev_b64 v[9:10], 3, v[1:2]
	v_add_nc_u32_e32 v3, 0x80, v3
	v_add_nc_u32_e32 v6, 0x200, v6
	v_cndmask_b32_e32 v1, v4, v11, vcc_lo
	v_add_co_u32 v7, s0, s2, v7
	v_add_co_ci_u32_e64 v8, null, s3, v8, s0
	v_add_co_u32 v9, s0, s8, v9
	v_add_co_ci_u32_e64 v10, null, s9, v10, s0
	global_load_dword v4, v[7:8], off
	v_lshlrev_b64 v[7:8], 3, v[1:2]
	v_ashrrev_i32_e32 v1, 31, v0
	v_lshlrev_b64 v[13:14], 3, v[0:1]
	v_add_co_u32 v11, s0, s8, v7
	v_add_co_ci_u32_e64 v12, null, s9, v8, s0
	s_clause 0x1
	global_load_dwordx2 v[7:8], v[9:10], off
	global_load_dwordx2 v[9:10], v[11:12], off
	v_lshlrev_b64 v[11:12], 2, v[0:1]
	v_cmp_le_i32_e64 s0, s12, v3
	v_add_nc_u32_e32 v0, 0x100, v0
	v_add_co_u32 v11, s1, s4, v11
	v_add_co_ci_u32_e64 v12, null, s5, v12, s1
	v_add_co_u32 v13, s1, s6, v13
	v_add_co_ci_u32_e64 v14, null, s7, v14, s1
	s_or_b32 s13, s0, s13
	s_waitcnt vmcnt(2)
	v_subrev_nc_u32_e32 v1, s11, v4
	v_lshl_add_u32 v15, v1, 1, s10
	v_add_nc_u32_e32 v16, 1, v15
	s_waitcnt vmcnt(0)
	global_store_dwordx4 v[13:14], v[7:10], off
	global_store_dwordx2 v[11:12], v[15:16], off
	s_andn2_b32 exec_lo, exec_lo, s13
	s_cbranch_execnz .LBB53_4
.LBB53_5:
	s_endpgm
	.section	.rodata,"a",@progbits
	.p2align	6, 0x0
	.amdhsa_kernel _ZN9rocsparseL32bsr2csr_block_per_row_2_7_kernelILj256ELj2EliiEEv20rocsparse_direction_T3_S2_21rocsparse_index_base_PKT1_PKT2_PKS2_S2_S3_PS4_PS7_PS2_
		.amdhsa_group_segment_fixed_size 0
		.amdhsa_private_segment_fixed_size 0
		.amdhsa_kernarg_size 72
		.amdhsa_user_sgpr_count 6
		.amdhsa_user_sgpr_private_segment_buffer 1
		.amdhsa_user_sgpr_dispatch_ptr 0
		.amdhsa_user_sgpr_queue_ptr 0
		.amdhsa_user_sgpr_kernarg_segment_ptr 1
		.amdhsa_user_sgpr_dispatch_id 0
		.amdhsa_user_sgpr_flat_scratch_init 0
		.amdhsa_user_sgpr_private_segment_size 0
		.amdhsa_wavefront_size32 1
		.amdhsa_uses_dynamic_stack 0
		.amdhsa_system_sgpr_private_segment_wavefront_offset 0
		.amdhsa_system_sgpr_workgroup_id_x 1
		.amdhsa_system_sgpr_workgroup_id_y 0
		.amdhsa_system_sgpr_workgroup_id_z 0
		.amdhsa_system_sgpr_workgroup_info 0
		.amdhsa_system_vgpr_workitem_id 0
		.amdhsa_next_free_vgpr 17
		.amdhsa_next_free_sgpr 14
		.amdhsa_reserve_vcc 1
		.amdhsa_reserve_flat_scratch 0
		.amdhsa_float_round_mode_32 0
		.amdhsa_float_round_mode_16_64 0
		.amdhsa_float_denorm_mode_32 3
		.amdhsa_float_denorm_mode_16_64 3
		.amdhsa_dx10_clamp 1
		.amdhsa_ieee_mode 1
		.amdhsa_fp16_overflow 0
		.amdhsa_workgroup_processor_mode 1
		.amdhsa_memory_ordered 1
		.amdhsa_forward_progress 1
		.amdhsa_shared_vgpr_count 0
		.amdhsa_exception_fp_ieee_invalid_op 0
		.amdhsa_exception_fp_denorm_src 0
		.amdhsa_exception_fp_ieee_div_zero 0
		.amdhsa_exception_fp_ieee_overflow 0
		.amdhsa_exception_fp_ieee_underflow 0
		.amdhsa_exception_fp_ieee_inexact 0
		.amdhsa_exception_int_div_zero 0
	.end_amdhsa_kernel
	.section	.text._ZN9rocsparseL32bsr2csr_block_per_row_2_7_kernelILj256ELj2EliiEEv20rocsparse_direction_T3_S2_21rocsparse_index_base_PKT1_PKT2_PKS2_S2_S3_PS4_PS7_PS2_,"axG",@progbits,_ZN9rocsparseL32bsr2csr_block_per_row_2_7_kernelILj256ELj2EliiEEv20rocsparse_direction_T3_S2_21rocsparse_index_base_PKT1_PKT2_PKS2_S2_S3_PS4_PS7_PS2_,comdat
.Lfunc_end53:
	.size	_ZN9rocsparseL32bsr2csr_block_per_row_2_7_kernelILj256ELj2EliiEEv20rocsparse_direction_T3_S2_21rocsparse_index_base_PKT1_PKT2_PKS2_S2_S3_PS4_PS7_PS2_, .Lfunc_end53-_ZN9rocsparseL32bsr2csr_block_per_row_2_7_kernelILj256ELj2EliiEEv20rocsparse_direction_T3_S2_21rocsparse_index_base_PKT1_PKT2_PKS2_S2_S3_PS4_PS7_PS2_
                                        ; -- End function
	.set _ZN9rocsparseL32bsr2csr_block_per_row_2_7_kernelILj256ELj2EliiEEv20rocsparse_direction_T3_S2_21rocsparse_index_base_PKT1_PKT2_PKS2_S2_S3_PS4_PS7_PS2_.num_vgpr, 17
	.set _ZN9rocsparseL32bsr2csr_block_per_row_2_7_kernelILj256ELj2EliiEEv20rocsparse_direction_T3_S2_21rocsparse_index_base_PKT1_PKT2_PKS2_S2_S3_PS4_PS7_PS2_.num_agpr, 0
	.set _ZN9rocsparseL32bsr2csr_block_per_row_2_7_kernelILj256ELj2EliiEEv20rocsparse_direction_T3_S2_21rocsparse_index_base_PKT1_PKT2_PKS2_S2_S3_PS4_PS7_PS2_.numbered_sgpr, 14
	.set _ZN9rocsparseL32bsr2csr_block_per_row_2_7_kernelILj256ELj2EliiEEv20rocsparse_direction_T3_S2_21rocsparse_index_base_PKT1_PKT2_PKS2_S2_S3_PS4_PS7_PS2_.num_named_barrier, 0
	.set _ZN9rocsparseL32bsr2csr_block_per_row_2_7_kernelILj256ELj2EliiEEv20rocsparse_direction_T3_S2_21rocsparse_index_base_PKT1_PKT2_PKS2_S2_S3_PS4_PS7_PS2_.private_seg_size, 0
	.set _ZN9rocsparseL32bsr2csr_block_per_row_2_7_kernelILj256ELj2EliiEEv20rocsparse_direction_T3_S2_21rocsparse_index_base_PKT1_PKT2_PKS2_S2_S3_PS4_PS7_PS2_.uses_vcc, 1
	.set _ZN9rocsparseL32bsr2csr_block_per_row_2_7_kernelILj256ELj2EliiEEv20rocsparse_direction_T3_S2_21rocsparse_index_base_PKT1_PKT2_PKS2_S2_S3_PS4_PS7_PS2_.uses_flat_scratch, 0
	.set _ZN9rocsparseL32bsr2csr_block_per_row_2_7_kernelILj256ELj2EliiEEv20rocsparse_direction_T3_S2_21rocsparse_index_base_PKT1_PKT2_PKS2_S2_S3_PS4_PS7_PS2_.has_dyn_sized_stack, 0
	.set _ZN9rocsparseL32bsr2csr_block_per_row_2_7_kernelILj256ELj2EliiEEv20rocsparse_direction_T3_S2_21rocsparse_index_base_PKT1_PKT2_PKS2_S2_S3_PS4_PS7_PS2_.has_recursion, 0
	.set _ZN9rocsparseL32bsr2csr_block_per_row_2_7_kernelILj256ELj2EliiEEv20rocsparse_direction_T3_S2_21rocsparse_index_base_PKT1_PKT2_PKS2_S2_S3_PS4_PS7_PS2_.has_indirect_call, 0
	.section	.AMDGPU.csdata,"",@progbits
; Kernel info:
; codeLenInByte = 588
; TotalNumSgprs: 16
; NumVgprs: 17
; ScratchSize: 0
; MemoryBound: 0
; FloatMode: 240
; IeeeMode: 1
; LDSByteSize: 0 bytes/workgroup (compile time only)
; SGPRBlocks: 0
; VGPRBlocks: 2
; NumSGPRsForWavesPerEU: 16
; NumVGPRsForWavesPerEU: 17
; Occupancy: 16
; WaveLimiterHint : 0
; COMPUTE_PGM_RSRC2:SCRATCH_EN: 0
; COMPUTE_PGM_RSRC2:USER_SGPR: 6
; COMPUTE_PGM_RSRC2:TRAP_HANDLER: 0
; COMPUTE_PGM_RSRC2:TGID_X_EN: 1
; COMPUTE_PGM_RSRC2:TGID_Y_EN: 0
; COMPUTE_PGM_RSRC2:TGID_Z_EN: 0
; COMPUTE_PGM_RSRC2:TIDIG_COMP_CNT: 0
	.section	.text._ZN9rocsparseL32bsr2csr_block_per_row_2_7_kernelILj256ELj3EliiEEv20rocsparse_direction_T3_S2_21rocsparse_index_base_PKT1_PKT2_PKS2_S2_S3_PS4_PS7_PS2_,"axG",@progbits,_ZN9rocsparseL32bsr2csr_block_per_row_2_7_kernelILj256ELj3EliiEEv20rocsparse_direction_T3_S2_21rocsparse_index_base_PKT1_PKT2_PKS2_S2_S3_PS4_PS7_PS2_,comdat
	.globl	_ZN9rocsparseL32bsr2csr_block_per_row_2_7_kernelILj256ELj3EliiEEv20rocsparse_direction_T3_S2_21rocsparse_index_base_PKT1_PKT2_PKS2_S2_S3_PS4_PS7_PS2_ ; -- Begin function _ZN9rocsparseL32bsr2csr_block_per_row_2_7_kernelILj256ELj3EliiEEv20rocsparse_direction_T3_S2_21rocsparse_index_base_PKT1_PKT2_PKS2_S2_S3_PS4_PS7_PS2_
	.p2align	8
	.type	_ZN9rocsparseL32bsr2csr_block_per_row_2_7_kernelILj256ELj3EliiEEv20rocsparse_direction_T3_S2_21rocsparse_index_base_PKT1_PKT2_PKS2_S2_S3_PS4_PS7_PS2_,@function
_ZN9rocsparseL32bsr2csr_block_per_row_2_7_kernelILj256ELj3EliiEEv20rocsparse_direction_T3_S2_21rocsparse_index_base_PKT1_PKT2_PKS2_S2_S3_PS4_PS7_PS2_: ; @_ZN9rocsparseL32bsr2csr_block_per_row_2_7_kernelILj256ELj3EliiEEv20rocsparse_direction_T3_S2_21rocsparse_index_base_PKT1_PKT2_PKS2_S2_S3_PS4_PS7_PS2_
; %bb.0:
	s_clause 0x2
	s_load_dwordx2 s[8:9], s[4:5], 0x18
	s_load_dword s2, s[4:5], 0x2c
	s_load_dwordx2 s[0:1], s[4:5], 0x38
	s_ashr_i32 s7, s6, 31
	v_or_b32_e32 v1, s6, v0
	s_lshl_b64 s[10:11], s[6:7], 2
	s_mov_b32 s3, exec_lo
	s_waitcnt lgkmcnt(0)
	s_add_u32 s8, s8, s10
	s_addc_u32 s9, s9, s11
	v_cmpx_eq_u32_e32 0, v1
	s_cbranch_execz .LBB54_2
; %bb.1:
	v_mov_b32_e32 v1, 0
	v_mov_b32_e32 v2, s2
	global_store_dword v1, v2, s[0:1]
.LBB54_2:
	s_or_b32 exec_lo, exec_lo, s3
	v_and_b32_e32 v3, 3, v0
	s_mov_b32 s3, exec_lo
	v_cmpx_ne_u32_e32 3, v3
	s_cbranch_execz .LBB54_6
; %bb.3:
	s_load_dwordx2 s[12:13], s[8:9], 0x0
	s_load_dword s3, s[4:5], 0xc
	s_mul_i32 s6, s6, 3
	v_mov_b32_e32 v2, 0
	v_add3_u32 v1, v3, s6, 1
	v_lshrrev_b32_e32 v5, 2, v0
	v_lshlrev_b64 v[6:7], 2, v[1:2]
	v_add_co_u32 v6, vcc_lo, s0, v6
	v_add_co_ci_u32_e64 v7, null, s1, v7, vcc_lo
	s_waitcnt lgkmcnt(0)
	s_sub_i32 s7, s12, s3
	s_sub_i32 s13, s13, s3
	v_add_nc_u32_e32 v0, s7, v5
	s_sub_i32 s8, s13, s7
	s_mul_i32 s6, s7, 9
	s_mul_i32 s8, s8, 3
	v_mul_lo_u32 v4, s8, v3
	s_add_i32 s8, s8, s2
	v_cmp_gt_i32_e32 vcc_lo, s13, v0
	v_add3_u32 v1, s8, s6, v4
	global_store_dword v[6:7], v1, off
	s_and_b32 exec_lo, exec_lo, vcc_lo
	s_cbranch_execz .LBB54_6
; %bb.4:
	s_clause 0x3
	s_load_dwordx2 s[6:7], s[4:5], 0x20
	s_load_dwordx2 s[8:9], s[4:5], 0x30
	s_load_dword s0, s[4:5], 0x0
	s_load_dwordx2 s[10:11], s[4:5], 0x10
	v_add_nc_u32_e32 v1, s12, v5
	s_load_dwordx2 s[4:5], s[4:5], 0x40
	v_mul_u32_u24_e32 v5, 3, v5
	s_mul_i32 s1, s12, 9
	s_mov_b32 s12, 0
	v_lshl_add_u32 v1, v1, 3, v1
	s_mov_b32 s14, 0
	v_add3_u32 v5, v4, s1, v5
	s_mul_i32 s1, s3, 9
	v_mad_u32_u24 v1, v3, 3, v1
	v_mad_u64_u32 v[3:4], null, v0, 9, v[3:4]
	v_subrev_nc_u32_e32 v4, s1, v5
	v_subrev_nc_u32_e32 v6, s1, v1
	s_waitcnt lgkmcnt(0)
	s_cmp_eq_u32 s0, 0
	s_cselect_b32 vcc_lo, -1, 0
.LBB54_5:                               ; =>This Inner Loop Header: Depth=1
	v_ashrrev_i32_e32 v1, 31, v0
	v_add_nc_u32_e32 v5, s14, v3
	v_add_nc_u32_e32 v9, s14, v6
	s_addk_i32 s14, 0x240
	v_lshlrev_b64 v[7:8], 2, v[0:1]
	v_add_nc_u32_e32 v12, 3, v5
	v_cndmask_b32_e32 v1, v5, v9, vcc_lo
	v_add_nc_u32_e32 v11, 1, v9
	v_add_nc_u32_e32 v13, 2, v9
	;; [unrolled: 1-line block ×3, first 2 shown]
	v_add_co_u32 v7, s0, s6, v7
	v_lshlrev_b64 v[9:10], 3, v[1:2]
	v_add_co_ci_u32_e64 v8, null, s7, v8, s0
	v_cndmask_b32_e32 v1, v12, v11, vcc_lo
	v_add_nc_u32_e32 v0, 64, v0
	global_load_dword v18, v[7:8], off
	v_add_co_u32 v7, s0, s10, v9
	v_lshlrev_b64 v[11:12], 3, v[1:2]
	v_cndmask_b32_e32 v1, v5, v13, vcc_lo
	v_add_co_ci_u32_e64 v8, null, s11, v10, s0
	v_ashrrev_i32_e32 v5, 31, v4
	v_lshlrev_b64 v[9:10], 3, v[1:2]
	v_add_co_u32 v11, s0, s10, v11
	v_add_co_ci_u32_e64 v12, null, s11, v12, s0
	v_lshlrev_b64 v[16:17], 3, v[4:5]
	v_add_co_u32 v13, s0, s10, v9
	v_add_co_ci_u32_e64 v14, null, s11, v10, s0
	s_clause 0x2
	global_load_dwordx2 v[7:8], v[7:8], off
	global_load_dwordx2 v[9:10], v[11:12], off
	;; [unrolled: 1-line block ×3, first 2 shown]
	v_lshlrev_b64 v[12:13], 2, v[4:5]
	v_cmp_le_i32_e64 s0, s13, v0
	v_add_nc_u32_e32 v4, 0xc0, v4
	s_or_b32 s12, s0, s12
	s_waitcnt vmcnt(3)
	v_subrev_nc_u32_e32 v1, s3, v18
	v_add_co_u32 v18, s1, s4, v12
	v_add_co_ci_u32_e64 v19, null, s5, v13, s1
	v_mad_u64_u32 v[11:12], null, v1, 3, s[2:3]
	v_add_co_u32 v16, s1, s8, v16
	v_add_co_ci_u32_e64 v17, null, s9, v17, s1
	v_add_nc_u32_e32 v12, 1, v11
	v_add_nc_u32_e32 v13, 2, v11
	s_waitcnt vmcnt(1)
	global_store_dwordx4 v[16:17], v[7:10], off
	s_waitcnt vmcnt(0)
	global_store_dwordx2 v[16:17], v[14:15], off offset:16
	global_store_dwordx3 v[18:19], v[11:13], off
	s_andn2_b32 exec_lo, exec_lo, s12
	s_cbranch_execnz .LBB54_5
.LBB54_6:
	s_endpgm
	.section	.rodata,"a",@progbits
	.p2align	6, 0x0
	.amdhsa_kernel _ZN9rocsparseL32bsr2csr_block_per_row_2_7_kernelILj256ELj3EliiEEv20rocsparse_direction_T3_S2_21rocsparse_index_base_PKT1_PKT2_PKS2_S2_S3_PS4_PS7_PS2_
		.amdhsa_group_segment_fixed_size 0
		.amdhsa_private_segment_fixed_size 0
		.amdhsa_kernarg_size 72
		.amdhsa_user_sgpr_count 6
		.amdhsa_user_sgpr_private_segment_buffer 1
		.amdhsa_user_sgpr_dispatch_ptr 0
		.amdhsa_user_sgpr_queue_ptr 0
		.amdhsa_user_sgpr_kernarg_segment_ptr 1
		.amdhsa_user_sgpr_dispatch_id 0
		.amdhsa_user_sgpr_flat_scratch_init 0
		.amdhsa_user_sgpr_private_segment_size 0
		.amdhsa_wavefront_size32 1
		.amdhsa_uses_dynamic_stack 0
		.amdhsa_system_sgpr_private_segment_wavefront_offset 0
		.amdhsa_system_sgpr_workgroup_id_x 1
		.amdhsa_system_sgpr_workgroup_id_y 0
		.amdhsa_system_sgpr_workgroup_id_z 0
		.amdhsa_system_sgpr_workgroup_info 0
		.amdhsa_system_vgpr_workitem_id 0
		.amdhsa_next_free_vgpr 20
		.amdhsa_next_free_sgpr 15
		.amdhsa_reserve_vcc 1
		.amdhsa_reserve_flat_scratch 0
		.amdhsa_float_round_mode_32 0
		.amdhsa_float_round_mode_16_64 0
		.amdhsa_float_denorm_mode_32 3
		.amdhsa_float_denorm_mode_16_64 3
		.amdhsa_dx10_clamp 1
		.amdhsa_ieee_mode 1
		.amdhsa_fp16_overflow 0
		.amdhsa_workgroup_processor_mode 1
		.amdhsa_memory_ordered 1
		.amdhsa_forward_progress 1
		.amdhsa_shared_vgpr_count 0
		.amdhsa_exception_fp_ieee_invalid_op 0
		.amdhsa_exception_fp_denorm_src 0
		.amdhsa_exception_fp_ieee_div_zero 0
		.amdhsa_exception_fp_ieee_overflow 0
		.amdhsa_exception_fp_ieee_underflow 0
		.amdhsa_exception_fp_ieee_inexact 0
		.amdhsa_exception_int_div_zero 0
	.end_amdhsa_kernel
	.section	.text._ZN9rocsparseL32bsr2csr_block_per_row_2_7_kernelILj256ELj3EliiEEv20rocsparse_direction_T3_S2_21rocsparse_index_base_PKT1_PKT2_PKS2_S2_S3_PS4_PS7_PS2_,"axG",@progbits,_ZN9rocsparseL32bsr2csr_block_per_row_2_7_kernelILj256ELj3EliiEEv20rocsparse_direction_T3_S2_21rocsparse_index_base_PKT1_PKT2_PKS2_S2_S3_PS4_PS7_PS2_,comdat
.Lfunc_end54:
	.size	_ZN9rocsparseL32bsr2csr_block_per_row_2_7_kernelILj256ELj3EliiEEv20rocsparse_direction_T3_S2_21rocsparse_index_base_PKT1_PKT2_PKS2_S2_S3_PS4_PS7_PS2_, .Lfunc_end54-_ZN9rocsparseL32bsr2csr_block_per_row_2_7_kernelILj256ELj3EliiEEv20rocsparse_direction_T3_S2_21rocsparse_index_base_PKT1_PKT2_PKS2_S2_S3_PS4_PS7_PS2_
                                        ; -- End function
	.set _ZN9rocsparseL32bsr2csr_block_per_row_2_7_kernelILj256ELj3EliiEEv20rocsparse_direction_T3_S2_21rocsparse_index_base_PKT1_PKT2_PKS2_S2_S3_PS4_PS7_PS2_.num_vgpr, 20
	.set _ZN9rocsparseL32bsr2csr_block_per_row_2_7_kernelILj256ELj3EliiEEv20rocsparse_direction_T3_S2_21rocsparse_index_base_PKT1_PKT2_PKS2_S2_S3_PS4_PS7_PS2_.num_agpr, 0
	.set _ZN9rocsparseL32bsr2csr_block_per_row_2_7_kernelILj256ELj3EliiEEv20rocsparse_direction_T3_S2_21rocsparse_index_base_PKT1_PKT2_PKS2_S2_S3_PS4_PS7_PS2_.numbered_sgpr, 15
	.set _ZN9rocsparseL32bsr2csr_block_per_row_2_7_kernelILj256ELj3EliiEEv20rocsparse_direction_T3_S2_21rocsparse_index_base_PKT1_PKT2_PKS2_S2_S3_PS4_PS7_PS2_.num_named_barrier, 0
	.set _ZN9rocsparseL32bsr2csr_block_per_row_2_7_kernelILj256ELj3EliiEEv20rocsparse_direction_T3_S2_21rocsparse_index_base_PKT1_PKT2_PKS2_S2_S3_PS4_PS7_PS2_.private_seg_size, 0
	.set _ZN9rocsparseL32bsr2csr_block_per_row_2_7_kernelILj256ELj3EliiEEv20rocsparse_direction_T3_S2_21rocsparse_index_base_PKT1_PKT2_PKS2_S2_S3_PS4_PS7_PS2_.uses_vcc, 1
	.set _ZN9rocsparseL32bsr2csr_block_per_row_2_7_kernelILj256ELj3EliiEEv20rocsparse_direction_T3_S2_21rocsparse_index_base_PKT1_PKT2_PKS2_S2_S3_PS4_PS7_PS2_.uses_flat_scratch, 0
	.set _ZN9rocsparseL32bsr2csr_block_per_row_2_7_kernelILj256ELj3EliiEEv20rocsparse_direction_T3_S2_21rocsparse_index_base_PKT1_PKT2_PKS2_S2_S3_PS4_PS7_PS2_.has_dyn_sized_stack, 0
	.set _ZN9rocsparseL32bsr2csr_block_per_row_2_7_kernelILj256ELj3EliiEEv20rocsparse_direction_T3_S2_21rocsparse_index_base_PKT1_PKT2_PKS2_S2_S3_PS4_PS7_PS2_.has_recursion, 0
	.set _ZN9rocsparseL32bsr2csr_block_per_row_2_7_kernelILj256ELj3EliiEEv20rocsparse_direction_T3_S2_21rocsparse_index_base_PKT1_PKT2_PKS2_S2_S3_PS4_PS7_PS2_.has_indirect_call, 0
	.section	.AMDGPU.csdata,"",@progbits
; Kernel info:
; codeLenInByte = 668
; TotalNumSgprs: 17
; NumVgprs: 20
; ScratchSize: 0
; MemoryBound: 0
; FloatMode: 240
; IeeeMode: 1
; LDSByteSize: 0 bytes/workgroup (compile time only)
; SGPRBlocks: 0
; VGPRBlocks: 2
; NumSGPRsForWavesPerEU: 17
; NumVGPRsForWavesPerEU: 20
; Occupancy: 16
; WaveLimiterHint : 1
; COMPUTE_PGM_RSRC2:SCRATCH_EN: 0
; COMPUTE_PGM_RSRC2:USER_SGPR: 6
; COMPUTE_PGM_RSRC2:TRAP_HANDLER: 0
; COMPUTE_PGM_RSRC2:TGID_X_EN: 1
; COMPUTE_PGM_RSRC2:TGID_Y_EN: 0
; COMPUTE_PGM_RSRC2:TGID_Z_EN: 0
; COMPUTE_PGM_RSRC2:TIDIG_COMP_CNT: 0
	.section	.text._ZN9rocsparseL32bsr2csr_block_per_row_2_7_kernelILj256ELj4EliiEEv20rocsparse_direction_T3_S2_21rocsparse_index_base_PKT1_PKT2_PKS2_S2_S3_PS4_PS7_PS2_,"axG",@progbits,_ZN9rocsparseL32bsr2csr_block_per_row_2_7_kernelILj256ELj4EliiEEv20rocsparse_direction_T3_S2_21rocsparse_index_base_PKT1_PKT2_PKS2_S2_S3_PS4_PS7_PS2_,comdat
	.globl	_ZN9rocsparseL32bsr2csr_block_per_row_2_7_kernelILj256ELj4EliiEEv20rocsparse_direction_T3_S2_21rocsparse_index_base_PKT1_PKT2_PKS2_S2_S3_PS4_PS7_PS2_ ; -- Begin function _ZN9rocsparseL32bsr2csr_block_per_row_2_7_kernelILj256ELj4EliiEEv20rocsparse_direction_T3_S2_21rocsparse_index_base_PKT1_PKT2_PKS2_S2_S3_PS4_PS7_PS2_
	.p2align	8
	.type	_ZN9rocsparseL32bsr2csr_block_per_row_2_7_kernelILj256ELj4EliiEEv20rocsparse_direction_T3_S2_21rocsparse_index_base_PKT1_PKT2_PKS2_S2_S3_PS4_PS7_PS2_,@function
_ZN9rocsparseL32bsr2csr_block_per_row_2_7_kernelILj256ELj4EliiEEv20rocsparse_direction_T3_S2_21rocsparse_index_base_PKT1_PKT2_PKS2_S2_S3_PS4_PS7_PS2_: ; @_ZN9rocsparseL32bsr2csr_block_per_row_2_7_kernelILj256ELj4EliiEEv20rocsparse_direction_T3_S2_21rocsparse_index_base_PKT1_PKT2_PKS2_S2_S3_PS4_PS7_PS2_
; %bb.0:
	s_load_dwordx2 s[0:1], s[4:5], 0x18
	s_ashr_i32 s7, s6, 31
	s_clause 0x1
	s_load_dword s10, s[4:5], 0x2c
	s_load_dwordx2 s[2:3], s[4:5], 0x38
	s_lshl_b64 s[8:9], s[6:7], 2
	v_or_b32_e32 v1, s6, v0
	s_mov_b32 s7, exec_lo
	s_waitcnt lgkmcnt(0)
	s_add_u32 s0, s0, s8
	s_addc_u32 s1, s1, s9
	s_load_dwordx2 s[0:1], s[0:1], 0x0
	v_cmpx_eq_u32_e32 0, v1
	s_cbranch_execz .LBB55_2
; %bb.1:
	v_mov_b32_e32 v1, 0
	v_mov_b32_e32 v2, s10
	global_store_dword v1, v2, s[2:3]
.LBB55_2:
	s_or_b32 exec_lo, exec_lo, s7
	s_load_dword s11, s[4:5], 0xc
	v_and_b32_e32 v5, 3, v0
	v_mov_b32_e32 v2, 0
	v_lshrrev_b32_e32 v4, 2, v0
	v_lshl_or_b32 v1, s6, 2, v5
	v_add_nc_u32_e32 v1, 1, v1
	v_lshlrev_b64 v[6:7], 2, v[1:2]
	s_waitcnt lgkmcnt(0)
	s_sub_i32 s6, s0, s11
	s_sub_i32 s12, s1, s11
	s_lshl_b32 s7, s6, 4
	s_sub_i32 s1, s12, s6
	v_add_co_u32 v6, vcc_lo, s2, v6
	s_lshl_b32 s1, s1, 2
	v_add_nc_u32_e32 v0, s6, v4
	v_mul_lo_u32 v3, s1, v5
	s_add_i32 s1, s1, s10
	v_add_co_ci_u32_e64 v7, null, s3, v7, vcc_lo
	v_add3_u32 v1, s1, s7, v3
	s_mov_b32 s1, exec_lo
	global_store_dword v[6:7], v1, off
	v_cmpx_gt_i32_e64 s12, v0
	s_cbranch_execz .LBB55_5
; %bb.3:
	s_clause 0x4
	s_load_dwordx2 s[2:3], s[4:5], 0x20
	s_load_dwordx2 s[6:7], s[4:5], 0x30
	s_load_dword s1, s[4:5], 0x0
	s_load_dwordx2 s[8:9], s[4:5], 0x10
	s_load_dwordx2 s[4:5], s[4:5], 0x40
	v_lshlrev_b32_e32 v1, 2, v4
	v_lshlrev_b32_e32 v6, 2, v5
	;; [unrolled: 1-line block ×3, first 2 shown]
	s_mov_b32 s13, 0
	s_waitcnt lgkmcnt(0)
	s_cmp_eq_u32 s1, 0
	s_cselect_b32 vcc_lo, -1, 0
	s_lshl_b32 s0, s0, 4
	v_add3_u32 v1, v3, s0, v1
	s_lshl_b32 s0, s11, 4
	v_subrev_nc_u32_e32 v3, s0, v1
.LBB55_4:                               ; =>This Inner Loop Header: Depth=1
	v_ashrrev_i32_e32 v1, 31, v0
	v_add_nc_u32_e32 v4, v5, v7
	v_add_nc_u32_e32 v10, v6, v7
	;; [unrolled: 1-line block ×3, first 2 shown]
	v_lshlrev_b64 v[8:9], 2, v[0:1]
	v_add_nc_u32_e32 v13, 4, v4
	v_cndmask_b32_e32 v1, v4, v10, vcc_lo
	v_add_nc_u32_e32 v12, 1, v10
	v_add_nc_u32_e32 v14, 2, v10
	;; [unrolled: 1-line block ×4, first 2 shown]
	v_lshlrev_b64 v[10:11], 3, v[1:2]
	v_cndmask_b32_e32 v1, v13, v12, vcc_lo
	v_add_co_u32 v8, s0, s2, v8
	v_add_co_ci_u32_e64 v9, null, s3, v9, s0
	v_add_nc_u32_e32 v4, 12, v4
	v_lshlrev_b64 v[12:13], 3, v[1:2]
	v_cndmask_b32_e32 v1, v15, v14, vcc_lo
	global_load_dword v22, v[8:9], off
	v_add_co_u32 v8, s0, s8, v10
	v_add_co_ci_u32_e64 v9, null, s9, v11, s0
	v_lshlrev_b64 v[10:11], 3, v[1:2]
	v_cndmask_b32_e32 v1, v4, v16, vcc_lo
	v_add_co_u32 v12, s0, s8, v12
	v_add_co_ci_u32_e64 v13, null, s9, v13, s0
	v_lshlrev_b64 v[14:15], 3, v[1:2]
	v_add_co_u32 v16, s0, s8, v10
	v_add_co_ci_u32_e64 v17, null, s9, v11, s0
	v_ashrrev_i32_e32 v4, 31, v3
	v_add_co_u32 v14, s0, s8, v14
	v_add_co_ci_u32_e64 v15, null, s9, v15, s0
	s_clause 0x3
	global_load_dwordx2 v[8:9], v[8:9], off
	global_load_dwordx2 v[10:11], v[12:13], off
	;; [unrolled: 1-line block ×4, first 2 shown]
	v_lshlrev_b64 v[16:17], 2, v[3:4]
	v_lshlrev_b64 v[18:19], 3, v[3:4]
	v_add_nc_u32_e32 v0, 64, v0
	v_add_nc_u32_e32 v3, 0x100, v3
	v_add_co_u32 v20, s1, s4, v16
	v_cmp_le_i32_e64 s0, s12, v0
	v_add_co_ci_u32_e64 v21, null, s5, v17, s1
	s_or_b32 s13, s0, s13
	s_waitcnt vmcnt(4)
	v_subrev_nc_u32_e32 v1, s11, v22
	v_add_co_u32 v22, s1, s6, v18
	v_add_co_ci_u32_e64 v23, null, s7, v19, s1
	v_lshl_add_u32 v16, v1, 2, s10
	v_add_nc_u32_e32 v17, 1, v16
	v_add_nc_u32_e32 v18, 2, v16
	;; [unrolled: 1-line block ×3, first 2 shown]
	s_waitcnt vmcnt(2)
	global_store_dwordx4 v[22:23], v[8:11], off
	global_store_dwordx4 v[20:21], v[16:19], off
	s_waitcnt vmcnt(0)
	global_store_dwordx4 v[22:23], v[12:15], off offset:16
	s_andn2_b32 exec_lo, exec_lo, s13
	s_cbranch_execnz .LBB55_4
.LBB55_5:
	s_endpgm
	.section	.rodata,"a",@progbits
	.p2align	6, 0x0
	.amdhsa_kernel _ZN9rocsparseL32bsr2csr_block_per_row_2_7_kernelILj256ELj4EliiEEv20rocsparse_direction_T3_S2_21rocsparse_index_base_PKT1_PKT2_PKS2_S2_S3_PS4_PS7_PS2_
		.amdhsa_group_segment_fixed_size 0
		.amdhsa_private_segment_fixed_size 0
		.amdhsa_kernarg_size 72
		.amdhsa_user_sgpr_count 6
		.amdhsa_user_sgpr_private_segment_buffer 1
		.amdhsa_user_sgpr_dispatch_ptr 0
		.amdhsa_user_sgpr_queue_ptr 0
		.amdhsa_user_sgpr_kernarg_segment_ptr 1
		.amdhsa_user_sgpr_dispatch_id 0
		.amdhsa_user_sgpr_flat_scratch_init 0
		.amdhsa_user_sgpr_private_segment_size 0
		.amdhsa_wavefront_size32 1
		.amdhsa_uses_dynamic_stack 0
		.amdhsa_system_sgpr_private_segment_wavefront_offset 0
		.amdhsa_system_sgpr_workgroup_id_x 1
		.amdhsa_system_sgpr_workgroup_id_y 0
		.amdhsa_system_sgpr_workgroup_id_z 0
		.amdhsa_system_sgpr_workgroup_info 0
		.amdhsa_system_vgpr_workitem_id 0
		.amdhsa_next_free_vgpr 24
		.amdhsa_next_free_sgpr 14
		.amdhsa_reserve_vcc 1
		.amdhsa_reserve_flat_scratch 0
		.amdhsa_float_round_mode_32 0
		.amdhsa_float_round_mode_16_64 0
		.amdhsa_float_denorm_mode_32 3
		.amdhsa_float_denorm_mode_16_64 3
		.amdhsa_dx10_clamp 1
		.amdhsa_ieee_mode 1
		.amdhsa_fp16_overflow 0
		.amdhsa_workgroup_processor_mode 1
		.amdhsa_memory_ordered 1
		.amdhsa_forward_progress 1
		.amdhsa_shared_vgpr_count 0
		.amdhsa_exception_fp_ieee_invalid_op 0
		.amdhsa_exception_fp_denorm_src 0
		.amdhsa_exception_fp_ieee_div_zero 0
		.amdhsa_exception_fp_ieee_overflow 0
		.amdhsa_exception_fp_ieee_underflow 0
		.amdhsa_exception_fp_ieee_inexact 0
		.amdhsa_exception_int_div_zero 0
	.end_amdhsa_kernel
	.section	.text._ZN9rocsparseL32bsr2csr_block_per_row_2_7_kernelILj256ELj4EliiEEv20rocsparse_direction_T3_S2_21rocsparse_index_base_PKT1_PKT2_PKS2_S2_S3_PS4_PS7_PS2_,"axG",@progbits,_ZN9rocsparseL32bsr2csr_block_per_row_2_7_kernelILj256ELj4EliiEEv20rocsparse_direction_T3_S2_21rocsparse_index_base_PKT1_PKT2_PKS2_S2_S3_PS4_PS7_PS2_,comdat
.Lfunc_end55:
	.size	_ZN9rocsparseL32bsr2csr_block_per_row_2_7_kernelILj256ELj4EliiEEv20rocsparse_direction_T3_S2_21rocsparse_index_base_PKT1_PKT2_PKS2_S2_S3_PS4_PS7_PS2_, .Lfunc_end55-_ZN9rocsparseL32bsr2csr_block_per_row_2_7_kernelILj256ELj4EliiEEv20rocsparse_direction_T3_S2_21rocsparse_index_base_PKT1_PKT2_PKS2_S2_S3_PS4_PS7_PS2_
                                        ; -- End function
	.set _ZN9rocsparseL32bsr2csr_block_per_row_2_7_kernelILj256ELj4EliiEEv20rocsparse_direction_T3_S2_21rocsparse_index_base_PKT1_PKT2_PKS2_S2_S3_PS4_PS7_PS2_.num_vgpr, 24
	.set _ZN9rocsparseL32bsr2csr_block_per_row_2_7_kernelILj256ELj4EliiEEv20rocsparse_direction_T3_S2_21rocsparse_index_base_PKT1_PKT2_PKS2_S2_S3_PS4_PS7_PS2_.num_agpr, 0
	.set _ZN9rocsparseL32bsr2csr_block_per_row_2_7_kernelILj256ELj4EliiEEv20rocsparse_direction_T3_S2_21rocsparse_index_base_PKT1_PKT2_PKS2_S2_S3_PS4_PS7_PS2_.numbered_sgpr, 14
	.set _ZN9rocsparseL32bsr2csr_block_per_row_2_7_kernelILj256ELj4EliiEEv20rocsparse_direction_T3_S2_21rocsparse_index_base_PKT1_PKT2_PKS2_S2_S3_PS4_PS7_PS2_.num_named_barrier, 0
	.set _ZN9rocsparseL32bsr2csr_block_per_row_2_7_kernelILj256ELj4EliiEEv20rocsparse_direction_T3_S2_21rocsparse_index_base_PKT1_PKT2_PKS2_S2_S3_PS4_PS7_PS2_.private_seg_size, 0
	.set _ZN9rocsparseL32bsr2csr_block_per_row_2_7_kernelILj256ELj4EliiEEv20rocsparse_direction_T3_S2_21rocsparse_index_base_PKT1_PKT2_PKS2_S2_S3_PS4_PS7_PS2_.uses_vcc, 1
	.set _ZN9rocsparseL32bsr2csr_block_per_row_2_7_kernelILj256ELj4EliiEEv20rocsparse_direction_T3_S2_21rocsparse_index_base_PKT1_PKT2_PKS2_S2_S3_PS4_PS7_PS2_.uses_flat_scratch, 0
	.set _ZN9rocsparseL32bsr2csr_block_per_row_2_7_kernelILj256ELj4EliiEEv20rocsparse_direction_T3_S2_21rocsparse_index_base_PKT1_PKT2_PKS2_S2_S3_PS4_PS7_PS2_.has_dyn_sized_stack, 0
	.set _ZN9rocsparseL32bsr2csr_block_per_row_2_7_kernelILj256ELj4EliiEEv20rocsparse_direction_T3_S2_21rocsparse_index_base_PKT1_PKT2_PKS2_S2_S3_PS4_PS7_PS2_.has_recursion, 0
	.set _ZN9rocsparseL32bsr2csr_block_per_row_2_7_kernelILj256ELj4EliiEEv20rocsparse_direction_T3_S2_21rocsparse_index_base_PKT1_PKT2_PKS2_S2_S3_PS4_PS7_PS2_.has_indirect_call, 0
	.section	.AMDGPU.csdata,"",@progbits
; Kernel info:
; codeLenInByte = 684
; TotalNumSgprs: 16
; NumVgprs: 24
; ScratchSize: 0
; MemoryBound: 0
; FloatMode: 240
; IeeeMode: 1
; LDSByteSize: 0 bytes/workgroup (compile time only)
; SGPRBlocks: 0
; VGPRBlocks: 2
; NumSGPRsForWavesPerEU: 16
; NumVGPRsForWavesPerEU: 24
; Occupancy: 16
; WaveLimiterHint : 0
; COMPUTE_PGM_RSRC2:SCRATCH_EN: 0
; COMPUTE_PGM_RSRC2:USER_SGPR: 6
; COMPUTE_PGM_RSRC2:TRAP_HANDLER: 0
; COMPUTE_PGM_RSRC2:TGID_X_EN: 1
; COMPUTE_PGM_RSRC2:TGID_Y_EN: 0
; COMPUTE_PGM_RSRC2:TGID_Z_EN: 0
; COMPUTE_PGM_RSRC2:TIDIG_COMP_CNT: 0
	.section	.text._ZN9rocsparseL32bsr2csr_block_per_row_2_7_kernelILj256ELj5EliiEEv20rocsparse_direction_T3_S2_21rocsparse_index_base_PKT1_PKT2_PKS2_S2_S3_PS4_PS7_PS2_,"axG",@progbits,_ZN9rocsparseL32bsr2csr_block_per_row_2_7_kernelILj256ELj5EliiEEv20rocsparse_direction_T3_S2_21rocsparse_index_base_PKT1_PKT2_PKS2_S2_S3_PS4_PS7_PS2_,comdat
	.globl	_ZN9rocsparseL32bsr2csr_block_per_row_2_7_kernelILj256ELj5EliiEEv20rocsparse_direction_T3_S2_21rocsparse_index_base_PKT1_PKT2_PKS2_S2_S3_PS4_PS7_PS2_ ; -- Begin function _ZN9rocsparseL32bsr2csr_block_per_row_2_7_kernelILj256ELj5EliiEEv20rocsparse_direction_T3_S2_21rocsparse_index_base_PKT1_PKT2_PKS2_S2_S3_PS4_PS7_PS2_
	.p2align	8
	.type	_ZN9rocsparseL32bsr2csr_block_per_row_2_7_kernelILj256ELj5EliiEEv20rocsparse_direction_T3_S2_21rocsparse_index_base_PKT1_PKT2_PKS2_S2_S3_PS4_PS7_PS2_,@function
_ZN9rocsparseL32bsr2csr_block_per_row_2_7_kernelILj256ELj5EliiEEv20rocsparse_direction_T3_S2_21rocsparse_index_base_PKT1_PKT2_PKS2_S2_S3_PS4_PS7_PS2_: ; @_ZN9rocsparseL32bsr2csr_block_per_row_2_7_kernelILj256ELj5EliiEEv20rocsparse_direction_T3_S2_21rocsparse_index_base_PKT1_PKT2_PKS2_S2_S3_PS4_PS7_PS2_
; %bb.0:
	s_clause 0x2
	s_load_dwordx2 s[8:9], s[4:5], 0x18
	s_load_dword s2, s[4:5], 0x2c
	s_load_dwordx2 s[0:1], s[4:5], 0x38
	s_ashr_i32 s7, s6, 31
	v_or_b32_e32 v1, s6, v0
	s_lshl_b64 s[10:11], s[6:7], 2
	s_mov_b32 s3, exec_lo
	s_waitcnt lgkmcnt(0)
	s_add_u32 s8, s8, s10
	s_addc_u32 s9, s9, s11
	v_cmpx_eq_u32_e32 0, v1
	s_cbranch_execz .LBB56_2
; %bb.1:
	v_mov_b32_e32 v1, 0
	v_mov_b32_e32 v2, s2
	global_store_dword v1, v2, s[0:1]
.LBB56_2:
	s_or_b32 exec_lo, exec_lo, s3
	v_and_b32_e32 v3, 7, v0
	s_mov_b32 s3, exec_lo
	v_cmpx_gt_u32_e32 5, v3
	s_cbranch_execz .LBB56_6
; %bb.3:
	s_load_dwordx2 s[12:13], s[8:9], 0x0
	s_load_dword s3, s[4:5], 0xc
	s_mul_i32 s6, s6, 5
	v_mov_b32_e32 v2, 0
	v_add3_u32 v1, v3, s6, 1
	v_lshrrev_b32_e32 v5, 3, v0
	v_lshlrev_b64 v[6:7], 2, v[1:2]
	v_add_co_u32 v6, vcc_lo, s0, v6
	v_add_co_ci_u32_e64 v7, null, s1, v7, vcc_lo
	s_waitcnt lgkmcnt(0)
	s_sub_i32 s7, s12, s3
	s_sub_i32 s13, s13, s3
	v_add_nc_u32_e32 v0, s7, v5
	s_sub_i32 s8, s13, s7
	s_mul_i32 s6, s7, 25
	s_mul_i32 s8, s8, 5
	v_mul_lo_u32 v4, s8, v3
	s_add_i32 s8, s8, s2
	v_cmp_gt_i32_e32 vcc_lo, s13, v0
	v_add3_u32 v1, s8, s6, v4
	global_store_dword v[6:7], v1, off
	s_and_b32 exec_lo, exec_lo, vcc_lo
	s_cbranch_execz .LBB56_6
; %bb.4:
	s_clause 0x2
	s_load_dwordx2 s[6:7], s[4:5], 0x20
	s_load_dwordx2 s[8:9], s[4:5], 0x30
	s_load_dword s0, s[4:5], 0x0
	v_add_nc_u32_e32 v1, s12, v5
	s_clause 0x1
	s_load_dwordx2 s[10:11], s[4:5], 0x10
	s_load_dwordx2 s[4:5], s[4:5], 0x40
	v_mul_u32_u24_e32 v5, 5, v5
	s_mul_i32 s1, s12, 25
	s_mov_b32 s12, 0
	v_mul_lo_u32 v1, v1, 25
	s_mov_b32 s14, 0
	v_add3_u32 v5, v4, s1, v5
	s_mul_i32 s1, s3, 25
	v_mad_u32_u24 v1, v3, 5, v1
	v_mad_u64_u32 v[3:4], null, v0, 25, v[3:4]
	v_subrev_nc_u32_e32 v4, s1, v5
	v_subrev_nc_u32_e32 v6, s1, v1
	s_waitcnt lgkmcnt(0)
	s_cmp_eq_u32 s0, 0
	s_cselect_b32 vcc_lo, -1, 0
.LBB56_5:                               ; =>This Inner Loop Header: Depth=1
	v_ashrrev_i32_e32 v1, 31, v0
	v_add_nc_u32_e32 v5, s14, v3
	v_add_nc_u32_e32 v9, s14, v6
	s_addk_i32 s14, 0x320
	v_lshlrev_b64 v[7:8], 2, v[0:1]
	v_add_nc_u32_e32 v12, 5, v5
	v_cndmask_b32_e32 v1, v5, v9, vcc_lo
	v_add_nc_u32_e32 v11, 1, v9
	v_add_nc_u32_e32 v13, 2, v9
	;; [unrolled: 1-line block ×5, first 2 shown]
	v_lshlrev_b64 v[9:10], 3, v[1:2]
	v_cndmask_b32_e32 v1, v12, v11, vcc_lo
	v_add_co_u32 v7, s0, s6, v7
	v_add_nc_u32_e32 v16, 15, v5
	v_add_co_ci_u32_e64 v8, null, s7, v8, s0
	v_lshlrev_b64 v[11:12], 3, v[1:2]
	v_cndmask_b32_e32 v1, v14, v13, vcc_lo
	v_add_co_u32 v9, s0, s10, v9
	v_add_co_ci_u32_e64 v10, null, s11, v10, s0
	v_add_nc_u32_e32 v5, 20, v5
	v_lshlrev_b64 v[13:14], 3, v[1:2]
	v_cndmask_b32_e32 v1, v16, v15, vcc_lo
	global_load_dword v24, v[7:8], off
	global_load_dwordx2 v[7:8], v[9:10], off
	v_add_co_u32 v9, s0, s10, v11
	v_add_co_ci_u32_e64 v10, null, s11, v12, s0
	v_lshlrev_b64 v[11:12], 3, v[1:2]
	v_cndmask_b32_e32 v1, v5, v17, vcc_lo
	v_add_co_u32 v13, s0, s10, v13
	v_add_co_ci_u32_e64 v14, null, s11, v14, s0
	v_lshlrev_b64 v[15:16], 3, v[1:2]
	v_add_co_u32 v17, s0, s10, v11
	v_add_co_ci_u32_e64 v18, null, s11, v12, s0
	v_ashrrev_i32_e32 v5, 31, v4
	v_add_co_u32 v15, s0, s10, v15
	v_add_co_ci_u32_e64 v16, null, s11, v16, s0
	s_clause 0x3
	global_load_dwordx2 v[9:10], v[9:10], off
	global_load_dwordx2 v[11:12], v[13:14], off
	global_load_dwordx2 v[13:14], v[17:18], off
	global_load_dwordx2 v[19:20], v[15:16], off
	v_lshlrev_b64 v[15:16], 2, v[4:5]
	v_lshlrev_b64 v[17:18], 3, v[4:5]
	v_add_nc_u32_e32 v0, 32, v0
	v_add_nc_u32_e32 v4, 0xa0, v4
	v_add_co_u32 v21, s1, s4, v15
	v_add_co_ci_u32_e64 v22, null, s5, v16, s1
	v_cmp_le_i32_e64 s0, s13, v0
	v_add_co_u32 v23, s1, s8, v17
	s_or_b32 s12, s0, s12
	s_waitcnt vmcnt(5)
	v_subrev_nc_u32_e32 v1, s3, v24
	v_add_co_ci_u32_e64 v24, null, s9, v18, s1
	v_mad_u64_u32 v[15:16], null, v1, 5, s[2:3]
	v_add_nc_u32_e32 v16, 1, v15
	v_add_nc_u32_e32 v17, 2, v15
	;; [unrolled: 1-line block ×4, first 2 shown]
	s_waitcnt vmcnt(3)
	global_store_dwordx4 v[23:24], v[7:10], off
	global_store_dwordx4 v[21:22], v[15:18], off
	global_store_dword v[21:22], v1, off offset:16
	s_waitcnt vmcnt(1)
	global_store_dwordx4 v[23:24], v[11:14], off offset:16
	s_waitcnt vmcnt(0)
	global_store_dwordx2 v[23:24], v[19:20], off offset:32
	s_andn2_b32 exec_lo, exec_lo, s12
	s_cbranch_execnz .LBB56_5
.LBB56_6:
	s_endpgm
	.section	.rodata,"a",@progbits
	.p2align	6, 0x0
	.amdhsa_kernel _ZN9rocsparseL32bsr2csr_block_per_row_2_7_kernelILj256ELj5EliiEEv20rocsparse_direction_T3_S2_21rocsparse_index_base_PKT1_PKT2_PKS2_S2_S3_PS4_PS7_PS2_
		.amdhsa_group_segment_fixed_size 0
		.amdhsa_private_segment_fixed_size 0
		.amdhsa_kernarg_size 72
		.amdhsa_user_sgpr_count 6
		.amdhsa_user_sgpr_private_segment_buffer 1
		.amdhsa_user_sgpr_dispatch_ptr 0
		.amdhsa_user_sgpr_queue_ptr 0
		.amdhsa_user_sgpr_kernarg_segment_ptr 1
		.amdhsa_user_sgpr_dispatch_id 0
		.amdhsa_user_sgpr_flat_scratch_init 0
		.amdhsa_user_sgpr_private_segment_size 0
		.amdhsa_wavefront_size32 1
		.amdhsa_uses_dynamic_stack 0
		.amdhsa_system_sgpr_private_segment_wavefront_offset 0
		.amdhsa_system_sgpr_workgroup_id_x 1
		.amdhsa_system_sgpr_workgroup_id_y 0
		.amdhsa_system_sgpr_workgroup_id_z 0
		.amdhsa_system_sgpr_workgroup_info 0
		.amdhsa_system_vgpr_workitem_id 0
		.amdhsa_next_free_vgpr 25
		.amdhsa_next_free_sgpr 15
		.amdhsa_reserve_vcc 1
		.amdhsa_reserve_flat_scratch 0
		.amdhsa_float_round_mode_32 0
		.amdhsa_float_round_mode_16_64 0
		.amdhsa_float_denorm_mode_32 3
		.amdhsa_float_denorm_mode_16_64 3
		.amdhsa_dx10_clamp 1
		.amdhsa_ieee_mode 1
		.amdhsa_fp16_overflow 0
		.amdhsa_workgroup_processor_mode 1
		.amdhsa_memory_ordered 1
		.amdhsa_forward_progress 1
		.amdhsa_shared_vgpr_count 0
		.amdhsa_exception_fp_ieee_invalid_op 0
		.amdhsa_exception_fp_denorm_src 0
		.amdhsa_exception_fp_ieee_div_zero 0
		.amdhsa_exception_fp_ieee_overflow 0
		.amdhsa_exception_fp_ieee_underflow 0
		.amdhsa_exception_fp_ieee_inexact 0
		.amdhsa_exception_int_div_zero 0
	.end_amdhsa_kernel
	.section	.text._ZN9rocsparseL32bsr2csr_block_per_row_2_7_kernelILj256ELj5EliiEEv20rocsparse_direction_T3_S2_21rocsparse_index_base_PKT1_PKT2_PKS2_S2_S3_PS4_PS7_PS2_,"axG",@progbits,_ZN9rocsparseL32bsr2csr_block_per_row_2_7_kernelILj256ELj5EliiEEv20rocsparse_direction_T3_S2_21rocsparse_index_base_PKT1_PKT2_PKS2_S2_S3_PS4_PS7_PS2_,comdat
.Lfunc_end56:
	.size	_ZN9rocsparseL32bsr2csr_block_per_row_2_7_kernelILj256ELj5EliiEEv20rocsparse_direction_T3_S2_21rocsparse_index_base_PKT1_PKT2_PKS2_S2_S3_PS4_PS7_PS2_, .Lfunc_end56-_ZN9rocsparseL32bsr2csr_block_per_row_2_7_kernelILj256ELj5EliiEEv20rocsparse_direction_T3_S2_21rocsparse_index_base_PKT1_PKT2_PKS2_S2_S3_PS4_PS7_PS2_
                                        ; -- End function
	.set _ZN9rocsparseL32bsr2csr_block_per_row_2_7_kernelILj256ELj5EliiEEv20rocsparse_direction_T3_S2_21rocsparse_index_base_PKT1_PKT2_PKS2_S2_S3_PS4_PS7_PS2_.num_vgpr, 25
	.set _ZN9rocsparseL32bsr2csr_block_per_row_2_7_kernelILj256ELj5EliiEEv20rocsparse_direction_T3_S2_21rocsparse_index_base_PKT1_PKT2_PKS2_S2_S3_PS4_PS7_PS2_.num_agpr, 0
	.set _ZN9rocsparseL32bsr2csr_block_per_row_2_7_kernelILj256ELj5EliiEEv20rocsparse_direction_T3_S2_21rocsparse_index_base_PKT1_PKT2_PKS2_S2_S3_PS4_PS7_PS2_.numbered_sgpr, 15
	.set _ZN9rocsparseL32bsr2csr_block_per_row_2_7_kernelILj256ELj5EliiEEv20rocsparse_direction_T3_S2_21rocsparse_index_base_PKT1_PKT2_PKS2_S2_S3_PS4_PS7_PS2_.num_named_barrier, 0
	.set _ZN9rocsparseL32bsr2csr_block_per_row_2_7_kernelILj256ELj5EliiEEv20rocsparse_direction_T3_S2_21rocsparse_index_base_PKT1_PKT2_PKS2_S2_S3_PS4_PS7_PS2_.private_seg_size, 0
	.set _ZN9rocsparseL32bsr2csr_block_per_row_2_7_kernelILj256ELj5EliiEEv20rocsparse_direction_T3_S2_21rocsparse_index_base_PKT1_PKT2_PKS2_S2_S3_PS4_PS7_PS2_.uses_vcc, 1
	.set _ZN9rocsparseL32bsr2csr_block_per_row_2_7_kernelILj256ELj5EliiEEv20rocsparse_direction_T3_S2_21rocsparse_index_base_PKT1_PKT2_PKS2_S2_S3_PS4_PS7_PS2_.uses_flat_scratch, 0
	.set _ZN9rocsparseL32bsr2csr_block_per_row_2_7_kernelILj256ELj5EliiEEv20rocsparse_direction_T3_S2_21rocsparse_index_base_PKT1_PKT2_PKS2_S2_S3_PS4_PS7_PS2_.has_dyn_sized_stack, 0
	.set _ZN9rocsparseL32bsr2csr_block_per_row_2_7_kernelILj256ELj5EliiEEv20rocsparse_direction_T3_S2_21rocsparse_index_base_PKT1_PKT2_PKS2_S2_S3_PS4_PS7_PS2_.has_recursion, 0
	.set _ZN9rocsparseL32bsr2csr_block_per_row_2_7_kernelILj256ELj5EliiEEv20rocsparse_direction_T3_S2_21rocsparse_index_base_PKT1_PKT2_PKS2_S2_S3_PS4_PS7_PS2_.has_indirect_call, 0
	.section	.AMDGPU.csdata,"",@progbits
; Kernel info:
; codeLenInByte = 788
; TotalNumSgprs: 17
; NumVgprs: 25
; ScratchSize: 0
; MemoryBound: 0
; FloatMode: 240
; IeeeMode: 1
; LDSByteSize: 0 bytes/workgroup (compile time only)
; SGPRBlocks: 0
; VGPRBlocks: 3
; NumSGPRsForWavesPerEU: 17
; NumVGPRsForWavesPerEU: 25
; Occupancy: 16
; WaveLimiterHint : 1
; COMPUTE_PGM_RSRC2:SCRATCH_EN: 0
; COMPUTE_PGM_RSRC2:USER_SGPR: 6
; COMPUTE_PGM_RSRC2:TRAP_HANDLER: 0
; COMPUTE_PGM_RSRC2:TGID_X_EN: 1
; COMPUTE_PGM_RSRC2:TGID_Y_EN: 0
; COMPUTE_PGM_RSRC2:TGID_Z_EN: 0
; COMPUTE_PGM_RSRC2:TIDIG_COMP_CNT: 0
	.section	.text._ZN9rocsparseL32bsr2csr_block_per_row_2_7_kernelILj256ELj6EliiEEv20rocsparse_direction_T3_S2_21rocsparse_index_base_PKT1_PKT2_PKS2_S2_S3_PS4_PS7_PS2_,"axG",@progbits,_ZN9rocsparseL32bsr2csr_block_per_row_2_7_kernelILj256ELj6EliiEEv20rocsparse_direction_T3_S2_21rocsparse_index_base_PKT1_PKT2_PKS2_S2_S3_PS4_PS7_PS2_,comdat
	.globl	_ZN9rocsparseL32bsr2csr_block_per_row_2_7_kernelILj256ELj6EliiEEv20rocsparse_direction_T3_S2_21rocsparse_index_base_PKT1_PKT2_PKS2_S2_S3_PS4_PS7_PS2_ ; -- Begin function _ZN9rocsparseL32bsr2csr_block_per_row_2_7_kernelILj256ELj6EliiEEv20rocsparse_direction_T3_S2_21rocsparse_index_base_PKT1_PKT2_PKS2_S2_S3_PS4_PS7_PS2_
	.p2align	8
	.type	_ZN9rocsparseL32bsr2csr_block_per_row_2_7_kernelILj256ELj6EliiEEv20rocsparse_direction_T3_S2_21rocsparse_index_base_PKT1_PKT2_PKS2_S2_S3_PS4_PS7_PS2_,@function
_ZN9rocsparseL32bsr2csr_block_per_row_2_7_kernelILj256ELj6EliiEEv20rocsparse_direction_T3_S2_21rocsparse_index_base_PKT1_PKT2_PKS2_S2_S3_PS4_PS7_PS2_: ; @_ZN9rocsparseL32bsr2csr_block_per_row_2_7_kernelILj256ELj6EliiEEv20rocsparse_direction_T3_S2_21rocsparse_index_base_PKT1_PKT2_PKS2_S2_S3_PS4_PS7_PS2_
; %bb.0:
	s_clause 0x2
	s_load_dwordx2 s[8:9], s[4:5], 0x18
	s_load_dword s2, s[4:5], 0x2c
	s_load_dwordx2 s[0:1], s[4:5], 0x38
	s_ashr_i32 s7, s6, 31
	v_or_b32_e32 v1, s6, v0
	s_lshl_b64 s[10:11], s[6:7], 2
	s_mov_b32 s3, exec_lo
	s_waitcnt lgkmcnt(0)
	s_add_u32 s8, s8, s10
	s_addc_u32 s9, s9, s11
	v_cmpx_eq_u32_e32 0, v1
	s_cbranch_execz .LBB57_2
; %bb.1:
	v_mov_b32_e32 v1, 0
	v_mov_b32_e32 v2, s2
	global_store_dword v1, v2, s[0:1]
.LBB57_2:
	s_or_b32 exec_lo, exec_lo, s3
	v_and_b32_e32 v5, 7, v0
	s_mov_b32 s3, exec_lo
	v_cmpx_gt_u32_e32 6, v5
	s_cbranch_execz .LBB57_6
; %bb.3:
	s_load_dwordx2 s[12:13], s[8:9], 0x0
	s_load_dword s3, s[4:5], 0xc
	s_mul_i32 s6, s6, 6
	v_mov_b32_e32 v2, 0
	v_add3_u32 v1, v5, s6, 1
	v_lshrrev_b32_e32 v4, 3, v0
	v_lshlrev_b64 v[6:7], 2, v[1:2]
	v_add_co_u32 v6, vcc_lo, s0, v6
	v_add_co_ci_u32_e64 v7, null, s1, v7, vcc_lo
	s_waitcnt lgkmcnt(0)
	s_sub_i32 s7, s12, s3
	s_sub_i32 s13, s13, s3
	v_add_nc_u32_e32 v0, s7, v4
	s_sub_i32 s8, s13, s7
	s_mul_i32 s6, s7, 36
	s_mul_i32 s8, s8, 6
	v_mul_lo_u32 v3, s8, v5
	s_add_i32 s8, s8, s2
	v_cmp_gt_i32_e32 vcc_lo, s13, v0
	v_add3_u32 v1, s8, s6, v3
	global_store_dword v[6:7], v1, off
	s_and_b32 exec_lo, exec_lo, vcc_lo
	s_cbranch_execz .LBB57_6
; %bb.4:
	s_clause 0x4
	s_load_dwordx2 s[6:7], s[4:5], 0x20
	s_load_dwordx2 s[8:9], s[4:5], 0x30
	s_load_dword s0, s[4:5], 0x0
	s_load_dwordx2 s[10:11], s[4:5], 0x10
	s_load_dwordx2 s[4:5], s[4:5], 0x40
	v_mul_u32_u24_e32 v1, 6, v4
	s_mul_i32 s1, s12, 36
	s_mov_b32 s12, 0
	v_add3_u32 v1, v3, s1, v1
	v_mad_u64_u32 v[3:4], null, v0, 36, v[5:6]
	s_mul_i32 s1, s3, 36
	v_mul_u32_u24_e32 v6, 5, v5
	v_subrev_nc_u32_e32 v4, s1, v1
	s_waitcnt lgkmcnt(0)
	s_cmp_eq_u32 s0, 0
	s_cselect_b32 vcc_lo, -1, 0
.LBB57_5:                               ; =>This Inner Loop Header: Depth=1
	v_ashrrev_i32_e32 v1, 31, v0
	v_add_nc_u32_e32 v5, v6, v3
	v_add_nc_u32_e32 v11, 6, v3
	;; [unrolled: 1-line block ×4, first 2 shown]
	v_lshlrev_b64 v[7:8], 2, v[0:1]
	v_cndmask_b32_e32 v1, v3, v5, vcc_lo
	v_add_nc_u32_e32 v12, 1, v5
	v_add_nc_u32_e32 v14, 2, v5
	;; [unrolled: 1-line block ×4, first 2 shown]
	v_lshlrev_b64 v[9:10], 3, v[1:2]
	v_cndmask_b32_e32 v1, v11, v12, vcc_lo
	v_add_co_u32 v7, s0, s6, v7
	v_add_co_ci_u32_e64 v8, null, s7, v8, s0
	v_lshlrev_b64 v[11:12], 3, v[1:2]
	v_cndmask_b32_e32 v1, v13, v14, vcc_lo
	v_add_co_u32 v9, s0, s10, v9
	v_add_co_ci_u32_e64 v10, null, s11, v10, s0
	v_add_nc_u32_e32 v19, 4, v5
	v_lshlrev_b64 v[13:14], 3, v[1:2]
	v_cndmask_b32_e32 v1, v15, v18, vcc_lo
	global_load_dword v27, v[7:8], off
	global_load_dwordx2 v[7:8], v[9:10], off
	v_add_co_u32 v9, s0, s10, v11
	v_add_nc_u32_e32 v17, 30, v3
	v_add_nc_u32_e32 v5, 5, v5
	v_add_co_ci_u32_e64 v10, null, s11, v12, s0
	v_lshlrev_b64 v[11:12], 3, v[1:2]
	v_cndmask_b32_e32 v1, v16, v19, vcc_lo
	v_add_co_u32 v13, s0, s10, v13
	v_add_co_ci_u32_e64 v14, null, s11, v14, s0
	v_lshlrev_b64 v[15:16], 3, v[1:2]
	v_cndmask_b32_e32 v1, v17, v5, vcc_lo
	v_add_co_u32 v17, s0, s10, v11
	v_add_co_ci_u32_e64 v18, null, s11, v12, s0
	v_lshlrev_b64 v[11:12], 3, v[1:2]
	v_add_co_u32 v15, s0, s10, v15
	v_add_co_ci_u32_e64 v16, null, s11, v16, s0
	v_ashrrev_i32_e32 v5, 31, v4
	v_add_co_u32 v19, s0, s10, v11
	v_add_co_ci_u32_e64 v20, null, s11, v12, s0
	s_clause 0x4
	global_load_dwordx2 v[9:10], v[9:10], off
	global_load_dwordx2 v[11:12], v[13:14], off
	;; [unrolled: 1-line block ×5, first 2 shown]
	v_lshlrev_b64 v[19:20], 2, v[4:5]
	v_lshlrev_b64 v[21:22], 3, v[4:5]
	v_add_nc_u32_e32 v0, 32, v0
	v_add_nc_u32_e32 v3, 0x480, v3
	;; [unrolled: 1-line block ×3, first 2 shown]
	v_add_co_u32 v23, s1, s4, v19
	v_add_co_ci_u32_e64 v24, null, s5, v20, s1
	v_cmp_le_i32_e64 s0, s13, v0
	v_add_co_u32 v25, s1, s8, v21
	v_add_co_ci_u32_e64 v26, null, s9, v22, s1
	s_or_b32 s12, s0, s12
	s_waitcnt vmcnt(6)
	v_subrev_nc_u32_e32 v1, s3, v27
	v_mad_u64_u32 v[19:20], null, v1, 6, s[2:3]
	v_add_nc_u32_e32 v20, 1, v19
	v_add_nc_u32_e32 v21, 2, v19
	v_add_nc_u32_e32 v22, 3, v19
	v_add_nc_u32_e32 v27, 4, v19
	v_add_nc_u32_e32 v28, 5, v19
	s_waitcnt vmcnt(4)
	global_store_dwordx4 v[25:26], v[7:10], off
	global_store_dwordx4 v[23:24], v[19:22], off
	global_store_dwordx2 v[23:24], v[27:28], off offset:16
	s_waitcnt vmcnt(2)
	global_store_dwordx4 v[25:26], v[11:14], off offset:16
	s_waitcnt vmcnt(0)
	global_store_dwordx4 v[25:26], v[15:18], off offset:32
	s_andn2_b32 exec_lo, exec_lo, s12
	s_cbranch_execnz .LBB57_5
.LBB57_6:
	s_endpgm
	.section	.rodata,"a",@progbits
	.p2align	6, 0x0
	.amdhsa_kernel _ZN9rocsparseL32bsr2csr_block_per_row_2_7_kernelILj256ELj6EliiEEv20rocsparse_direction_T3_S2_21rocsparse_index_base_PKT1_PKT2_PKS2_S2_S3_PS4_PS7_PS2_
		.amdhsa_group_segment_fixed_size 0
		.amdhsa_private_segment_fixed_size 0
		.amdhsa_kernarg_size 72
		.amdhsa_user_sgpr_count 6
		.amdhsa_user_sgpr_private_segment_buffer 1
		.amdhsa_user_sgpr_dispatch_ptr 0
		.amdhsa_user_sgpr_queue_ptr 0
		.amdhsa_user_sgpr_kernarg_segment_ptr 1
		.amdhsa_user_sgpr_dispatch_id 0
		.amdhsa_user_sgpr_flat_scratch_init 0
		.amdhsa_user_sgpr_private_segment_size 0
		.amdhsa_wavefront_size32 1
		.amdhsa_uses_dynamic_stack 0
		.amdhsa_system_sgpr_private_segment_wavefront_offset 0
		.amdhsa_system_sgpr_workgroup_id_x 1
		.amdhsa_system_sgpr_workgroup_id_y 0
		.amdhsa_system_sgpr_workgroup_id_z 0
		.amdhsa_system_sgpr_workgroup_info 0
		.amdhsa_system_vgpr_workitem_id 0
		.amdhsa_next_free_vgpr 29
		.amdhsa_next_free_sgpr 14
		.amdhsa_reserve_vcc 1
		.amdhsa_reserve_flat_scratch 0
		.amdhsa_float_round_mode_32 0
		.amdhsa_float_round_mode_16_64 0
		.amdhsa_float_denorm_mode_32 3
		.amdhsa_float_denorm_mode_16_64 3
		.amdhsa_dx10_clamp 1
		.amdhsa_ieee_mode 1
		.amdhsa_fp16_overflow 0
		.amdhsa_workgroup_processor_mode 1
		.amdhsa_memory_ordered 1
		.amdhsa_forward_progress 1
		.amdhsa_shared_vgpr_count 0
		.amdhsa_exception_fp_ieee_invalid_op 0
		.amdhsa_exception_fp_denorm_src 0
		.amdhsa_exception_fp_ieee_div_zero 0
		.amdhsa_exception_fp_ieee_overflow 0
		.amdhsa_exception_fp_ieee_underflow 0
		.amdhsa_exception_fp_ieee_inexact 0
		.amdhsa_exception_int_div_zero 0
	.end_amdhsa_kernel
	.section	.text._ZN9rocsparseL32bsr2csr_block_per_row_2_7_kernelILj256ELj6EliiEEv20rocsparse_direction_T3_S2_21rocsparse_index_base_PKT1_PKT2_PKS2_S2_S3_PS4_PS7_PS2_,"axG",@progbits,_ZN9rocsparseL32bsr2csr_block_per_row_2_7_kernelILj256ELj6EliiEEv20rocsparse_direction_T3_S2_21rocsparse_index_base_PKT1_PKT2_PKS2_S2_S3_PS4_PS7_PS2_,comdat
.Lfunc_end57:
	.size	_ZN9rocsparseL32bsr2csr_block_per_row_2_7_kernelILj256ELj6EliiEEv20rocsparse_direction_T3_S2_21rocsparse_index_base_PKT1_PKT2_PKS2_S2_S3_PS4_PS7_PS2_, .Lfunc_end57-_ZN9rocsparseL32bsr2csr_block_per_row_2_7_kernelILj256ELj6EliiEEv20rocsparse_direction_T3_S2_21rocsparse_index_base_PKT1_PKT2_PKS2_S2_S3_PS4_PS7_PS2_
                                        ; -- End function
	.set _ZN9rocsparseL32bsr2csr_block_per_row_2_7_kernelILj256ELj6EliiEEv20rocsparse_direction_T3_S2_21rocsparse_index_base_PKT1_PKT2_PKS2_S2_S3_PS4_PS7_PS2_.num_vgpr, 29
	.set _ZN9rocsparseL32bsr2csr_block_per_row_2_7_kernelILj256ELj6EliiEEv20rocsparse_direction_T3_S2_21rocsparse_index_base_PKT1_PKT2_PKS2_S2_S3_PS4_PS7_PS2_.num_agpr, 0
	.set _ZN9rocsparseL32bsr2csr_block_per_row_2_7_kernelILj256ELj6EliiEEv20rocsparse_direction_T3_S2_21rocsparse_index_base_PKT1_PKT2_PKS2_S2_S3_PS4_PS7_PS2_.numbered_sgpr, 14
	.set _ZN9rocsparseL32bsr2csr_block_per_row_2_7_kernelILj256ELj6EliiEEv20rocsparse_direction_T3_S2_21rocsparse_index_base_PKT1_PKT2_PKS2_S2_S3_PS4_PS7_PS2_.num_named_barrier, 0
	.set _ZN9rocsparseL32bsr2csr_block_per_row_2_7_kernelILj256ELj6EliiEEv20rocsparse_direction_T3_S2_21rocsparse_index_base_PKT1_PKT2_PKS2_S2_S3_PS4_PS7_PS2_.private_seg_size, 0
	.set _ZN9rocsparseL32bsr2csr_block_per_row_2_7_kernelILj256ELj6EliiEEv20rocsparse_direction_T3_S2_21rocsparse_index_base_PKT1_PKT2_PKS2_S2_S3_PS4_PS7_PS2_.uses_vcc, 1
	.set _ZN9rocsparseL32bsr2csr_block_per_row_2_7_kernelILj256ELj6EliiEEv20rocsparse_direction_T3_S2_21rocsparse_index_base_PKT1_PKT2_PKS2_S2_S3_PS4_PS7_PS2_.uses_flat_scratch, 0
	.set _ZN9rocsparseL32bsr2csr_block_per_row_2_7_kernelILj256ELj6EliiEEv20rocsparse_direction_T3_S2_21rocsparse_index_base_PKT1_PKT2_PKS2_S2_S3_PS4_PS7_PS2_.has_dyn_sized_stack, 0
	.set _ZN9rocsparseL32bsr2csr_block_per_row_2_7_kernelILj256ELj6EliiEEv20rocsparse_direction_T3_S2_21rocsparse_index_base_PKT1_PKT2_PKS2_S2_S3_PS4_PS7_PS2_.has_recursion, 0
	.set _ZN9rocsparseL32bsr2csr_block_per_row_2_7_kernelILj256ELj6EliiEEv20rocsparse_direction_T3_S2_21rocsparse_index_base_PKT1_PKT2_PKS2_S2_S3_PS4_PS7_PS2_.has_indirect_call, 0
	.section	.AMDGPU.csdata,"",@progbits
; Kernel info:
; codeLenInByte = 808
; TotalNumSgprs: 16
; NumVgprs: 29
; ScratchSize: 0
; MemoryBound: 0
; FloatMode: 240
; IeeeMode: 1
; LDSByteSize: 0 bytes/workgroup (compile time only)
; SGPRBlocks: 0
; VGPRBlocks: 3
; NumSGPRsForWavesPerEU: 16
; NumVGPRsForWavesPerEU: 29
; Occupancy: 16
; WaveLimiterHint : 0
; COMPUTE_PGM_RSRC2:SCRATCH_EN: 0
; COMPUTE_PGM_RSRC2:USER_SGPR: 6
; COMPUTE_PGM_RSRC2:TRAP_HANDLER: 0
; COMPUTE_PGM_RSRC2:TGID_X_EN: 1
; COMPUTE_PGM_RSRC2:TGID_Y_EN: 0
; COMPUTE_PGM_RSRC2:TGID_Z_EN: 0
; COMPUTE_PGM_RSRC2:TIDIG_COMP_CNT: 0
	.section	.text._ZN9rocsparseL32bsr2csr_block_per_row_2_7_kernelILj256ELj7EliiEEv20rocsparse_direction_T3_S2_21rocsparse_index_base_PKT1_PKT2_PKS2_S2_S3_PS4_PS7_PS2_,"axG",@progbits,_ZN9rocsparseL32bsr2csr_block_per_row_2_7_kernelILj256ELj7EliiEEv20rocsparse_direction_T3_S2_21rocsparse_index_base_PKT1_PKT2_PKS2_S2_S3_PS4_PS7_PS2_,comdat
	.globl	_ZN9rocsparseL32bsr2csr_block_per_row_2_7_kernelILj256ELj7EliiEEv20rocsparse_direction_T3_S2_21rocsparse_index_base_PKT1_PKT2_PKS2_S2_S3_PS4_PS7_PS2_ ; -- Begin function _ZN9rocsparseL32bsr2csr_block_per_row_2_7_kernelILj256ELj7EliiEEv20rocsparse_direction_T3_S2_21rocsparse_index_base_PKT1_PKT2_PKS2_S2_S3_PS4_PS7_PS2_
	.p2align	8
	.type	_ZN9rocsparseL32bsr2csr_block_per_row_2_7_kernelILj256ELj7EliiEEv20rocsparse_direction_T3_S2_21rocsparse_index_base_PKT1_PKT2_PKS2_S2_S3_PS4_PS7_PS2_,@function
_ZN9rocsparseL32bsr2csr_block_per_row_2_7_kernelILj256ELj7EliiEEv20rocsparse_direction_T3_S2_21rocsparse_index_base_PKT1_PKT2_PKS2_S2_S3_PS4_PS7_PS2_: ; @_ZN9rocsparseL32bsr2csr_block_per_row_2_7_kernelILj256ELj7EliiEEv20rocsparse_direction_T3_S2_21rocsparse_index_base_PKT1_PKT2_PKS2_S2_S3_PS4_PS7_PS2_
; %bb.0:
	s_clause 0x2
	s_load_dwordx2 s[8:9], s[4:5], 0x18
	s_load_dword s2, s[4:5], 0x2c
	s_load_dwordx2 s[0:1], s[4:5], 0x38
	s_ashr_i32 s7, s6, 31
	v_or_b32_e32 v1, s6, v0
	s_lshl_b64 s[10:11], s[6:7], 2
	s_mov_b32 s3, exec_lo
	s_waitcnt lgkmcnt(0)
	s_add_u32 s8, s8, s10
	s_addc_u32 s9, s9, s11
	v_cmpx_eq_u32_e32 0, v1
	s_cbranch_execz .LBB58_2
; %bb.1:
	v_mov_b32_e32 v1, 0
	v_mov_b32_e32 v2, s2
	global_store_dword v1, v2, s[0:1]
.LBB58_2:
	s_or_b32 exec_lo, exec_lo, s3
	v_and_b32_e32 v5, 7, v0
	s_mov_b32 s3, exec_lo
	v_cmpx_ne_u32_e32 7, v5
	s_cbranch_execz .LBB58_6
; %bb.3:
	s_load_dwordx2 s[12:13], s[8:9], 0x0
	s_load_dword s3, s[4:5], 0xc
	s_mul_i32 s6, s6, 7
	v_mov_b32_e32 v2, 0
	v_add3_u32 v1, v5, s6, 1
	v_lshrrev_b32_e32 v4, 3, v0
	v_lshlrev_b64 v[6:7], 2, v[1:2]
	v_add_co_u32 v6, vcc_lo, s0, v6
	v_add_co_ci_u32_e64 v7, null, s1, v7, vcc_lo
	s_waitcnt lgkmcnt(0)
	s_sub_i32 s7, s12, s3
	s_sub_i32 s13, s13, s3
	v_add_nc_u32_e32 v0, s7, v4
	s_sub_i32 s8, s13, s7
	s_mul_i32 s6, s7, 49
	s_mul_i32 s8, s8, 7
	v_mul_lo_u32 v3, s8, v5
	s_add_i32 s8, s8, s2
	v_cmp_gt_i32_e32 vcc_lo, s13, v0
	v_add3_u32 v1, s8, s6, v3
	global_store_dword v[6:7], v1, off
	s_and_b32 exec_lo, exec_lo, vcc_lo
	s_cbranch_execz .LBB58_6
; %bb.4:
	s_clause 0x4
	s_load_dwordx2 s[6:7], s[4:5], 0x20
	s_load_dwordx2 s[8:9], s[4:5], 0x30
	s_load_dword s0, s[4:5], 0x0
	s_load_dwordx2 s[10:11], s[4:5], 0x10
	s_load_dwordx2 s[4:5], s[4:5], 0x40
	v_mul_u32_u24_e32 v1, 7, v4
	s_mul_i32 s1, s12, 49
	s_mov_b32 s12, 0
	v_add3_u32 v1, v3, s1, v1
	v_mad_u64_u32 v[3:4], null, v0, 49, v[5:6]
	s_mul_i32 s1, s3, 49
	v_mul_u32_u24_e32 v6, 6, v5
	v_subrev_nc_u32_e32 v4, s1, v1
	s_waitcnt lgkmcnt(0)
	s_cmp_eq_u32 s0, 0
	s_cselect_b32 vcc_lo, -1, 0
.LBB58_5:                               ; =>This Inner Loop Header: Depth=1
	v_ashrrev_i32_e32 v1, 31, v0
	v_add_nc_u32_e32 v5, v6, v3
	v_add_nc_u32_e32 v11, 7, v3
	;; [unrolled: 1-line block ×4, first 2 shown]
	v_lshlrev_b64 v[7:8], 2, v[0:1]
	v_cndmask_b32_e32 v1, v3, v5, vcc_lo
	v_add_nc_u32_e32 v12, 1, v5
	v_add_nc_u32_e32 v14, 2, v5
	;; [unrolled: 1-line block ×4, first 2 shown]
	v_lshlrev_b64 v[9:10], 3, v[1:2]
	v_cndmask_b32_e32 v1, v11, v12, vcc_lo
	v_add_co_u32 v7, s0, s6, v7
	v_add_co_ci_u32_e64 v8, null, s7, v8, s0
	v_lshlrev_b64 v[11:12], 3, v[1:2]
	v_cndmask_b32_e32 v1, v13, v14, vcc_lo
	v_add_nc_u32_e32 v20, 4, v5
	global_load_dword v29, v[7:8], off
	v_add_co_u32 v7, s0, s10, v9
	v_lshlrev_b64 v[13:14], 3, v[1:2]
	v_cndmask_b32_e32 v1, v15, v18, vcc_lo
	v_add_co_ci_u32_e64 v8, null, s11, v10, s0
	v_add_co_u32 v9, s0, s10, v11
	v_add_nc_u32_e32 v17, 35, v3
	v_add_nc_u32_e32 v21, 5, v5
	v_add_co_ci_u32_e64 v10, null, s11, v12, s0
	v_lshlrev_b64 v[11:12], 3, v[1:2]
	v_cndmask_b32_e32 v1, v16, v20, vcc_lo
	v_add_nc_u32_e32 v19, 42, v3
	v_add_nc_u32_e32 v5, 6, v5
	v_add_co_u32 v13, s0, s10, v13
	v_lshlrev_b64 v[15:16], 3, v[1:2]
	v_cndmask_b32_e32 v1, v17, v21, vcc_lo
	v_add_co_ci_u32_e64 v14, null, s11, v14, s0
	v_add_co_u32 v17, s0, s10, v11
	v_add_co_ci_u32_e64 v18, null, s11, v12, s0
	v_lshlrev_b64 v[11:12], 3, v[1:2]
	v_cndmask_b32_e32 v1, v19, v5, vcc_lo
	v_add_co_u32 v15, s0, s10, v15
	v_add_co_ci_u32_e64 v16, null, s11, v16, s0
	v_lshlrev_b64 v[19:20], 3, v[1:2]
	v_add_co_u32 v21, s0, s10, v11
	s_clause 0x1
	global_load_dwordx2 v[7:8], v[7:8], off
	global_load_dwordx2 v[9:10], v[9:10], off
	v_add_co_ci_u32_e64 v22, null, s11, v12, s0
	v_add_co_u32 v19, s0, s10, v19
	v_add_co_ci_u32_e64 v20, null, s11, v20, s0
	s_clause 0x4
	global_load_dwordx2 v[11:12], v[13:14], off
	global_load_dwordx2 v[13:14], v[17:18], off
	;; [unrolled: 1-line block ×5, first 2 shown]
	v_ashrrev_i32_e32 v5, 31, v4
	v_add_nc_u32_e32 v0, 32, v0
	v_add_nc_u32_e32 v3, 0x620, v3
	v_lshlrev_b64 v[19:20], 2, v[4:5]
	v_lshlrev_b64 v[21:22], 3, v[4:5]
	v_cmp_le_i32_e64 s0, s13, v0
	v_add_nc_u32_e32 v4, 0xe0, v4
	v_add_co_u32 v25, s1, s4, v19
	v_add_co_ci_u32_e64 v26, null, s5, v20, s1
	v_add_co_u32 v27, s1, s8, v21
	v_add_co_ci_u32_e64 v28, null, s9, v22, s1
	s_or_b32 s12, s0, s12
	s_waitcnt vmcnt(7)
	v_subrev_nc_u32_e32 v1, s3, v29
	v_mad_u64_u32 v[19:20], null, v1, 7, s[2:3]
	v_add_nc_u32_e32 v20, 1, v19
	v_add_nc_u32_e32 v21, 2, v19
	;; [unrolled: 1-line block ×3, first 2 shown]
	s_waitcnt vmcnt(5)
	global_store_dwordx4 v[27:28], v[7:10], off
	v_add_nc_u32_e32 v7, 4, v19
	v_add_nc_u32_e32 v8, 5, v19
	v_add_nc_u32_e32 v9, 6, v19
	global_store_dwordx4 v[25:26], v[19:22], off
	global_store_dwordx3 v[25:26], v[7:9], off offset:16
	s_waitcnt vmcnt(3)
	global_store_dwordx4 v[27:28], v[11:14], off offset:16
	s_waitcnt vmcnt(1)
	global_store_dwordx4 v[27:28], v[15:18], off offset:32
	s_waitcnt vmcnt(0)
	global_store_dwordx2 v[27:28], v[23:24], off offset:48
	s_andn2_b32 exec_lo, exec_lo, s12
	s_cbranch_execnz .LBB58_5
.LBB58_6:
	s_endpgm
	.section	.rodata,"a",@progbits
	.p2align	6, 0x0
	.amdhsa_kernel _ZN9rocsparseL32bsr2csr_block_per_row_2_7_kernelILj256ELj7EliiEEv20rocsparse_direction_T3_S2_21rocsparse_index_base_PKT1_PKT2_PKS2_S2_S3_PS4_PS7_PS2_
		.amdhsa_group_segment_fixed_size 0
		.amdhsa_private_segment_fixed_size 0
		.amdhsa_kernarg_size 72
		.amdhsa_user_sgpr_count 6
		.amdhsa_user_sgpr_private_segment_buffer 1
		.amdhsa_user_sgpr_dispatch_ptr 0
		.amdhsa_user_sgpr_queue_ptr 0
		.amdhsa_user_sgpr_kernarg_segment_ptr 1
		.amdhsa_user_sgpr_dispatch_id 0
		.amdhsa_user_sgpr_flat_scratch_init 0
		.amdhsa_user_sgpr_private_segment_size 0
		.amdhsa_wavefront_size32 1
		.amdhsa_uses_dynamic_stack 0
		.amdhsa_system_sgpr_private_segment_wavefront_offset 0
		.amdhsa_system_sgpr_workgroup_id_x 1
		.amdhsa_system_sgpr_workgroup_id_y 0
		.amdhsa_system_sgpr_workgroup_id_z 0
		.amdhsa_system_sgpr_workgroup_info 0
		.amdhsa_system_vgpr_workitem_id 0
		.amdhsa_next_free_vgpr 30
		.amdhsa_next_free_sgpr 14
		.amdhsa_reserve_vcc 1
		.amdhsa_reserve_flat_scratch 0
		.amdhsa_float_round_mode_32 0
		.amdhsa_float_round_mode_16_64 0
		.amdhsa_float_denorm_mode_32 3
		.amdhsa_float_denorm_mode_16_64 3
		.amdhsa_dx10_clamp 1
		.amdhsa_ieee_mode 1
		.amdhsa_fp16_overflow 0
		.amdhsa_workgroup_processor_mode 1
		.amdhsa_memory_ordered 1
		.amdhsa_forward_progress 1
		.amdhsa_shared_vgpr_count 0
		.amdhsa_exception_fp_ieee_invalid_op 0
		.amdhsa_exception_fp_denorm_src 0
		.amdhsa_exception_fp_ieee_div_zero 0
		.amdhsa_exception_fp_ieee_overflow 0
		.amdhsa_exception_fp_ieee_underflow 0
		.amdhsa_exception_fp_ieee_inexact 0
		.amdhsa_exception_int_div_zero 0
	.end_amdhsa_kernel
	.section	.text._ZN9rocsparseL32bsr2csr_block_per_row_2_7_kernelILj256ELj7EliiEEv20rocsparse_direction_T3_S2_21rocsparse_index_base_PKT1_PKT2_PKS2_S2_S3_PS4_PS7_PS2_,"axG",@progbits,_ZN9rocsparseL32bsr2csr_block_per_row_2_7_kernelILj256ELj7EliiEEv20rocsparse_direction_T3_S2_21rocsparse_index_base_PKT1_PKT2_PKS2_S2_S3_PS4_PS7_PS2_,comdat
.Lfunc_end58:
	.size	_ZN9rocsparseL32bsr2csr_block_per_row_2_7_kernelILj256ELj7EliiEEv20rocsparse_direction_T3_S2_21rocsparse_index_base_PKT1_PKT2_PKS2_S2_S3_PS4_PS7_PS2_, .Lfunc_end58-_ZN9rocsparseL32bsr2csr_block_per_row_2_7_kernelILj256ELj7EliiEEv20rocsparse_direction_T3_S2_21rocsparse_index_base_PKT1_PKT2_PKS2_S2_S3_PS4_PS7_PS2_
                                        ; -- End function
	.set _ZN9rocsparseL32bsr2csr_block_per_row_2_7_kernelILj256ELj7EliiEEv20rocsparse_direction_T3_S2_21rocsparse_index_base_PKT1_PKT2_PKS2_S2_S3_PS4_PS7_PS2_.num_vgpr, 30
	.set _ZN9rocsparseL32bsr2csr_block_per_row_2_7_kernelILj256ELj7EliiEEv20rocsparse_direction_T3_S2_21rocsparse_index_base_PKT1_PKT2_PKS2_S2_S3_PS4_PS7_PS2_.num_agpr, 0
	.set _ZN9rocsparseL32bsr2csr_block_per_row_2_7_kernelILj256ELj7EliiEEv20rocsparse_direction_T3_S2_21rocsparse_index_base_PKT1_PKT2_PKS2_S2_S3_PS4_PS7_PS2_.numbered_sgpr, 14
	.set _ZN9rocsparseL32bsr2csr_block_per_row_2_7_kernelILj256ELj7EliiEEv20rocsparse_direction_T3_S2_21rocsparse_index_base_PKT1_PKT2_PKS2_S2_S3_PS4_PS7_PS2_.num_named_barrier, 0
	.set _ZN9rocsparseL32bsr2csr_block_per_row_2_7_kernelILj256ELj7EliiEEv20rocsparse_direction_T3_S2_21rocsparse_index_base_PKT1_PKT2_PKS2_S2_S3_PS4_PS7_PS2_.private_seg_size, 0
	.set _ZN9rocsparseL32bsr2csr_block_per_row_2_7_kernelILj256ELj7EliiEEv20rocsparse_direction_T3_S2_21rocsparse_index_base_PKT1_PKT2_PKS2_S2_S3_PS4_PS7_PS2_.uses_vcc, 1
	.set _ZN9rocsparseL32bsr2csr_block_per_row_2_7_kernelILj256ELj7EliiEEv20rocsparse_direction_T3_S2_21rocsparse_index_base_PKT1_PKT2_PKS2_S2_S3_PS4_PS7_PS2_.uses_flat_scratch, 0
	.set _ZN9rocsparseL32bsr2csr_block_per_row_2_7_kernelILj256ELj7EliiEEv20rocsparse_direction_T3_S2_21rocsparse_index_base_PKT1_PKT2_PKS2_S2_S3_PS4_PS7_PS2_.has_dyn_sized_stack, 0
	.set _ZN9rocsparseL32bsr2csr_block_per_row_2_7_kernelILj256ELj7EliiEEv20rocsparse_direction_T3_S2_21rocsparse_index_base_PKT1_PKT2_PKS2_S2_S3_PS4_PS7_PS2_.has_recursion, 0
	.set _ZN9rocsparseL32bsr2csr_block_per_row_2_7_kernelILj256ELj7EliiEEv20rocsparse_direction_T3_S2_21rocsparse_index_base_PKT1_PKT2_PKS2_S2_S3_PS4_PS7_PS2_.has_indirect_call, 0
	.section	.AMDGPU.csdata,"",@progbits
; Kernel info:
; codeLenInByte = 872
; TotalNumSgprs: 16
; NumVgprs: 30
; ScratchSize: 0
; MemoryBound: 0
; FloatMode: 240
; IeeeMode: 1
; LDSByteSize: 0 bytes/workgroup (compile time only)
; SGPRBlocks: 0
; VGPRBlocks: 3
; NumSGPRsForWavesPerEU: 16
; NumVGPRsForWavesPerEU: 30
; Occupancy: 16
; WaveLimiterHint : 0
; COMPUTE_PGM_RSRC2:SCRATCH_EN: 0
; COMPUTE_PGM_RSRC2:USER_SGPR: 6
; COMPUTE_PGM_RSRC2:TRAP_HANDLER: 0
; COMPUTE_PGM_RSRC2:TGID_X_EN: 1
; COMPUTE_PGM_RSRC2:TGID_Y_EN: 0
; COMPUTE_PGM_RSRC2:TGID_Z_EN: 0
; COMPUTE_PGM_RSRC2:TIDIG_COMP_CNT: 0
	.section	.text._ZN9rocsparseL33bsr2csr_block_per_row_8_32_kernelILj1024ELj8EliiEEv20rocsparse_direction_T3_S2_21rocsparse_index_base_PKT1_PKT2_PKS2_S2_S3_PS4_PS7_PS2_,"axG",@progbits,_ZN9rocsparseL33bsr2csr_block_per_row_8_32_kernelILj1024ELj8EliiEEv20rocsparse_direction_T3_S2_21rocsparse_index_base_PKT1_PKT2_PKS2_S2_S3_PS4_PS7_PS2_,comdat
	.globl	_ZN9rocsparseL33bsr2csr_block_per_row_8_32_kernelILj1024ELj8EliiEEv20rocsparse_direction_T3_S2_21rocsparse_index_base_PKT1_PKT2_PKS2_S2_S3_PS4_PS7_PS2_ ; -- Begin function _ZN9rocsparseL33bsr2csr_block_per_row_8_32_kernelILj1024ELj8EliiEEv20rocsparse_direction_T3_S2_21rocsparse_index_base_PKT1_PKT2_PKS2_S2_S3_PS4_PS7_PS2_
	.p2align	8
	.type	_ZN9rocsparseL33bsr2csr_block_per_row_8_32_kernelILj1024ELj8EliiEEv20rocsparse_direction_T3_S2_21rocsparse_index_base_PKT1_PKT2_PKS2_S2_S3_PS4_PS7_PS2_,@function
_ZN9rocsparseL33bsr2csr_block_per_row_8_32_kernelILj1024ELj8EliiEEv20rocsparse_direction_T3_S2_21rocsparse_index_base_PKT1_PKT2_PKS2_S2_S3_PS4_PS7_PS2_: ; @_ZN9rocsparseL33bsr2csr_block_per_row_8_32_kernelILj1024ELj8EliiEEv20rocsparse_direction_T3_S2_21rocsparse_index_base_PKT1_PKT2_PKS2_S2_S3_PS4_PS7_PS2_
; %bb.0:
	s_clause 0x2
	s_load_dwordx2 s[8:9], s[4:5], 0x18
	s_load_dwordx2 s[2:3], s[4:5], 0x28
	;; [unrolled: 1-line block ×3, first 2 shown]
	s_ashr_i32 s7, s6, 31
	v_or_b32_e32 v1, s6, v0
	s_lshl_b64 s[10:11], s[6:7], 2
	s_mov_b32 s7, exec_lo
	s_waitcnt lgkmcnt(0)
	s_add_u32 s8, s8, s10
	s_addc_u32 s9, s9, s11
	v_cmpx_eq_u32_e32 0, v1
	s_cbranch_execz .LBB59_2
; %bb.1:
	v_mov_b32_e32 v1, 0
	v_mov_b32_e32 v2, s3
	global_store_dword v1, v2, s[0:1]
.LBB59_2:
	s_or_b32 exec_lo, exec_lo, s7
	v_and_b32_e32 v1, 7, v0
	v_bfe_u32 v2, v0, 3, 3
	s_mov_b32 s7, exec_lo
	v_max_i32_e32 v3, v2, v1
	v_cmpx_gt_i32_e64 s2, v3
	s_cbranch_execz .LBB59_6
; %bb.3:
	s_load_dwordx2 s[8:9], s[8:9], 0x0
	s_load_dword s12, s[4:5], 0xc
	v_mad_u64_u32 v[4:5], null, s2, s6, v[2:3]
	v_lshrrev_b32_e32 v3, 6, v0
	s_mul_i32 s14, s2, s2
	v_ashrrev_i32_e32 v5, 31, v4
	v_lshlrev_b64 v[4:5], 2, v[4:5]
	v_add_co_u32 v4, vcc_lo, s0, v4
	s_waitcnt lgkmcnt(0)
	s_sub_i32 s15, s8, s12
	s_sub_i32 s13, s9, s12
	v_add_nc_u32_e32 v0, s15, v3
	s_sub_i32 s16, s13, s15
	s_mul_i32 s7, s15, s14
	s_mul_i32 s6, s16, s2
	v_add_co_ci_u32_e64 v5, null, s1, v5, vcc_lo
	v_mul_lo_u32 v6, s6, v2
	s_add_i32 s6, s6, s3
	v_cmp_gt_i32_e32 vcc_lo, s13, v0
	v_add3_u32 v6, s6, s7, v6
	global_store_dword v[4:5], v6, off offset:4
	s_and_b32 exec_lo, exec_lo, vcc_lo
	s_cbranch_execz .LBB59_6
; %bb.4:
	s_clause 0x2
	s_load_dwordx2 s[6:7], s[4:5], 0x20
	s_load_dwordx2 s[8:9], s[4:5], 0x30
	s_load_dword s0, s[4:5], 0x0
	v_mad_u64_u32 v[4:5], null, s2, v1, v[2:3]
	v_mad_u64_u32 v[5:6], null, s2, v2, v[1:2]
	v_mul_lo_u32 v6, s16, v2
	s_clause 0x1
	s_load_dwordx2 s[10:11], s[4:5], 0x10
	s_load_dwordx2 s[4:5], s[4:5], 0x40
	s_mov_b32 s1, 0
	s_waitcnt lgkmcnt(0)
	s_cmp_eq_u32 s0, 0
	s_mul_i32 s0, s2, s15
	s_cselect_b32 vcc_lo, -1, 0
	v_cndmask_b32_e32 v2, v4, v5, vcc_lo
	v_add3_u32 v4, v3, s0, v6
	v_add_nc_u32_e32 v6, s3, v1
	s_lshl_b32 s3, s14, 4
	v_mad_u64_u32 v[2:3], null, s14, v0, v[2:3]
	s_lshl_b32 s14, s2, 4
	v_mad_u64_u32 v[4:5], null, s2, v4, v[1:2]
	s_inst_prefetch 0x1
	.p2align	6
.LBB59_5:                               ; =>This Inner Loop Header: Depth=1
	v_ashrrev_i32_e32 v1, 31, v0
	v_ashrrev_i32_e32 v3, 31, v2
	;; [unrolled: 1-line block ×3, first 2 shown]
	v_lshlrev_b64 v[7:8], 2, v[0:1]
	v_add_nc_u32_e32 v0, 16, v0
	v_lshlrev_b64 v[9:10], 2, v[4:5]
	v_lshlrev_b64 v[11:12], 3, v[4:5]
	v_add_nc_u32_e32 v4, s14, v4
	v_add_co_u32 v7, vcc_lo, s6, v7
	v_add_co_ci_u32_e64 v8, null, s7, v8, vcc_lo
	v_add_co_u32 v9, s0, s4, v9
	v_add_co_ci_u32_e64 v10, null, s5, v10, s0
	global_load_dword v1, v[7:8], off
	v_lshlrev_b64 v[7:8], 3, v[2:3]
	v_add_co_u32 v11, s0, s8, v11
	v_add_nc_u32_e32 v2, s3, v2
	v_add_co_ci_u32_e64 v12, null, s9, v12, s0
	v_add_co_u32 v7, vcc_lo, s10, v7
	v_add_co_ci_u32_e64 v8, null, s11, v8, vcc_lo
	v_cmp_le_i32_e32 vcc_lo, s13, v0
	global_load_dwordx2 v[7:8], v[7:8], off
	s_or_b32 s1, vcc_lo, s1
	s_waitcnt vmcnt(1)
	v_subrev_nc_u32_e32 v1, s12, v1
	s_waitcnt vmcnt(0)
	v_mad_u64_u32 v[13:14], null, v1, s2, v[6:7]
	global_store_dword v[9:10], v13, off
	global_store_dwordx2 v[11:12], v[7:8], off
	s_andn2_b32 exec_lo, exec_lo, s1
	s_cbranch_execnz .LBB59_5
.LBB59_6:
	s_inst_prefetch 0x2
	s_endpgm
	.section	.rodata,"a",@progbits
	.p2align	6, 0x0
	.amdhsa_kernel _ZN9rocsparseL33bsr2csr_block_per_row_8_32_kernelILj1024ELj8EliiEEv20rocsparse_direction_T3_S2_21rocsparse_index_base_PKT1_PKT2_PKS2_S2_S3_PS4_PS7_PS2_
		.amdhsa_group_segment_fixed_size 0
		.amdhsa_private_segment_fixed_size 0
		.amdhsa_kernarg_size 72
		.amdhsa_user_sgpr_count 6
		.amdhsa_user_sgpr_private_segment_buffer 1
		.amdhsa_user_sgpr_dispatch_ptr 0
		.amdhsa_user_sgpr_queue_ptr 0
		.amdhsa_user_sgpr_kernarg_segment_ptr 1
		.amdhsa_user_sgpr_dispatch_id 0
		.amdhsa_user_sgpr_flat_scratch_init 0
		.amdhsa_user_sgpr_private_segment_size 0
		.amdhsa_wavefront_size32 1
		.amdhsa_uses_dynamic_stack 0
		.amdhsa_system_sgpr_private_segment_wavefront_offset 0
		.amdhsa_system_sgpr_workgroup_id_x 1
		.amdhsa_system_sgpr_workgroup_id_y 0
		.amdhsa_system_sgpr_workgroup_id_z 0
		.amdhsa_system_sgpr_workgroup_info 0
		.amdhsa_system_vgpr_workitem_id 0
		.amdhsa_next_free_vgpr 15
		.amdhsa_next_free_sgpr 17
		.amdhsa_reserve_vcc 1
		.amdhsa_reserve_flat_scratch 0
		.amdhsa_float_round_mode_32 0
		.amdhsa_float_round_mode_16_64 0
		.amdhsa_float_denorm_mode_32 3
		.amdhsa_float_denorm_mode_16_64 3
		.amdhsa_dx10_clamp 1
		.amdhsa_ieee_mode 1
		.amdhsa_fp16_overflow 0
		.amdhsa_workgroup_processor_mode 1
		.amdhsa_memory_ordered 1
		.amdhsa_forward_progress 1
		.amdhsa_shared_vgpr_count 0
		.amdhsa_exception_fp_ieee_invalid_op 0
		.amdhsa_exception_fp_denorm_src 0
		.amdhsa_exception_fp_ieee_div_zero 0
		.amdhsa_exception_fp_ieee_overflow 0
		.amdhsa_exception_fp_ieee_underflow 0
		.amdhsa_exception_fp_ieee_inexact 0
		.amdhsa_exception_int_div_zero 0
	.end_amdhsa_kernel
	.section	.text._ZN9rocsparseL33bsr2csr_block_per_row_8_32_kernelILj1024ELj8EliiEEv20rocsparse_direction_T3_S2_21rocsparse_index_base_PKT1_PKT2_PKS2_S2_S3_PS4_PS7_PS2_,"axG",@progbits,_ZN9rocsparseL33bsr2csr_block_per_row_8_32_kernelILj1024ELj8EliiEEv20rocsparse_direction_T3_S2_21rocsparse_index_base_PKT1_PKT2_PKS2_S2_S3_PS4_PS7_PS2_,comdat
.Lfunc_end59:
	.size	_ZN9rocsparseL33bsr2csr_block_per_row_8_32_kernelILj1024ELj8EliiEEv20rocsparse_direction_T3_S2_21rocsparse_index_base_PKT1_PKT2_PKS2_S2_S3_PS4_PS7_PS2_, .Lfunc_end59-_ZN9rocsparseL33bsr2csr_block_per_row_8_32_kernelILj1024ELj8EliiEEv20rocsparse_direction_T3_S2_21rocsparse_index_base_PKT1_PKT2_PKS2_S2_S3_PS4_PS7_PS2_
                                        ; -- End function
	.set _ZN9rocsparseL33bsr2csr_block_per_row_8_32_kernelILj1024ELj8EliiEEv20rocsparse_direction_T3_S2_21rocsparse_index_base_PKT1_PKT2_PKS2_S2_S3_PS4_PS7_PS2_.num_vgpr, 15
	.set _ZN9rocsparseL33bsr2csr_block_per_row_8_32_kernelILj1024ELj8EliiEEv20rocsparse_direction_T3_S2_21rocsparse_index_base_PKT1_PKT2_PKS2_S2_S3_PS4_PS7_PS2_.num_agpr, 0
	.set _ZN9rocsparseL33bsr2csr_block_per_row_8_32_kernelILj1024ELj8EliiEEv20rocsparse_direction_T3_S2_21rocsparse_index_base_PKT1_PKT2_PKS2_S2_S3_PS4_PS7_PS2_.numbered_sgpr, 17
	.set _ZN9rocsparseL33bsr2csr_block_per_row_8_32_kernelILj1024ELj8EliiEEv20rocsparse_direction_T3_S2_21rocsparse_index_base_PKT1_PKT2_PKS2_S2_S3_PS4_PS7_PS2_.num_named_barrier, 0
	.set _ZN9rocsparseL33bsr2csr_block_per_row_8_32_kernelILj1024ELj8EliiEEv20rocsparse_direction_T3_S2_21rocsparse_index_base_PKT1_PKT2_PKS2_S2_S3_PS4_PS7_PS2_.private_seg_size, 0
	.set _ZN9rocsparseL33bsr2csr_block_per_row_8_32_kernelILj1024ELj8EliiEEv20rocsparse_direction_T3_S2_21rocsparse_index_base_PKT1_PKT2_PKS2_S2_S3_PS4_PS7_PS2_.uses_vcc, 1
	.set _ZN9rocsparseL33bsr2csr_block_per_row_8_32_kernelILj1024ELj8EliiEEv20rocsparse_direction_T3_S2_21rocsparse_index_base_PKT1_PKT2_PKS2_S2_S3_PS4_PS7_PS2_.uses_flat_scratch, 0
	.set _ZN9rocsparseL33bsr2csr_block_per_row_8_32_kernelILj1024ELj8EliiEEv20rocsparse_direction_T3_S2_21rocsparse_index_base_PKT1_PKT2_PKS2_S2_S3_PS4_PS7_PS2_.has_dyn_sized_stack, 0
	.set _ZN9rocsparseL33bsr2csr_block_per_row_8_32_kernelILj1024ELj8EliiEEv20rocsparse_direction_T3_S2_21rocsparse_index_base_PKT1_PKT2_PKS2_S2_S3_PS4_PS7_PS2_.has_recursion, 0
	.set _ZN9rocsparseL33bsr2csr_block_per_row_8_32_kernelILj1024ELj8EliiEEv20rocsparse_direction_T3_S2_21rocsparse_index_base_PKT1_PKT2_PKS2_S2_S3_PS4_PS7_PS2_.has_indirect_call, 0
	.section	.AMDGPU.csdata,"",@progbits
; Kernel info:
; codeLenInByte = 580
; TotalNumSgprs: 19
; NumVgprs: 15
; ScratchSize: 0
; MemoryBound: 0
; FloatMode: 240
; IeeeMode: 1
; LDSByteSize: 0 bytes/workgroup (compile time only)
; SGPRBlocks: 0
; VGPRBlocks: 1
; NumSGPRsForWavesPerEU: 19
; NumVGPRsForWavesPerEU: 15
; Occupancy: 16
; WaveLimiterHint : 0
; COMPUTE_PGM_RSRC2:SCRATCH_EN: 0
; COMPUTE_PGM_RSRC2:USER_SGPR: 6
; COMPUTE_PGM_RSRC2:TRAP_HANDLER: 0
; COMPUTE_PGM_RSRC2:TGID_X_EN: 1
; COMPUTE_PGM_RSRC2:TGID_Y_EN: 0
; COMPUTE_PGM_RSRC2:TGID_Z_EN: 0
; COMPUTE_PGM_RSRC2:TIDIG_COMP_CNT: 0
	.section	.text._ZN9rocsparseL33bsr2csr_block_per_row_8_32_kernelILj1024ELj16EliiEEv20rocsparse_direction_T3_S2_21rocsparse_index_base_PKT1_PKT2_PKS2_S2_S3_PS4_PS7_PS2_,"axG",@progbits,_ZN9rocsparseL33bsr2csr_block_per_row_8_32_kernelILj1024ELj16EliiEEv20rocsparse_direction_T3_S2_21rocsparse_index_base_PKT1_PKT2_PKS2_S2_S3_PS4_PS7_PS2_,comdat
	.globl	_ZN9rocsparseL33bsr2csr_block_per_row_8_32_kernelILj1024ELj16EliiEEv20rocsparse_direction_T3_S2_21rocsparse_index_base_PKT1_PKT2_PKS2_S2_S3_PS4_PS7_PS2_ ; -- Begin function _ZN9rocsparseL33bsr2csr_block_per_row_8_32_kernelILj1024ELj16EliiEEv20rocsparse_direction_T3_S2_21rocsparse_index_base_PKT1_PKT2_PKS2_S2_S3_PS4_PS7_PS2_
	.p2align	8
	.type	_ZN9rocsparseL33bsr2csr_block_per_row_8_32_kernelILj1024ELj16EliiEEv20rocsparse_direction_T3_S2_21rocsparse_index_base_PKT1_PKT2_PKS2_S2_S3_PS4_PS7_PS2_,@function
_ZN9rocsparseL33bsr2csr_block_per_row_8_32_kernelILj1024ELj16EliiEEv20rocsparse_direction_T3_S2_21rocsparse_index_base_PKT1_PKT2_PKS2_S2_S3_PS4_PS7_PS2_: ; @_ZN9rocsparseL33bsr2csr_block_per_row_8_32_kernelILj1024ELj16EliiEEv20rocsparse_direction_T3_S2_21rocsparse_index_base_PKT1_PKT2_PKS2_S2_S3_PS4_PS7_PS2_
; %bb.0:
	s_clause 0x2
	s_load_dwordx2 s[8:9], s[4:5], 0x18
	s_load_dwordx2 s[2:3], s[4:5], 0x28
	;; [unrolled: 1-line block ×3, first 2 shown]
	s_ashr_i32 s7, s6, 31
	v_or_b32_e32 v1, s6, v0
	s_lshl_b64 s[10:11], s[6:7], 2
	s_mov_b32 s7, exec_lo
	s_waitcnt lgkmcnt(0)
	s_add_u32 s8, s8, s10
	s_addc_u32 s9, s9, s11
	v_cmpx_eq_u32_e32 0, v1
	s_cbranch_execz .LBB60_2
; %bb.1:
	v_mov_b32_e32 v1, 0
	v_mov_b32_e32 v2, s3
	global_store_dword v1, v2, s[0:1]
.LBB60_2:
	s_or_b32 exec_lo, exec_lo, s7
	v_and_b32_e32 v1, 15, v0
	v_bfe_u32 v2, v0, 4, 4
	s_mov_b32 s7, exec_lo
	v_max_i32_e32 v3, v2, v1
	v_cmpx_gt_i32_e64 s2, v3
	s_cbranch_execz .LBB60_6
; %bb.3:
	s_load_dwordx2 s[8:9], s[8:9], 0x0
	s_load_dword s12, s[4:5], 0xc
	v_mad_u64_u32 v[4:5], null, s2, s6, v[2:3]
	v_lshrrev_b32_e32 v3, 8, v0
	s_mul_i32 s14, s2, s2
	v_ashrrev_i32_e32 v5, 31, v4
	v_lshlrev_b64 v[4:5], 2, v[4:5]
	v_add_co_u32 v4, vcc_lo, s0, v4
	s_waitcnt lgkmcnt(0)
	s_sub_i32 s15, s8, s12
	s_sub_i32 s13, s9, s12
	v_add_nc_u32_e32 v0, s15, v3
	s_sub_i32 s16, s13, s15
	s_mul_i32 s7, s15, s14
	s_mul_i32 s6, s16, s2
	v_add_co_ci_u32_e64 v5, null, s1, v5, vcc_lo
	v_mul_lo_u32 v6, s6, v2
	s_add_i32 s6, s6, s3
	v_cmp_gt_i32_e32 vcc_lo, s13, v0
	v_add3_u32 v6, s6, s7, v6
	global_store_dword v[4:5], v6, off offset:4
	s_and_b32 exec_lo, exec_lo, vcc_lo
	s_cbranch_execz .LBB60_6
; %bb.4:
	s_clause 0x2
	s_load_dwordx2 s[6:7], s[4:5], 0x20
	s_load_dwordx2 s[8:9], s[4:5], 0x30
	s_load_dword s0, s[4:5], 0x0
	v_mad_u64_u32 v[4:5], null, s2, v1, v[2:3]
	v_mad_u64_u32 v[5:6], null, s2, v2, v[1:2]
	v_mul_lo_u32 v6, s16, v2
	s_clause 0x1
	s_load_dwordx2 s[10:11], s[4:5], 0x10
	s_load_dwordx2 s[4:5], s[4:5], 0x40
	s_mov_b32 s1, 0
	s_waitcnt lgkmcnt(0)
	s_cmp_eq_u32 s0, 0
	s_mul_i32 s0, s2, s15
	s_cselect_b32 vcc_lo, -1, 0
	v_cndmask_b32_e32 v2, v4, v5, vcc_lo
	v_add3_u32 v4, v3, s0, v6
	v_add_nc_u32_e32 v6, s3, v1
	s_lshl_b32 s3, s14, 2
	v_mad_u64_u32 v[2:3], null, s14, v0, v[2:3]
	s_lshl_b32 s14, s2, 2
	v_mad_u64_u32 v[4:5], null, s2, v4, v[1:2]
	s_inst_prefetch 0x1
	.p2align	6
.LBB60_5:                               ; =>This Inner Loop Header: Depth=1
	v_ashrrev_i32_e32 v1, 31, v0
	v_ashrrev_i32_e32 v3, 31, v2
	;; [unrolled: 1-line block ×3, first 2 shown]
	v_lshlrev_b64 v[7:8], 2, v[0:1]
	v_add_nc_u32_e32 v0, 4, v0
	v_lshlrev_b64 v[9:10], 2, v[4:5]
	v_lshlrev_b64 v[11:12], 3, v[4:5]
	v_add_nc_u32_e32 v4, s14, v4
	v_add_co_u32 v7, vcc_lo, s6, v7
	v_add_co_ci_u32_e64 v8, null, s7, v8, vcc_lo
	v_add_co_u32 v9, s0, s4, v9
	v_add_co_ci_u32_e64 v10, null, s5, v10, s0
	global_load_dword v1, v[7:8], off
	v_lshlrev_b64 v[7:8], 3, v[2:3]
	v_add_co_u32 v11, s0, s8, v11
	v_add_nc_u32_e32 v2, s3, v2
	v_add_co_ci_u32_e64 v12, null, s9, v12, s0
	v_add_co_u32 v7, vcc_lo, s10, v7
	v_add_co_ci_u32_e64 v8, null, s11, v8, vcc_lo
	v_cmp_le_i32_e32 vcc_lo, s13, v0
	global_load_dwordx2 v[7:8], v[7:8], off
	s_or_b32 s1, vcc_lo, s1
	s_waitcnt vmcnt(1)
	v_subrev_nc_u32_e32 v1, s12, v1
	s_waitcnt vmcnt(0)
	v_mad_u64_u32 v[13:14], null, v1, s2, v[6:7]
	global_store_dword v[9:10], v13, off
	global_store_dwordx2 v[11:12], v[7:8], off
	s_andn2_b32 exec_lo, exec_lo, s1
	s_cbranch_execnz .LBB60_5
.LBB60_6:
	s_inst_prefetch 0x2
	s_endpgm
	.section	.rodata,"a",@progbits
	.p2align	6, 0x0
	.amdhsa_kernel _ZN9rocsparseL33bsr2csr_block_per_row_8_32_kernelILj1024ELj16EliiEEv20rocsparse_direction_T3_S2_21rocsparse_index_base_PKT1_PKT2_PKS2_S2_S3_PS4_PS7_PS2_
		.amdhsa_group_segment_fixed_size 0
		.amdhsa_private_segment_fixed_size 0
		.amdhsa_kernarg_size 72
		.amdhsa_user_sgpr_count 6
		.amdhsa_user_sgpr_private_segment_buffer 1
		.amdhsa_user_sgpr_dispatch_ptr 0
		.amdhsa_user_sgpr_queue_ptr 0
		.amdhsa_user_sgpr_kernarg_segment_ptr 1
		.amdhsa_user_sgpr_dispatch_id 0
		.amdhsa_user_sgpr_flat_scratch_init 0
		.amdhsa_user_sgpr_private_segment_size 0
		.amdhsa_wavefront_size32 1
		.amdhsa_uses_dynamic_stack 0
		.amdhsa_system_sgpr_private_segment_wavefront_offset 0
		.amdhsa_system_sgpr_workgroup_id_x 1
		.amdhsa_system_sgpr_workgroup_id_y 0
		.amdhsa_system_sgpr_workgroup_id_z 0
		.amdhsa_system_sgpr_workgroup_info 0
		.amdhsa_system_vgpr_workitem_id 0
		.amdhsa_next_free_vgpr 15
		.amdhsa_next_free_sgpr 17
		.amdhsa_reserve_vcc 1
		.amdhsa_reserve_flat_scratch 0
		.amdhsa_float_round_mode_32 0
		.amdhsa_float_round_mode_16_64 0
		.amdhsa_float_denorm_mode_32 3
		.amdhsa_float_denorm_mode_16_64 3
		.amdhsa_dx10_clamp 1
		.amdhsa_ieee_mode 1
		.amdhsa_fp16_overflow 0
		.amdhsa_workgroup_processor_mode 1
		.amdhsa_memory_ordered 1
		.amdhsa_forward_progress 1
		.amdhsa_shared_vgpr_count 0
		.amdhsa_exception_fp_ieee_invalid_op 0
		.amdhsa_exception_fp_denorm_src 0
		.amdhsa_exception_fp_ieee_div_zero 0
		.amdhsa_exception_fp_ieee_overflow 0
		.amdhsa_exception_fp_ieee_underflow 0
		.amdhsa_exception_fp_ieee_inexact 0
		.amdhsa_exception_int_div_zero 0
	.end_amdhsa_kernel
	.section	.text._ZN9rocsparseL33bsr2csr_block_per_row_8_32_kernelILj1024ELj16EliiEEv20rocsparse_direction_T3_S2_21rocsparse_index_base_PKT1_PKT2_PKS2_S2_S3_PS4_PS7_PS2_,"axG",@progbits,_ZN9rocsparseL33bsr2csr_block_per_row_8_32_kernelILj1024ELj16EliiEEv20rocsparse_direction_T3_S2_21rocsparse_index_base_PKT1_PKT2_PKS2_S2_S3_PS4_PS7_PS2_,comdat
.Lfunc_end60:
	.size	_ZN9rocsparseL33bsr2csr_block_per_row_8_32_kernelILj1024ELj16EliiEEv20rocsparse_direction_T3_S2_21rocsparse_index_base_PKT1_PKT2_PKS2_S2_S3_PS4_PS7_PS2_, .Lfunc_end60-_ZN9rocsparseL33bsr2csr_block_per_row_8_32_kernelILj1024ELj16EliiEEv20rocsparse_direction_T3_S2_21rocsparse_index_base_PKT1_PKT2_PKS2_S2_S3_PS4_PS7_PS2_
                                        ; -- End function
	.set _ZN9rocsparseL33bsr2csr_block_per_row_8_32_kernelILj1024ELj16EliiEEv20rocsparse_direction_T3_S2_21rocsparse_index_base_PKT1_PKT2_PKS2_S2_S3_PS4_PS7_PS2_.num_vgpr, 15
	.set _ZN9rocsparseL33bsr2csr_block_per_row_8_32_kernelILj1024ELj16EliiEEv20rocsparse_direction_T3_S2_21rocsparse_index_base_PKT1_PKT2_PKS2_S2_S3_PS4_PS7_PS2_.num_agpr, 0
	.set _ZN9rocsparseL33bsr2csr_block_per_row_8_32_kernelILj1024ELj16EliiEEv20rocsparse_direction_T3_S2_21rocsparse_index_base_PKT1_PKT2_PKS2_S2_S3_PS4_PS7_PS2_.numbered_sgpr, 17
	.set _ZN9rocsparseL33bsr2csr_block_per_row_8_32_kernelILj1024ELj16EliiEEv20rocsparse_direction_T3_S2_21rocsparse_index_base_PKT1_PKT2_PKS2_S2_S3_PS4_PS7_PS2_.num_named_barrier, 0
	.set _ZN9rocsparseL33bsr2csr_block_per_row_8_32_kernelILj1024ELj16EliiEEv20rocsparse_direction_T3_S2_21rocsparse_index_base_PKT1_PKT2_PKS2_S2_S3_PS4_PS7_PS2_.private_seg_size, 0
	.set _ZN9rocsparseL33bsr2csr_block_per_row_8_32_kernelILj1024ELj16EliiEEv20rocsparse_direction_T3_S2_21rocsparse_index_base_PKT1_PKT2_PKS2_S2_S3_PS4_PS7_PS2_.uses_vcc, 1
	.set _ZN9rocsparseL33bsr2csr_block_per_row_8_32_kernelILj1024ELj16EliiEEv20rocsparse_direction_T3_S2_21rocsparse_index_base_PKT1_PKT2_PKS2_S2_S3_PS4_PS7_PS2_.uses_flat_scratch, 0
	.set _ZN9rocsparseL33bsr2csr_block_per_row_8_32_kernelILj1024ELj16EliiEEv20rocsparse_direction_T3_S2_21rocsparse_index_base_PKT1_PKT2_PKS2_S2_S3_PS4_PS7_PS2_.has_dyn_sized_stack, 0
	.set _ZN9rocsparseL33bsr2csr_block_per_row_8_32_kernelILj1024ELj16EliiEEv20rocsparse_direction_T3_S2_21rocsparse_index_base_PKT1_PKT2_PKS2_S2_S3_PS4_PS7_PS2_.has_recursion, 0
	.set _ZN9rocsparseL33bsr2csr_block_per_row_8_32_kernelILj1024ELj16EliiEEv20rocsparse_direction_T3_S2_21rocsparse_index_base_PKT1_PKT2_PKS2_S2_S3_PS4_PS7_PS2_.has_indirect_call, 0
	.section	.AMDGPU.csdata,"",@progbits
; Kernel info:
; codeLenInByte = 580
; TotalNumSgprs: 19
; NumVgprs: 15
; ScratchSize: 0
; MemoryBound: 0
; FloatMode: 240
; IeeeMode: 1
; LDSByteSize: 0 bytes/workgroup (compile time only)
; SGPRBlocks: 0
; VGPRBlocks: 1
; NumSGPRsForWavesPerEU: 19
; NumVGPRsForWavesPerEU: 15
; Occupancy: 16
; WaveLimiterHint : 0
; COMPUTE_PGM_RSRC2:SCRATCH_EN: 0
; COMPUTE_PGM_RSRC2:USER_SGPR: 6
; COMPUTE_PGM_RSRC2:TRAP_HANDLER: 0
; COMPUTE_PGM_RSRC2:TGID_X_EN: 1
; COMPUTE_PGM_RSRC2:TGID_Y_EN: 0
; COMPUTE_PGM_RSRC2:TGID_Z_EN: 0
; COMPUTE_PGM_RSRC2:TIDIG_COMP_CNT: 0
	.section	.text._ZN9rocsparseL33bsr2csr_block_per_row_8_32_kernelILj1024ELj32EliiEEv20rocsparse_direction_T3_S2_21rocsparse_index_base_PKT1_PKT2_PKS2_S2_S3_PS4_PS7_PS2_,"axG",@progbits,_ZN9rocsparseL33bsr2csr_block_per_row_8_32_kernelILj1024ELj32EliiEEv20rocsparse_direction_T3_S2_21rocsparse_index_base_PKT1_PKT2_PKS2_S2_S3_PS4_PS7_PS2_,comdat
	.globl	_ZN9rocsparseL33bsr2csr_block_per_row_8_32_kernelILj1024ELj32EliiEEv20rocsparse_direction_T3_S2_21rocsparse_index_base_PKT1_PKT2_PKS2_S2_S3_PS4_PS7_PS2_ ; -- Begin function _ZN9rocsparseL33bsr2csr_block_per_row_8_32_kernelILj1024ELj32EliiEEv20rocsparse_direction_T3_S2_21rocsparse_index_base_PKT1_PKT2_PKS2_S2_S3_PS4_PS7_PS2_
	.p2align	8
	.type	_ZN9rocsparseL33bsr2csr_block_per_row_8_32_kernelILj1024ELj32EliiEEv20rocsparse_direction_T3_S2_21rocsparse_index_base_PKT1_PKT2_PKS2_S2_S3_PS4_PS7_PS2_,@function
_ZN9rocsparseL33bsr2csr_block_per_row_8_32_kernelILj1024ELj32EliiEEv20rocsparse_direction_T3_S2_21rocsparse_index_base_PKT1_PKT2_PKS2_S2_S3_PS4_PS7_PS2_: ; @_ZN9rocsparseL33bsr2csr_block_per_row_8_32_kernelILj1024ELj32EliiEEv20rocsparse_direction_T3_S2_21rocsparse_index_base_PKT1_PKT2_PKS2_S2_S3_PS4_PS7_PS2_
; %bb.0:
	s_clause 0x2
	s_load_dwordx2 s[2:3], s[4:5], 0x18
	s_load_dwordx2 s[0:1], s[4:5], 0x28
	;; [unrolled: 1-line block ×3, first 2 shown]
	s_ashr_i32 s7, s6, 31
	v_or_b32_e32 v1, s6, v0
	s_lshl_b64 s[10:11], s[6:7], 2
	s_mov_b32 s7, exec_lo
	s_waitcnt lgkmcnt(0)
	s_add_u32 s2, s2, s10
	s_addc_u32 s3, s3, s11
	v_cmpx_eq_u32_e32 0, v1
	s_cbranch_execz .LBB61_2
; %bb.1:
	v_mov_b32_e32 v1, 0
	v_mov_b32_e32 v2, s1
	global_store_dword v1, v2, s[8:9]
.LBB61_2:
	s_or_b32 exec_lo, exec_lo, s7
	v_and_b32_e32 v1, 31, v0
	v_lshrrev_b32_e32 v0, 5, v0
	s_mov_b32 s7, exec_lo
	v_max_i32_e32 v2, v0, v1
	v_cmpx_gt_i32_e64 s0, v2
	s_cbranch_execz .LBB61_6
; %bb.3:
	s_load_dwordx2 s[16:17], s[2:3], 0x0
	s_load_dword s12, s[4:5], 0xc
	v_mad_u64_u32 v[2:3], null, s0, s6, v[0:1]
	s_mul_i32 s14, s0, s0
	v_ashrrev_i32_e32 v3, 31, v2
	v_lshlrev_b64 v[2:3], 2, v[2:3]
	v_add_co_u32 v2, vcc_lo, s8, v2
	s_waitcnt lgkmcnt(0)
	s_sub_i32 s2, s16, s12
	s_sub_i32 s13, s17, s12
	s_mul_i32 s10, s2, s14
	s_sub_i32 s3, s13, s2
	v_add_co_ci_u32_e64 v3, null, s9, v3, vcc_lo
	s_mul_i32 s6, s3, s0
	v_mul_lo_u32 v4, s6, v0
	s_add_i32 s6, s6, s1
	s_cmp_ge_i32 s16, s17
	v_add3_u32 v4, s6, s10, v4
	global_store_dword v[2:3], v4, off offset:4
	s_cbranch_scc1 .LBB61_6
; %bb.4:
	s_clause 0x3
	s_load_dwordx2 s[16:17], s[4:5], 0x20
	s_load_dwordx2 s[6:7], s[4:5], 0x30
	s_load_dword s11, s[4:5], 0x0
	s_load_dwordx2 s[8:9], s[4:5], 0x10
	v_mul_lo_u32 v2, v0, s3
	v_mad_u64_u32 v[3:4], null, s0, v1, v[0:1]
	s_load_dwordx2 s[4:5], s[4:5], 0x40
	v_mad_u64_u32 v[4:5], null, s0, v0, v[1:2]
	v_mad_u64_u32 v[5:6], null, s0, s2, v[2:3]
	v_add_nc_u32_e32 v0, s1, v1
	v_mad_u64_u32 v[1:2], null, s0, v5, v[1:2]
	s_waitcnt lgkmcnt(0)
	s_cmp_eq_u32 s11, 0
	s_cselect_b32 vcc_lo, -1, 0
	s_ashr_i32 s3, s2, 31
	v_cndmask_b32_e32 v3, v3, v4, vcc_lo
	v_add_nc_u32_e32 v3, s10, v3
	s_lshl_b64 s[10:11], s[2:3], 2
	s_add_u32 s10, s16, s10
	s_addc_u32 s11, s17, s11
	s_inst_prefetch 0x1
	.p2align	6
.LBB61_5:                               ; =>This Inner Loop Header: Depth=1
	v_ashrrev_i32_e32 v4, 31, v3
	s_load_dword s1, s[10:11], 0x0
	v_ashrrev_i32_e32 v2, 31, v1
	s_add_i32 s2, s2, 1
	v_lshlrev_b64 v[4:5], 3, v[3:4]
	v_add_nc_u32_e32 v3, s14, v3
	v_lshlrev_b64 v[6:7], 2, v[1:2]
	v_lshlrev_b64 v[8:9], 3, v[1:2]
	v_add_nc_u32_e32 v1, s0, v1
	v_add_co_u32 v4, vcc_lo, s8, v4
	v_add_co_ci_u32_e64 v5, null, s9, v5, vcc_lo
	v_add_co_u32 v6, vcc_lo, s4, v6
	v_add_co_ci_u32_e64 v7, null, s5, v7, vcc_lo
	global_load_dwordx2 v[4:5], v[4:5], off
	v_add_co_u32 v8, vcc_lo, s6, v8
	s_waitcnt lgkmcnt(0)
	s_sub_i32 s1, s1, s12
	v_add_co_ci_u32_e64 v9, null, s7, v9, vcc_lo
	v_mad_u64_u32 v[10:11], null, s1, s0, v[0:1]
	s_add_u32 s10, s10, 4
	s_addc_u32 s11, s11, 0
	s_cmp_lt_i32 s2, s13
	global_store_dword v[6:7], v10, off
	s_waitcnt vmcnt(0)
	global_store_dwordx2 v[8:9], v[4:5], off
	s_cbranch_scc1 .LBB61_5
.LBB61_6:
	s_inst_prefetch 0x2
	s_endpgm
	.section	.rodata,"a",@progbits
	.p2align	6, 0x0
	.amdhsa_kernel _ZN9rocsparseL33bsr2csr_block_per_row_8_32_kernelILj1024ELj32EliiEEv20rocsparse_direction_T3_S2_21rocsparse_index_base_PKT1_PKT2_PKS2_S2_S3_PS4_PS7_PS2_
		.amdhsa_group_segment_fixed_size 0
		.amdhsa_private_segment_fixed_size 0
		.amdhsa_kernarg_size 72
		.amdhsa_user_sgpr_count 6
		.amdhsa_user_sgpr_private_segment_buffer 1
		.amdhsa_user_sgpr_dispatch_ptr 0
		.amdhsa_user_sgpr_queue_ptr 0
		.amdhsa_user_sgpr_kernarg_segment_ptr 1
		.amdhsa_user_sgpr_dispatch_id 0
		.amdhsa_user_sgpr_flat_scratch_init 0
		.amdhsa_user_sgpr_private_segment_size 0
		.amdhsa_wavefront_size32 1
		.amdhsa_uses_dynamic_stack 0
		.amdhsa_system_sgpr_private_segment_wavefront_offset 0
		.amdhsa_system_sgpr_workgroup_id_x 1
		.amdhsa_system_sgpr_workgroup_id_y 0
		.amdhsa_system_sgpr_workgroup_id_z 0
		.amdhsa_system_sgpr_workgroup_info 0
		.amdhsa_system_vgpr_workitem_id 0
		.amdhsa_next_free_vgpr 12
		.amdhsa_next_free_sgpr 18
		.amdhsa_reserve_vcc 1
		.amdhsa_reserve_flat_scratch 0
		.amdhsa_float_round_mode_32 0
		.amdhsa_float_round_mode_16_64 0
		.amdhsa_float_denorm_mode_32 3
		.amdhsa_float_denorm_mode_16_64 3
		.amdhsa_dx10_clamp 1
		.amdhsa_ieee_mode 1
		.amdhsa_fp16_overflow 0
		.amdhsa_workgroup_processor_mode 1
		.amdhsa_memory_ordered 1
		.amdhsa_forward_progress 1
		.amdhsa_shared_vgpr_count 0
		.amdhsa_exception_fp_ieee_invalid_op 0
		.amdhsa_exception_fp_denorm_src 0
		.amdhsa_exception_fp_ieee_div_zero 0
		.amdhsa_exception_fp_ieee_overflow 0
		.amdhsa_exception_fp_ieee_underflow 0
		.amdhsa_exception_fp_ieee_inexact 0
		.amdhsa_exception_int_div_zero 0
	.end_amdhsa_kernel
	.section	.text._ZN9rocsparseL33bsr2csr_block_per_row_8_32_kernelILj1024ELj32EliiEEv20rocsparse_direction_T3_S2_21rocsparse_index_base_PKT1_PKT2_PKS2_S2_S3_PS4_PS7_PS2_,"axG",@progbits,_ZN9rocsparseL33bsr2csr_block_per_row_8_32_kernelILj1024ELj32EliiEEv20rocsparse_direction_T3_S2_21rocsparse_index_base_PKT1_PKT2_PKS2_S2_S3_PS4_PS7_PS2_,comdat
.Lfunc_end61:
	.size	_ZN9rocsparseL33bsr2csr_block_per_row_8_32_kernelILj1024ELj32EliiEEv20rocsparse_direction_T3_S2_21rocsparse_index_base_PKT1_PKT2_PKS2_S2_S3_PS4_PS7_PS2_, .Lfunc_end61-_ZN9rocsparseL33bsr2csr_block_per_row_8_32_kernelILj1024ELj32EliiEEv20rocsparse_direction_T3_S2_21rocsparse_index_base_PKT1_PKT2_PKS2_S2_S3_PS4_PS7_PS2_
                                        ; -- End function
	.set _ZN9rocsparseL33bsr2csr_block_per_row_8_32_kernelILj1024ELj32EliiEEv20rocsparse_direction_T3_S2_21rocsparse_index_base_PKT1_PKT2_PKS2_S2_S3_PS4_PS7_PS2_.num_vgpr, 12
	.set _ZN9rocsparseL33bsr2csr_block_per_row_8_32_kernelILj1024ELj32EliiEEv20rocsparse_direction_T3_S2_21rocsparse_index_base_PKT1_PKT2_PKS2_S2_S3_PS4_PS7_PS2_.num_agpr, 0
	.set _ZN9rocsparseL33bsr2csr_block_per_row_8_32_kernelILj1024ELj32EliiEEv20rocsparse_direction_T3_S2_21rocsparse_index_base_PKT1_PKT2_PKS2_S2_S3_PS4_PS7_PS2_.numbered_sgpr, 18
	.set _ZN9rocsparseL33bsr2csr_block_per_row_8_32_kernelILj1024ELj32EliiEEv20rocsparse_direction_T3_S2_21rocsparse_index_base_PKT1_PKT2_PKS2_S2_S3_PS4_PS7_PS2_.num_named_barrier, 0
	.set _ZN9rocsparseL33bsr2csr_block_per_row_8_32_kernelILj1024ELj32EliiEEv20rocsparse_direction_T3_S2_21rocsparse_index_base_PKT1_PKT2_PKS2_S2_S3_PS4_PS7_PS2_.private_seg_size, 0
	.set _ZN9rocsparseL33bsr2csr_block_per_row_8_32_kernelILj1024ELj32EliiEEv20rocsparse_direction_T3_S2_21rocsparse_index_base_PKT1_PKT2_PKS2_S2_S3_PS4_PS7_PS2_.uses_vcc, 1
	.set _ZN9rocsparseL33bsr2csr_block_per_row_8_32_kernelILj1024ELj32EliiEEv20rocsparse_direction_T3_S2_21rocsparse_index_base_PKT1_PKT2_PKS2_S2_S3_PS4_PS7_PS2_.uses_flat_scratch, 0
	.set _ZN9rocsparseL33bsr2csr_block_per_row_8_32_kernelILj1024ELj32EliiEEv20rocsparse_direction_T3_S2_21rocsparse_index_base_PKT1_PKT2_PKS2_S2_S3_PS4_PS7_PS2_.has_dyn_sized_stack, 0
	.set _ZN9rocsparseL33bsr2csr_block_per_row_8_32_kernelILj1024ELj32EliiEEv20rocsparse_direction_T3_S2_21rocsparse_index_base_PKT1_PKT2_PKS2_S2_S3_PS4_PS7_PS2_.has_recursion, 0
	.set _ZN9rocsparseL33bsr2csr_block_per_row_8_32_kernelILj1024ELj32EliiEEv20rocsparse_direction_T3_S2_21rocsparse_index_base_PKT1_PKT2_PKS2_S2_S3_PS4_PS7_PS2_.has_indirect_call, 0
	.section	.AMDGPU.csdata,"",@progbits
; Kernel info:
; codeLenInByte = 552
; TotalNumSgprs: 20
; NumVgprs: 12
; ScratchSize: 0
; MemoryBound: 0
; FloatMode: 240
; IeeeMode: 1
; LDSByteSize: 0 bytes/workgroup (compile time only)
; SGPRBlocks: 0
; VGPRBlocks: 1
; NumSGPRsForWavesPerEU: 20
; NumVGPRsForWavesPerEU: 12
; Occupancy: 16
; WaveLimiterHint : 0
; COMPUTE_PGM_RSRC2:SCRATCH_EN: 0
; COMPUTE_PGM_RSRC2:USER_SGPR: 6
; COMPUTE_PGM_RSRC2:TRAP_HANDLER: 0
; COMPUTE_PGM_RSRC2:TGID_X_EN: 1
; COMPUTE_PGM_RSRC2:TGID_Y_EN: 0
; COMPUTE_PGM_RSRC2:TGID_Z_EN: 0
; COMPUTE_PGM_RSRC2:TIDIG_COMP_CNT: 0
	.section	.text._ZN9rocsparseL35bsr2csr_block_per_row_33_256_kernelILj1024ELj64ELj32EliiEEv20rocsparse_direction_T4_S2_21rocsparse_index_base_PKT2_PKT3_PKS2_S2_S3_PS4_PS7_PS2_,"axG",@progbits,_ZN9rocsparseL35bsr2csr_block_per_row_33_256_kernelILj1024ELj64ELj32EliiEEv20rocsparse_direction_T4_S2_21rocsparse_index_base_PKT2_PKT3_PKS2_S2_S3_PS4_PS7_PS2_,comdat
	.globl	_ZN9rocsparseL35bsr2csr_block_per_row_33_256_kernelILj1024ELj64ELj32EliiEEv20rocsparse_direction_T4_S2_21rocsparse_index_base_PKT2_PKT3_PKS2_S2_S3_PS4_PS7_PS2_ ; -- Begin function _ZN9rocsparseL35bsr2csr_block_per_row_33_256_kernelILj1024ELj64ELj32EliiEEv20rocsparse_direction_T4_S2_21rocsparse_index_base_PKT2_PKT3_PKS2_S2_S3_PS4_PS7_PS2_
	.p2align	8
	.type	_ZN9rocsparseL35bsr2csr_block_per_row_33_256_kernelILj1024ELj64ELj32EliiEEv20rocsparse_direction_T4_S2_21rocsparse_index_base_PKT2_PKT3_PKS2_S2_S3_PS4_PS7_PS2_,@function
_ZN9rocsparseL35bsr2csr_block_per_row_33_256_kernelILj1024ELj64ELj32EliiEEv20rocsparse_direction_T4_S2_21rocsparse_index_base_PKT2_PKT3_PKS2_S2_S3_PS4_PS7_PS2_: ; @_ZN9rocsparseL35bsr2csr_block_per_row_33_256_kernelILj1024ELj64ELj32EliiEEv20rocsparse_direction_T4_S2_21rocsparse_index_base_PKT2_PKT3_PKS2_S2_S3_PS4_PS7_PS2_
; %bb.0:
	s_load_dwordx2 s[0:1], s[4:5], 0x18
	s_ashr_i32 s7, s6, 31
	s_clause 0x1
	s_load_dwordx2 s[8:9], s[4:5], 0x28
	s_load_dwordx2 s[2:3], s[4:5], 0x38
	s_lshl_b64 s[10:11], s[6:7], 2
	v_or_b32_e32 v1, s6, v0
	s_waitcnt lgkmcnt(0)
	s_add_u32 s0, s0, s10
	s_addc_u32 s1, s1, s11
	s_load_dwordx2 s[14:15], s[0:1], 0x0
	s_mov_b32 s0, exec_lo
	v_cmpx_eq_u32_e32 0, v1
	s_cbranch_execz .LBB62_2
; %bb.1:
	v_mov_b32_e32 v1, 0
	v_mov_b32_e32 v2, s9
	global_store_dword v1, v2, s[2:3]
.LBB62_2:
	s_or_b32 exec_lo, exec_lo, s0
	s_load_dword s17, s[4:5], 0xc
	v_lshrrev_b32_e32 v1, 5, v0
	s_mul_i32 s6, s8, s6
	v_cmp_gt_i32_e64 s0, s8, v1
	s_waitcnt lgkmcnt(0)
	s_sub_i32 s10, s14, s17
	s_sub_i32 s18, s15, s17
	s_mul_i32 s16, s8, s10
	s_sub_i32 s11, s18, s10
	s_mul_i32 s1, s16, s8
	s_mul_i32 s7, s11, s8
	s_add_i32 s1, s1, s9
	s_add_i32 s12, s1, s7
	s_and_saveexec_b32 s1, s0
	s_cbranch_execz .LBB62_4
; %bb.3:
	v_add_nc_u32_e32 v2, s6, v1
	v_mad_u64_u32 v[4:5], null, v1, s7, s[12:13]
	v_ashrrev_i32_e32 v3, 31, v2
	v_lshlrev_b64 v[2:3], 2, v[2:3]
	v_add_co_u32 v2, vcc_lo, s2, v2
	v_add_co_ci_u32_e64 v3, null, s3, v3, vcc_lo
	global_store_dword v[2:3], v4, off offset:4
.LBB62_4:
	s_or_b32 exec_lo, exec_lo, s1
	v_or_b32_e32 v2, 32, v1
	v_cmp_gt_i32_e64 s1, s8, v2
	s_and_saveexec_b32 s13, s1
	s_cbranch_execz .LBB62_6
; %bb.5:
	s_ashr_i32 s19, s6, 31
	v_add_co_u32 v3, s6, v1, s6
	v_add_co_ci_u32_e64 v4, null, 0, s19, s6
	v_mad_u64_u32 v[5:6], null, v2, s7, s[12:13]
	v_lshlrev_b64 v[3:4], 2, v[3:4]
	v_add_co_u32 v2, vcc_lo, s2, v3
	v_add_co_ci_u32_e64 v3, null, s3, v4, vcc_lo
	global_store_dword v[2:3], v5, off offset:132
.LBB62_6:
	s_or_b32 exec_lo, exec_lo, s13
	s_cmp_lt_i32 s14, s15
	s_cbranch_scc0 .LBB62_17
; %bb.7:
	s_clause 0x3
	s_load_dwordx2 s[20:21], s[4:5], 0x20
	s_load_dwordx2 s[6:7], s[4:5], 0x30
	s_load_dword s22, s[4:5], 0x0
	s_load_dwordx2 s[12:13], s[4:5], 0x10
	v_mad_u64_u32 v[8:9], null, v1, s11, s[16:17]
	v_and_b32_e32 v0, 31, v0
	s_load_dwordx2 s[4:5], s[4:5], 0x40
	v_add_nc_u32_e32 v3, s16, v1
	s_mul_i32 s19, s8, s8
	v_add_nc_u32_e32 v5, s16, v0
	v_lshl_add_u32 v6, s15, 5, v8
	v_or_b32_e32 v2, 32, v0
	v_add_nc_u32_e32 v4, 32, v3
	v_cmp_gt_i32_e64 s2, s8, v0
	v_add_nc_u32_e32 v7, 32, v5
	v_mul_lo_u32 v3, s8, v3
	v_cmp_gt_i32_e64 s3, s8, v2
	v_mul_lo_u32 v4, s8, v4
	v_mul_lo_u32 v5, s8, v5
	;; [unrolled: 1-line block ×3, first 2 shown]
	s_waitcnt lgkmcnt(0)
	s_cmp_eq_u32 s22, 0
	s_cselect_b32 vcc_lo, -1, 0
	s_lshl_b32 s11, s14, 5
	s_and_b32 s14, s0, s2
	v_subrev_nc_u32_e32 v9, s11, v6
	v_mul_lo_u32 v6, s8, v7
	s_ashr_i32 s11, s10, 31
	s_and_b32 s15, s0, s3
	s_lshl_b64 s[22:23], s[10:11], 2
	v_mul_lo_u32 v7, s8, v9
	s_and_b32 s16, s1, s2
	s_and_b32 s1, s1, s3
	s_add_u32 s2, s20, s22
	s_addc_u32 s3, s21, s23
	s_branch .LBB62_9
.LBB62_8:                               ;   in Loop: Header=BB62_9 Depth=1
	s_or_b32 exec_lo, exec_lo, s11
	s_add_i32 s10, s10, 1
	v_add_nc_u32_e32 v4, s19, v4
	v_add_nc_u32_e32 v3, s19, v3
	;; [unrolled: 1-line block ×5, first 2 shown]
	s_add_u32 s2, s2, 4
	s_addc_u32 s3, s3, 0
	s_cmp_ge_i32 s10, s18
	s_cbranch_scc1 .LBB62_17
.LBB62_9:                               ; =>This Inner Loop Header: Depth=1
	s_load_dword s0, s[2:3], 0x0
	s_waitcnt lgkmcnt(0)
	s_sub_i32 s0, s0, s17
	s_mul_i32 s11, s0, s8
	s_add_i32 s11, s11, s9
	v_add_nc_u32_e32 v9, s11, v0
	s_and_saveexec_b32 s20, s14
	s_cbranch_execz .LBB62_11
; %bb.10:                               ;   in Loop: Header=BB62_9 Depth=1
	v_add_nc_u32_e32 v10, v0, v3
	v_add_nc_u32_e32 v11, v5, v1
	;; [unrolled: 1-line block ×3, first 2 shown]
	v_cndmask_b32_e32 v10, v11, v10, vcc_lo
	v_ashrrev_i32_e32 v13, 31, v12
	v_ashrrev_i32_e32 v11, 31, v10
	v_lshlrev_b64 v[14:15], 2, v[12:13]
	v_lshlrev_b64 v[12:13], 3, v[12:13]
	;; [unrolled: 1-line block ×3, first 2 shown]
	v_add_co_u32 v10, s0, s12, v10
	v_add_co_ci_u32_e64 v11, null, s13, v11, s0
	v_add_co_u32 v14, s0, s4, v14
	v_add_co_ci_u32_e64 v15, null, s5, v15, s0
	global_load_dwordx2 v[10:11], v[10:11], off
	v_add_co_u32 v12, s0, s6, v12
	v_add_co_ci_u32_e64 v13, null, s7, v13, s0
	global_store_dword v[14:15], v9, off
	s_waitcnt vmcnt(0)
	global_store_dwordx2 v[12:13], v[10:11], off
.LBB62_11:                              ;   in Loop: Header=BB62_9 Depth=1
	s_or_b32 exec_lo, exec_lo, s20
	v_add_nc_u32_e32 v10, s11, v2
	v_add_nc_u32_e32 v11, v6, v1
	s_and_saveexec_b32 s11, s15
	s_cbranch_execnz .LBB62_14
; %bb.12:                               ;   in Loop: Header=BB62_9 Depth=1
	s_or_b32 exec_lo, exec_lo, s11
	v_add_nc_u32_e32 v12, v0, v4
	s_and_saveexec_b32 s11, s16
	s_cbranch_execnz .LBB62_15
.LBB62_13:                              ;   in Loop: Header=BB62_9 Depth=1
	s_or_b32 exec_lo, exec_lo, s11
	s_and_saveexec_b32 s11, s1
	s_cbranch_execz .LBB62_8
	s_branch .LBB62_16
.LBB62_14:                              ;   in Loop: Header=BB62_9 Depth=1
	v_add3_u32 v12, v0, v3, 32
	v_add3_u32 v14, v0, v8, 32
	v_cndmask_b32_e32 v12, v11, v12, vcc_lo
	v_ashrrev_i32_e32 v15, 31, v14
	v_ashrrev_i32_e32 v13, 31, v12
	v_lshlrev_b64 v[16:17], 2, v[14:15]
	v_lshlrev_b64 v[14:15], 3, v[14:15]
	;; [unrolled: 1-line block ×3, first 2 shown]
	v_add_co_u32 v12, s0, s12, v12
	v_add_co_ci_u32_e64 v13, null, s13, v13, s0
	v_add_co_u32 v16, s0, s4, v16
	v_add_co_ci_u32_e64 v17, null, s5, v17, s0
	global_load_dwordx2 v[12:13], v[12:13], off
	v_add_co_u32 v14, s0, s6, v14
	v_add_co_ci_u32_e64 v15, null, s7, v15, s0
	global_store_dword v[16:17], v10, off
	s_waitcnt vmcnt(0)
	global_store_dwordx2 v[14:15], v[12:13], off
	s_or_b32 exec_lo, exec_lo, s11
	v_add_nc_u32_e32 v12, v0, v4
	s_and_saveexec_b32 s11, s16
	s_cbranch_execz .LBB62_13
.LBB62_15:                              ;   in Loop: Header=BB62_9 Depth=1
	v_add3_u32 v13, v5, v1, 32
	v_add_nc_u32_e32 v15, v0, v7
	v_cndmask_b32_e32 v13, v13, v12, vcc_lo
	v_ashrrev_i32_e32 v16, 31, v15
	v_ashrrev_i32_e32 v14, 31, v13
	v_lshlrev_b64 v[17:18], 2, v[15:16]
	v_lshlrev_b64 v[15:16], 3, v[15:16]
	;; [unrolled: 1-line block ×3, first 2 shown]
	v_add_co_u32 v13, s0, s12, v13
	v_add_co_ci_u32_e64 v14, null, s13, v14, s0
	v_add_co_u32 v17, s0, s4, v17
	v_add_co_ci_u32_e64 v18, null, s5, v18, s0
	global_load_dwordx2 v[13:14], v[13:14], off
	v_add_co_u32 v15, s0, s6, v15
	v_add_co_ci_u32_e64 v16, null, s7, v16, s0
	global_store_dword v[17:18], v9, off
	s_waitcnt vmcnt(0)
	global_store_dwordx2 v[15:16], v[13:14], off
	s_or_b32 exec_lo, exec_lo, s11
	s_and_saveexec_b32 s11, s1
	s_cbranch_execz .LBB62_8
.LBB62_16:                              ;   in Loop: Header=BB62_9 Depth=1
	v_cndmask_b32_e32 v9, v11, v12, vcc_lo
	v_add3_u32 v13, v0, v7, 32
	v_add_nc_u32_e32 v11, 32, v9
	v_ashrrev_i32_e32 v14, 31, v13
	v_ashrrev_i32_e32 v12, 31, v11
	v_lshlrev_b64 v[15:16], 2, v[13:14]
	v_lshlrev_b64 v[13:14], 3, v[13:14]
	;; [unrolled: 1-line block ×3, first 2 shown]
	v_add_co_u32 v11, s0, s12, v11
	v_add_co_ci_u32_e64 v12, null, s13, v12, s0
	v_add_co_u32 v15, s0, s4, v15
	v_add_co_ci_u32_e64 v16, null, s5, v16, s0
	global_load_dwordx2 v[11:12], v[11:12], off
	v_add_co_u32 v13, s0, s6, v13
	v_add_co_ci_u32_e64 v14, null, s7, v14, s0
	global_store_dword v[15:16], v10, off
	s_waitcnt vmcnt(0)
	global_store_dwordx2 v[13:14], v[11:12], off
	s_branch .LBB62_8
.LBB62_17:
	s_endpgm
	.section	.rodata,"a",@progbits
	.p2align	6, 0x0
	.amdhsa_kernel _ZN9rocsparseL35bsr2csr_block_per_row_33_256_kernelILj1024ELj64ELj32EliiEEv20rocsparse_direction_T4_S2_21rocsparse_index_base_PKT2_PKT3_PKS2_S2_S3_PS4_PS7_PS2_
		.amdhsa_group_segment_fixed_size 0
		.amdhsa_private_segment_fixed_size 0
		.amdhsa_kernarg_size 72
		.amdhsa_user_sgpr_count 6
		.amdhsa_user_sgpr_private_segment_buffer 1
		.amdhsa_user_sgpr_dispatch_ptr 0
		.amdhsa_user_sgpr_queue_ptr 0
		.amdhsa_user_sgpr_kernarg_segment_ptr 1
		.amdhsa_user_sgpr_dispatch_id 0
		.amdhsa_user_sgpr_flat_scratch_init 0
		.amdhsa_user_sgpr_private_segment_size 0
		.amdhsa_wavefront_size32 1
		.amdhsa_uses_dynamic_stack 0
		.amdhsa_system_sgpr_private_segment_wavefront_offset 0
		.amdhsa_system_sgpr_workgroup_id_x 1
		.amdhsa_system_sgpr_workgroup_id_y 0
		.amdhsa_system_sgpr_workgroup_id_z 0
		.amdhsa_system_sgpr_workgroup_info 0
		.amdhsa_system_vgpr_workitem_id 0
		.amdhsa_next_free_vgpr 19
		.amdhsa_next_free_sgpr 24
		.amdhsa_reserve_vcc 1
		.amdhsa_reserve_flat_scratch 0
		.amdhsa_float_round_mode_32 0
		.amdhsa_float_round_mode_16_64 0
		.amdhsa_float_denorm_mode_32 3
		.amdhsa_float_denorm_mode_16_64 3
		.amdhsa_dx10_clamp 1
		.amdhsa_ieee_mode 1
		.amdhsa_fp16_overflow 0
		.amdhsa_workgroup_processor_mode 1
		.amdhsa_memory_ordered 1
		.amdhsa_forward_progress 1
		.amdhsa_shared_vgpr_count 0
		.amdhsa_exception_fp_ieee_invalid_op 0
		.amdhsa_exception_fp_denorm_src 0
		.amdhsa_exception_fp_ieee_div_zero 0
		.amdhsa_exception_fp_ieee_overflow 0
		.amdhsa_exception_fp_ieee_underflow 0
		.amdhsa_exception_fp_ieee_inexact 0
		.amdhsa_exception_int_div_zero 0
	.end_amdhsa_kernel
	.section	.text._ZN9rocsparseL35bsr2csr_block_per_row_33_256_kernelILj1024ELj64ELj32EliiEEv20rocsparse_direction_T4_S2_21rocsparse_index_base_PKT2_PKT3_PKS2_S2_S3_PS4_PS7_PS2_,"axG",@progbits,_ZN9rocsparseL35bsr2csr_block_per_row_33_256_kernelILj1024ELj64ELj32EliiEEv20rocsparse_direction_T4_S2_21rocsparse_index_base_PKT2_PKT3_PKS2_S2_S3_PS4_PS7_PS2_,comdat
.Lfunc_end62:
	.size	_ZN9rocsparseL35bsr2csr_block_per_row_33_256_kernelILj1024ELj64ELj32EliiEEv20rocsparse_direction_T4_S2_21rocsparse_index_base_PKT2_PKT3_PKS2_S2_S3_PS4_PS7_PS2_, .Lfunc_end62-_ZN9rocsparseL35bsr2csr_block_per_row_33_256_kernelILj1024ELj64ELj32EliiEEv20rocsparse_direction_T4_S2_21rocsparse_index_base_PKT2_PKT3_PKS2_S2_S3_PS4_PS7_PS2_
                                        ; -- End function
	.set _ZN9rocsparseL35bsr2csr_block_per_row_33_256_kernelILj1024ELj64ELj32EliiEEv20rocsparse_direction_T4_S2_21rocsparse_index_base_PKT2_PKT3_PKS2_S2_S3_PS4_PS7_PS2_.num_vgpr, 19
	.set _ZN9rocsparseL35bsr2csr_block_per_row_33_256_kernelILj1024ELj64ELj32EliiEEv20rocsparse_direction_T4_S2_21rocsparse_index_base_PKT2_PKT3_PKS2_S2_S3_PS4_PS7_PS2_.num_agpr, 0
	.set _ZN9rocsparseL35bsr2csr_block_per_row_33_256_kernelILj1024ELj64ELj32EliiEEv20rocsparse_direction_T4_S2_21rocsparse_index_base_PKT2_PKT3_PKS2_S2_S3_PS4_PS7_PS2_.numbered_sgpr, 24
	.set _ZN9rocsparseL35bsr2csr_block_per_row_33_256_kernelILj1024ELj64ELj32EliiEEv20rocsparse_direction_T4_S2_21rocsparse_index_base_PKT2_PKT3_PKS2_S2_S3_PS4_PS7_PS2_.num_named_barrier, 0
	.set _ZN9rocsparseL35bsr2csr_block_per_row_33_256_kernelILj1024ELj64ELj32EliiEEv20rocsparse_direction_T4_S2_21rocsparse_index_base_PKT2_PKT3_PKS2_S2_S3_PS4_PS7_PS2_.private_seg_size, 0
	.set _ZN9rocsparseL35bsr2csr_block_per_row_33_256_kernelILj1024ELj64ELj32EliiEEv20rocsparse_direction_T4_S2_21rocsparse_index_base_PKT2_PKT3_PKS2_S2_S3_PS4_PS7_PS2_.uses_vcc, 1
	.set _ZN9rocsparseL35bsr2csr_block_per_row_33_256_kernelILj1024ELj64ELj32EliiEEv20rocsparse_direction_T4_S2_21rocsparse_index_base_PKT2_PKT3_PKS2_S2_S3_PS4_PS7_PS2_.uses_flat_scratch, 0
	.set _ZN9rocsparseL35bsr2csr_block_per_row_33_256_kernelILj1024ELj64ELj32EliiEEv20rocsparse_direction_T4_S2_21rocsparse_index_base_PKT2_PKT3_PKS2_S2_S3_PS4_PS7_PS2_.has_dyn_sized_stack, 0
	.set _ZN9rocsparseL35bsr2csr_block_per_row_33_256_kernelILj1024ELj64ELj32EliiEEv20rocsparse_direction_T4_S2_21rocsparse_index_base_PKT2_PKT3_PKS2_S2_S3_PS4_PS7_PS2_.has_recursion, 0
	.set _ZN9rocsparseL35bsr2csr_block_per_row_33_256_kernelILj1024ELj64ELj32EliiEEv20rocsparse_direction_T4_S2_21rocsparse_index_base_PKT2_PKT3_PKS2_S2_S3_PS4_PS7_PS2_.has_indirect_call, 0
	.section	.AMDGPU.csdata,"",@progbits
; Kernel info:
; codeLenInByte = 1180
; TotalNumSgprs: 26
; NumVgprs: 19
; ScratchSize: 0
; MemoryBound: 0
; FloatMode: 240
; IeeeMode: 1
; LDSByteSize: 0 bytes/workgroup (compile time only)
; SGPRBlocks: 0
; VGPRBlocks: 2
; NumSGPRsForWavesPerEU: 26
; NumVGPRsForWavesPerEU: 19
; Occupancy: 16
; WaveLimiterHint : 1
; COMPUTE_PGM_RSRC2:SCRATCH_EN: 0
; COMPUTE_PGM_RSRC2:USER_SGPR: 6
; COMPUTE_PGM_RSRC2:TRAP_HANDLER: 0
; COMPUTE_PGM_RSRC2:TGID_X_EN: 1
; COMPUTE_PGM_RSRC2:TGID_Y_EN: 0
; COMPUTE_PGM_RSRC2:TGID_Z_EN: 0
; COMPUTE_PGM_RSRC2:TIDIG_COMP_CNT: 0
	.section	.text._ZN9rocsparseL35bsr2csr_block_per_row_33_256_kernelILj1024ELj128ELj32EliiEEv20rocsparse_direction_T4_S2_21rocsparse_index_base_PKT2_PKT3_PKS2_S2_S3_PS4_PS7_PS2_,"axG",@progbits,_ZN9rocsparseL35bsr2csr_block_per_row_33_256_kernelILj1024ELj128ELj32EliiEEv20rocsparse_direction_T4_S2_21rocsparse_index_base_PKT2_PKT3_PKS2_S2_S3_PS4_PS7_PS2_,comdat
	.globl	_ZN9rocsparseL35bsr2csr_block_per_row_33_256_kernelILj1024ELj128ELj32EliiEEv20rocsparse_direction_T4_S2_21rocsparse_index_base_PKT2_PKT3_PKS2_S2_S3_PS4_PS7_PS2_ ; -- Begin function _ZN9rocsparseL35bsr2csr_block_per_row_33_256_kernelILj1024ELj128ELj32EliiEEv20rocsparse_direction_T4_S2_21rocsparse_index_base_PKT2_PKT3_PKS2_S2_S3_PS4_PS7_PS2_
	.p2align	8
	.type	_ZN9rocsparseL35bsr2csr_block_per_row_33_256_kernelILj1024ELj128ELj32EliiEEv20rocsparse_direction_T4_S2_21rocsparse_index_base_PKT2_PKT3_PKS2_S2_S3_PS4_PS7_PS2_,@function
_ZN9rocsparseL35bsr2csr_block_per_row_33_256_kernelILj1024ELj128ELj32EliiEEv20rocsparse_direction_T4_S2_21rocsparse_index_base_PKT2_PKT3_PKS2_S2_S3_PS4_PS7_PS2_: ; @_ZN9rocsparseL35bsr2csr_block_per_row_33_256_kernelILj1024ELj128ELj32EliiEEv20rocsparse_direction_T4_S2_21rocsparse_index_base_PKT2_PKT3_PKS2_S2_S3_PS4_PS7_PS2_
; %bb.0:
	s_load_dwordx2 s[0:1], s[4:5], 0x18
	s_ashr_i32 s7, s6, 31
	s_clause 0x1
	s_load_dwordx2 s[8:9], s[4:5], 0x28
	s_load_dwordx2 s[12:13], s[4:5], 0x38
	s_lshl_b64 s[2:3], s[6:7], 2
	v_or_b32_e32 v1, s6, v0
	s_waitcnt lgkmcnt(0)
	s_add_u32 s0, s0, s2
	s_addc_u32 s1, s1, s3
	s_load_dwordx2 s[18:19], s[0:1], 0x0
	s_mov_b32 s0, exec_lo
	v_cmpx_eq_u32_e32 0, v1
	s_cbranch_execz .LBB63_2
; %bb.1:
	v_mov_b32_e32 v1, 0
	v_mov_b32_e32 v2, s9
	global_store_dword v1, v2, s[12:13]
.LBB63_2:
	s_or_b32 exec_lo, exec_lo, s0
	s_load_dword s21, s[4:5], 0xc
	v_lshrrev_b32_e32 v4, 5, v0
	s_mul_i32 s6, s8, s6
	v_cmp_gt_i32_e64 s0, s8, v4
	s_waitcnt lgkmcnt(0)
	s_sub_i32 s10, s18, s21
	s_sub_i32 s24, s19, s21
	s_mul_i32 s20, s8, s10
	s_sub_i32 s11, s24, s10
	s_mul_i32 s1, s20, s8
	s_mul_i32 s7, s11, s8
	s_add_i32 s1, s1, s9
	s_add_i32 s14, s1, s7
	s_and_saveexec_b32 s1, s0
	s_cbranch_execz .LBB63_4
; %bb.3:
	v_add_nc_u32_e32 v1, s6, v4
	v_mad_u64_u32 v[5:6], null, v4, s7, s[14:15]
	v_ashrrev_i32_e32 v2, 31, v1
	v_lshlrev_b64 v[1:2], 2, v[1:2]
	v_add_co_u32 v1, vcc_lo, s12, v1
	v_add_co_ci_u32_e64 v2, null, s13, v2, vcc_lo
	global_store_dword v[1:2], v5, off offset:4
.LBB63_4:
	s_or_b32 exec_lo, exec_lo, s1
	v_or_b32_e32 v1, 32, v4
	v_cmp_gt_i32_e64 s2, s8, v1
	s_and_saveexec_b32 s1, s2
	s_cbranch_execz .LBB63_6
; %bb.5:
	s_ashr_i32 s3, s6, 31
	v_add_co_u32 v2, s15, v4, s6
	v_add_co_ci_u32_e64 v3, null, 0, s3, s15
	v_mad_u64_u32 v[5:6], null, v1, s7, s[14:15]
	v_lshlrev_b64 v[2:3], 2, v[2:3]
	v_add_co_u32 v1, vcc_lo, s12, v2
	v_add_co_ci_u32_e64 v2, null, s13, v3, vcc_lo
	global_store_dword v[1:2], v5, off offset:132
.LBB63_6:
	s_or_b32 exec_lo, exec_lo, s1
	v_or_b32_e32 v1, 64, v4
	v_cmp_gt_i32_e64 s3, s8, v1
	s_and_saveexec_b32 s1, s3
	s_cbranch_execz .LBB63_8
; %bb.7:
	s_ashr_i32 s15, s6, 31
	v_add_co_u32 v2, s16, v4, s6
	v_add_co_ci_u32_e64 v3, null, 0, s15, s16
	v_mad_u64_u32 v[5:6], null, v1, s7, s[14:15]
	v_lshlrev_b64 v[2:3], 2, v[2:3]
	v_add_co_u32 v1, vcc_lo, s12, v2
	v_add_co_ci_u32_e64 v2, null, s13, v3, vcc_lo
	global_store_dword v[1:2], v5, off offset:260
.LBB63_8:
	;; [unrolled: 15-line block ×3, first 2 shown]
	s_or_b32 exec_lo, exec_lo, s15
	s_cmp_lt_i32 s18, s19
	s_cbranch_scc0 .LBB63_45
; %bb.11:
	s_clause 0x2
	s_load_dwordx2 s[22:23], s[4:5], 0x20
	s_load_dwordx2 s[12:13], s[4:5], 0x30
	s_load_dword s7, s[4:5], 0x0
	v_mad_u64_u32 v[15:16], null, v4, s11, s[20:21]
	v_and_b32_e32 v5, 31, v0
	v_add_nc_u32_e32 v0, s20, v4
	s_clause 0x1
	s_load_dwordx2 s[14:15], s[4:5], 0x10
	s_load_dwordx2 s[16:17], s[4:5], 0x40
	s_mul_i32 s25, s8, s8
	s_mov_b32 s26, 0
	v_or_b32_e32 v6, 32, v5
	v_or_b32_e32 v7, 64, v5
	;; [unrolled: 1-line block ×3, first 2 shown]
	v_add_nc_u32_e32 v1, 32, v0
	v_add_nc_u32_e32 v17, s20, v5
	;; [unrolled: 1-line block ×3, first 2 shown]
	v_lshl_add_u32 v16, s19, 5, v15
	v_cmp_gt_i32_e64 s4, s8, v5
	v_cmp_gt_i32_e64 s5, s8, v6
	;; [unrolled: 1-line block ×3, first 2 shown]
	v_mul_lo_u32 v9, s8, v1
	v_add_nc_u32_e32 v1, 0x60, v17
	s_waitcnt lgkmcnt(0)
	s_cmp_eq_u32 s7, 0
	v_cmp_gt_i32_e64 s7, s8, v8
	v_mul_lo_u32 v10, s8, v2
	v_add_nc_u32_e32 v2, 64, v17
	v_mad_u64_u32 v[13:14], null, 0x60, s19, v[15:16]
	v_lshl_add_u32 v14, s19, 6, v15
	s_cselect_b32 vcc_lo, -1, 0
	s_and_b32 s27, s0, s4
	s_and_b32 s28, s0, s5
	;; [unrolled: 1-line block ×4, first 2 shown]
	v_add_nc_u32_e32 v3, 0x60, v0
	v_mul_lo_u32 v12, s8, v0
	v_mad_u64_u32 v[0:1], null, s8, v1, v[4:5]
	s_lshl_b32 s0, s18, 5
	v_mad_u64_u32 v[1:2], null, s8, v2, v[4:5]
	s_and_b32 s31, s2, s4
	s_and_b32 s33, s2, s5
	;; [unrolled: 1-line block ×4, first 2 shown]
	v_add_nc_u32_e32 v2, 32, v17
	v_subrev_nc_u32_e32 v16, s0, v16
	s_lshl_b32 s0, s18, 6
	s_mul_i32 s2, s18, 0x60
	v_subrev_nc_u32_e32 v14, s0, v14
	v_subrev_nc_u32_e32 v18, s2, v13
	v_mul_lo_u32 v11, s8, v3
	v_mad_u64_u32 v[2:3], null, s8, v2, v[4:5]
	v_mad_u64_u32 v[3:4], null, s8, v17, v[4:5]
	v_mul_lo_u32 v4, s8, v16
	v_mul_lo_u32 v13, s8, v14
	v_mul_lo_u32 v14, s8, v18
	v_mul_lo_u32 v15, s8, v15
	s_ashr_i32 s11, s10, 31
	s_and_b32 s36, s3, s4
	s_and_b32 s37, s3, s5
	;; [unrolled: 1-line block ×4, first 2 shown]
	s_lshl_b64 s[2:3], s[10:11], 2
	s_and_b32 s4, s1, s4
	s_and_b32 s5, s1, s5
	;; [unrolled: 1-line block ×4, first 2 shown]
	s_add_u32 s2, s22, s2
	s_addc_u32 s3, s23, s3
	s_branch .LBB63_13
.LBB63_12:                              ;   in Loop: Header=BB63_13 Depth=1
	s_or_b32 exec_lo, exec_lo, s7
	s_add_i32 s10, s10, 1
	v_add_nc_u32_e32 v9, s25, v9
	v_add_nc_u32_e32 v10, s25, v10
	;; [unrolled: 1-line block ×4, first 2 shown]
	s_add_i32 s26, s26, s25
	v_add_nc_u32_e32 v4, s8, v4
	v_add_nc_u32_e32 v13, s8, v13
	;; [unrolled: 1-line block ×4, first 2 shown]
	s_add_u32 s2, s2, 4
	s_addc_u32 s3, s3, 0
	s_cmp_ge_i32 s10, s24
	s_cbranch_scc1 .LBB63_45
.LBB63_13:                              ; =>This Inner Loop Header: Depth=1
	s_load_dword s0, s[2:3], 0x0
	s_waitcnt lgkmcnt(0)
	s_sub_i32 s0, s0, s21
	s_mul_i32 s7, s0, s8
	s_add_i32 s7, s7, s9
	v_add_nc_u32_e32 v16, s7, v5
	s_and_saveexec_b32 s11, s27
	s_cbranch_execz .LBB63_15
; %bb.14:                               ;   in Loop: Header=BB63_13 Depth=1
	v_add_nc_u32_e32 v17, v5, v12
	v_add_nc_u32_e32 v18, s26, v3
	;; [unrolled: 1-line block ×3, first 2 shown]
	v_cndmask_b32_e32 v17, v18, v17, vcc_lo
	v_ashrrev_i32_e32 v20, 31, v19
	v_ashrrev_i32_e32 v18, 31, v17
	v_lshlrev_b64 v[21:22], 2, v[19:20]
	v_lshlrev_b64 v[19:20], 3, v[19:20]
	;; [unrolled: 1-line block ×3, first 2 shown]
	v_add_co_u32 v17, s0, s14, v17
	v_add_co_ci_u32_e64 v18, null, s15, v18, s0
	v_add_co_u32 v21, s0, s16, v21
	v_add_co_ci_u32_e64 v22, null, s17, v22, s0
	global_load_dwordx2 v[17:18], v[17:18], off
	v_add_co_u32 v19, s0, s12, v19
	v_add_co_ci_u32_e64 v20, null, s13, v20, s0
	global_store_dword v[21:22], v16, off
	s_waitcnt vmcnt(0)
	global_store_dwordx2 v[19:20], v[17:18], off
.LBB63_15:                              ;   in Loop: Header=BB63_13 Depth=1
	s_or_b32 exec_lo, exec_lo, s11
	v_add_nc_u32_e32 v17, s7, v6
	v_add_nc_u32_e32 v22, s26, v2
	s_and_saveexec_b32 s11, s28
	s_cbranch_execz .LBB63_17
; %bb.16:                               ;   in Loop: Header=BB63_13 Depth=1
	v_add3_u32 v18, v5, v12, 32
	v_add3_u32 v20, v5, v15, 32
	v_cndmask_b32_e32 v18, v22, v18, vcc_lo
	v_ashrrev_i32_e32 v21, 31, v20
	v_ashrrev_i32_e32 v19, 31, v18
	v_lshlrev_b64 v[23:24], 2, v[20:21]
	v_lshlrev_b64 v[20:21], 3, v[20:21]
	;; [unrolled: 1-line block ×3, first 2 shown]
	v_add_co_u32 v18, s0, s14, v18
	v_add_co_ci_u32_e64 v19, null, s15, v19, s0
	v_add_co_u32 v23, s0, s16, v23
	v_add_co_ci_u32_e64 v24, null, s17, v24, s0
	global_load_dwordx2 v[18:19], v[18:19], off
	v_add_co_u32 v20, s0, s12, v20
	v_add_co_ci_u32_e64 v21, null, s13, v21, s0
	global_store_dword v[23:24], v17, off
	s_waitcnt vmcnt(0)
	global_store_dwordx2 v[20:21], v[18:19], off
.LBB63_17:                              ;   in Loop: Header=BB63_13 Depth=1
	s_or_b32 exec_lo, exec_lo, s11
	v_add_nc_u32_e32 v18, s7, v7
	v_add_nc_u32_e32 v21, s26, v1
	s_and_saveexec_b32 s11, s29
	s_cbranch_execz .LBB63_19
; %bb.18:                               ;   in Loop: Header=BB63_13 Depth=1
	v_add3_u32 v19, v5, v12, 64
	v_add3_u32 v23, v5, v15, 64
	v_cndmask_b32_e32 v19, v21, v19, vcc_lo
	v_ashrrev_i32_e32 v24, 31, v23
	v_ashrrev_i32_e32 v20, 31, v19
	v_lshlrev_b64 v[25:26], 2, v[23:24]
	v_lshlrev_b64 v[23:24], 3, v[23:24]
	;; [unrolled: 1-line block ×3, first 2 shown]
	v_add_co_u32 v19, s0, s14, v19
	v_add_co_ci_u32_e64 v20, null, s15, v20, s0
	v_add_co_u32 v25, s0, s16, v25
	v_add_co_ci_u32_e64 v26, null, s17, v26, s0
	global_load_dwordx2 v[19:20], v[19:20], off
	v_add_co_u32 v23, s0, s12, v23
	v_add_co_ci_u32_e64 v24, null, s13, v24, s0
	global_store_dword v[25:26], v18, off
	s_waitcnt vmcnt(0)
	global_store_dwordx2 v[23:24], v[19:20], off
.LBB63_19:                              ;   in Loop: Header=BB63_13 Depth=1
	s_or_b32 exec_lo, exec_lo, s11
	v_add_nc_u32_e32 v19, s7, v8
	v_add_nc_u32_e32 v20, s26, v0
	s_and_saveexec_b32 s7, s30
	s_cbranch_execnz .LBB63_32
; %bb.20:                               ;   in Loop: Header=BB63_13 Depth=1
	s_or_b32 exec_lo, exec_lo, s7
	v_add_nc_u32_e32 v23, v5, v9
	s_and_saveexec_b32 s7, s31
	s_cbranch_execnz .LBB63_33
.LBB63_21:                              ;   in Loop: Header=BB63_13 Depth=1
	s_or_b32 exec_lo, exec_lo, s7
	s_and_saveexec_b32 s7, s33
	s_cbranch_execnz .LBB63_34
.LBB63_22:                              ;   in Loop: Header=BB63_13 Depth=1
	s_or_b32 exec_lo, exec_lo, s7
	s_and_saveexec_b32 s7, s34
	s_cbranch_execnz .LBB63_35
.LBB63_23:                              ;   in Loop: Header=BB63_13 Depth=1
	s_or_b32 exec_lo, exec_lo, s7
	s_and_saveexec_b32 s7, s35
	s_cbranch_execnz .LBB63_36
.LBB63_24:                              ;   in Loop: Header=BB63_13 Depth=1
	s_or_b32 exec_lo, exec_lo, s7
	v_add_nc_u32_e32 v22, v5, v10
	s_and_saveexec_b32 s7, s36
	s_cbranch_execnz .LBB63_37
.LBB63_25:                              ;   in Loop: Header=BB63_13 Depth=1
	s_or_b32 exec_lo, exec_lo, s7
	s_and_saveexec_b32 s7, s37
	s_cbranch_execnz .LBB63_38
.LBB63_26:                              ;   in Loop: Header=BB63_13 Depth=1
	s_or_b32 exec_lo, exec_lo, s7
	s_and_saveexec_b32 s7, s38
	s_cbranch_execnz .LBB63_39
.LBB63_27:                              ;   in Loop: Header=BB63_13 Depth=1
	s_or_b32 exec_lo, exec_lo, s7
	s_and_saveexec_b32 s7, s39
	s_cbranch_execnz .LBB63_40
.LBB63_28:                              ;   in Loop: Header=BB63_13 Depth=1
	s_or_b32 exec_lo, exec_lo, s7
	v_add_nc_u32_e32 v21, v5, v11
	s_and_saveexec_b32 s7, s4
	s_cbranch_execnz .LBB63_41
.LBB63_29:                              ;   in Loop: Header=BB63_13 Depth=1
	s_or_b32 exec_lo, exec_lo, s7
	s_and_saveexec_b32 s7, s5
	s_cbranch_execnz .LBB63_42
.LBB63_30:                              ;   in Loop: Header=BB63_13 Depth=1
	s_or_b32 exec_lo, exec_lo, s7
	s_and_saveexec_b32 s7, s6
	s_cbranch_execnz .LBB63_43
.LBB63_31:                              ;   in Loop: Header=BB63_13 Depth=1
	s_or_b32 exec_lo, exec_lo, s7
	s_and_saveexec_b32 s7, s1
	s_cbranch_execz .LBB63_12
	s_branch .LBB63_44
.LBB63_32:                              ;   in Loop: Header=BB63_13 Depth=1
	v_add3_u32 v23, v5, v12, 0x60
	v_add3_u32 v25, v5, v15, 0x60
	v_cndmask_b32_e32 v23, v20, v23, vcc_lo
	v_ashrrev_i32_e32 v26, 31, v25
	v_ashrrev_i32_e32 v24, 31, v23
	v_lshlrev_b64 v[27:28], 2, v[25:26]
	v_lshlrev_b64 v[25:26], 3, v[25:26]
	v_lshlrev_b64 v[23:24], 3, v[23:24]
	v_add_co_u32 v23, s0, s14, v23
	v_add_co_ci_u32_e64 v24, null, s15, v24, s0
	v_add_co_u32 v27, s0, s16, v27
	v_add_co_ci_u32_e64 v28, null, s17, v28, s0
	global_load_dwordx2 v[23:24], v[23:24], off
	v_add_co_u32 v25, s0, s12, v25
	v_add_co_ci_u32_e64 v26, null, s13, v26, s0
	global_store_dword v[27:28], v19, off
	s_waitcnt vmcnt(0)
	global_store_dwordx2 v[25:26], v[23:24], off
	s_or_b32 exec_lo, exec_lo, s7
	v_add_nc_u32_e32 v23, v5, v9
	s_and_saveexec_b32 s7, s31
	s_cbranch_execz .LBB63_21
.LBB63_33:                              ;   in Loop: Header=BB63_13 Depth=1
	v_add3_u32 v24, v3, s26, 32
	v_add_nc_u32_e32 v26, v5, v4
	v_cndmask_b32_e32 v24, v24, v23, vcc_lo
	v_ashrrev_i32_e32 v27, 31, v26
	v_ashrrev_i32_e32 v25, 31, v24
	v_lshlrev_b64 v[28:29], 2, v[26:27]
	v_lshlrev_b64 v[26:27], 3, v[26:27]
	;; [unrolled: 1-line block ×3, first 2 shown]
	v_add_co_u32 v24, s0, s14, v24
	v_add_co_ci_u32_e64 v25, null, s15, v25, s0
	v_add_co_u32 v28, s0, s16, v28
	v_add_co_ci_u32_e64 v29, null, s17, v29, s0
	global_load_dwordx2 v[24:25], v[24:25], off
	v_add_co_u32 v26, s0, s12, v26
	v_add_co_ci_u32_e64 v27, null, s13, v27, s0
	global_store_dword v[28:29], v16, off
	s_waitcnt vmcnt(0)
	global_store_dwordx2 v[26:27], v[24:25], off
	s_or_b32 exec_lo, exec_lo, s7
	s_and_saveexec_b32 s7, s33
	s_cbranch_execz .LBB63_22
.LBB63_34:                              ;   in Loop: Header=BB63_13 Depth=1
	v_cndmask_b32_e32 v22, v22, v23, vcc_lo
	v_add3_u32 v24, v5, v4, 32
	v_add_nc_u32_e32 v22, 32, v22
	v_ashrrev_i32_e32 v25, 31, v24
	v_ashrrev_i32_e32 v23, 31, v22
	v_lshlrev_b64 v[26:27], 2, v[24:25]
	v_lshlrev_b64 v[24:25], 3, v[24:25]
	;; [unrolled: 1-line block ×3, first 2 shown]
	v_add_co_u32 v22, s0, s14, v22
	v_add_co_ci_u32_e64 v23, null, s15, v23, s0
	v_add_co_u32 v26, s0, s16, v26
	v_add_co_ci_u32_e64 v27, null, s17, v27, s0
	global_load_dwordx2 v[22:23], v[22:23], off
	v_add_co_u32 v24, s0, s12, v24
	v_add_co_ci_u32_e64 v25, null, s13, v25, s0
	global_store_dword v[26:27], v17, off
	s_waitcnt vmcnt(0)
	global_store_dwordx2 v[24:25], v[22:23], off
	s_or_b32 exec_lo, exec_lo, s7
	s_and_saveexec_b32 s7, s34
	s_cbranch_execz .LBB63_23
.LBB63_35:                              ;   in Loop: Header=BB63_13 Depth=1
	v_add3_u32 v22, v5, v9, 64
	v_add3_u32 v23, v1, s26, 32
	;; [unrolled: 1-line block ×3, first 2 shown]
	v_cndmask_b32_e32 v22, v23, v22, vcc_lo
	v_ashrrev_i32_e32 v25, 31, v24
	v_ashrrev_i32_e32 v23, 31, v22
	v_lshlrev_b64 v[26:27], 2, v[24:25]
	v_lshlrev_b64 v[24:25], 3, v[24:25]
	;; [unrolled: 1-line block ×3, first 2 shown]
	v_add_co_u32 v22, s0, s14, v22
	v_add_co_ci_u32_e64 v23, null, s15, v23, s0
	v_add_co_u32 v26, s0, s16, v26
	v_add_co_ci_u32_e64 v27, null, s17, v27, s0
	global_load_dwordx2 v[22:23], v[22:23], off
	v_add_co_u32 v24, s0, s12, v24
	v_add_co_ci_u32_e64 v25, null, s13, v25, s0
	global_store_dword v[26:27], v18, off
	s_waitcnt vmcnt(0)
	global_store_dwordx2 v[24:25], v[22:23], off
	s_or_b32 exec_lo, exec_lo, s7
	s_and_saveexec_b32 s7, s35
	s_cbranch_execz .LBB63_24
.LBB63_36:                              ;   in Loop: Header=BB63_13 Depth=1
	v_add3_u32 v22, v5, v9, 0x60
	v_add3_u32 v23, v0, s26, 32
	;; [unrolled: 1-line block ×3, first 2 shown]
	v_cndmask_b32_e32 v22, v23, v22, vcc_lo
	v_ashrrev_i32_e32 v25, 31, v24
	v_ashrrev_i32_e32 v23, 31, v22
	v_lshlrev_b64 v[26:27], 2, v[24:25]
	v_lshlrev_b64 v[24:25], 3, v[24:25]
	;; [unrolled: 1-line block ×3, first 2 shown]
	v_add_co_u32 v22, s0, s14, v22
	v_add_co_ci_u32_e64 v23, null, s15, v23, s0
	v_add_co_u32 v26, s0, s16, v26
	v_add_co_ci_u32_e64 v27, null, s17, v27, s0
	global_load_dwordx2 v[22:23], v[22:23], off
	v_add_co_u32 v24, s0, s12, v24
	v_add_co_ci_u32_e64 v25, null, s13, v25, s0
	global_store_dword v[26:27], v19, off
	s_waitcnt vmcnt(0)
	global_store_dwordx2 v[24:25], v[22:23], off
	s_or_b32 exec_lo, exec_lo, s7
	v_add_nc_u32_e32 v22, v5, v10
	s_and_saveexec_b32 s7, s36
	s_cbranch_execz .LBB63_25
.LBB63_37:                              ;   in Loop: Header=BB63_13 Depth=1
	v_add3_u32 v23, v3, s26, 64
	v_add_nc_u32_e32 v25, v5, v13
	v_cndmask_b32_e32 v23, v23, v22, vcc_lo
	v_ashrrev_i32_e32 v26, 31, v25
	v_ashrrev_i32_e32 v24, 31, v23
	v_lshlrev_b64 v[27:28], 2, v[25:26]
	v_lshlrev_b64 v[25:26], 3, v[25:26]
	;; [unrolled: 1-line block ×3, first 2 shown]
	v_add_co_u32 v23, s0, s14, v23
	v_add_co_ci_u32_e64 v24, null, s15, v24, s0
	v_add_co_u32 v27, s0, s16, v27
	v_add_co_ci_u32_e64 v28, null, s17, v28, s0
	global_load_dwordx2 v[23:24], v[23:24], off
	v_add_co_u32 v25, s0, s12, v25
	v_add_co_ci_u32_e64 v26, null, s13, v26, s0
	global_store_dword v[27:28], v16, off
	s_waitcnt vmcnt(0)
	global_store_dwordx2 v[25:26], v[23:24], off
	s_or_b32 exec_lo, exec_lo, s7
	s_and_saveexec_b32 s7, s37
	s_cbranch_execz .LBB63_26
.LBB63_38:                              ;   in Loop: Header=BB63_13 Depth=1
	v_add3_u32 v23, v5, v10, 32
	v_add3_u32 v24, v2, s26, 64
	;; [unrolled: 1-line block ×3, first 2 shown]
	v_cndmask_b32_e32 v23, v24, v23, vcc_lo
	v_ashrrev_i32_e32 v26, 31, v25
	v_ashrrev_i32_e32 v24, 31, v23
	v_lshlrev_b64 v[27:28], 2, v[25:26]
	v_lshlrev_b64 v[25:26], 3, v[25:26]
	;; [unrolled: 1-line block ×3, first 2 shown]
	v_add_co_u32 v23, s0, s14, v23
	v_add_co_ci_u32_e64 v24, null, s15, v24, s0
	v_add_co_u32 v27, s0, s16, v27
	v_add_co_ci_u32_e64 v28, null, s17, v28, s0
	global_load_dwordx2 v[23:24], v[23:24], off
	v_add_co_u32 v25, s0, s12, v25
	v_add_co_ci_u32_e64 v26, null, s13, v26, s0
	global_store_dword v[27:28], v17, off
	s_waitcnt vmcnt(0)
	global_store_dwordx2 v[25:26], v[23:24], off
	s_or_b32 exec_lo, exec_lo, s7
	s_and_saveexec_b32 s7, s38
	s_cbranch_execz .LBB63_27
.LBB63_39:                              ;   in Loop: Header=BB63_13 Depth=1
	v_cndmask_b32_e32 v21, v21, v22, vcc_lo
	v_add3_u32 v23, v5, v13, 64
	v_add_nc_u32_e32 v21, 64, v21
	v_ashrrev_i32_e32 v24, 31, v23
	v_ashrrev_i32_e32 v22, 31, v21
	v_lshlrev_b64 v[25:26], 2, v[23:24]
	v_lshlrev_b64 v[23:24], 3, v[23:24]
	;; [unrolled: 1-line block ×3, first 2 shown]
	v_add_co_u32 v21, s0, s14, v21
	v_add_co_ci_u32_e64 v22, null, s15, v22, s0
	v_add_co_u32 v25, s0, s16, v25
	v_add_co_ci_u32_e64 v26, null, s17, v26, s0
	global_load_dwordx2 v[21:22], v[21:22], off
	v_add_co_u32 v23, s0, s12, v23
	v_add_co_ci_u32_e64 v24, null, s13, v24, s0
	global_store_dword v[25:26], v18, off
	s_waitcnt vmcnt(0)
	global_store_dwordx2 v[23:24], v[21:22], off
	s_or_b32 exec_lo, exec_lo, s7
	s_and_saveexec_b32 s7, s39
	s_cbranch_execz .LBB63_28
.LBB63_40:                              ;   in Loop: Header=BB63_13 Depth=1
	v_add3_u32 v21, v5, v10, 0x60
	v_add3_u32 v22, v0, s26, 64
	;; [unrolled: 1-line block ×3, first 2 shown]
	v_cndmask_b32_e32 v21, v22, v21, vcc_lo
	v_ashrrev_i32_e32 v24, 31, v23
	v_ashrrev_i32_e32 v22, 31, v21
	v_lshlrev_b64 v[25:26], 2, v[23:24]
	v_lshlrev_b64 v[23:24], 3, v[23:24]
	;; [unrolled: 1-line block ×3, first 2 shown]
	v_add_co_u32 v21, s0, s14, v21
	v_add_co_ci_u32_e64 v22, null, s15, v22, s0
	v_add_co_u32 v25, s0, s16, v25
	v_add_co_ci_u32_e64 v26, null, s17, v26, s0
	global_load_dwordx2 v[21:22], v[21:22], off
	v_add_co_u32 v23, s0, s12, v23
	v_add_co_ci_u32_e64 v24, null, s13, v24, s0
	global_store_dword v[25:26], v19, off
	s_waitcnt vmcnt(0)
	global_store_dwordx2 v[23:24], v[21:22], off
	s_or_b32 exec_lo, exec_lo, s7
	v_add_nc_u32_e32 v21, v5, v11
	s_and_saveexec_b32 s7, s4
	s_cbranch_execz .LBB63_29
.LBB63_41:                              ;   in Loop: Header=BB63_13 Depth=1
	v_add3_u32 v22, v3, s26, 0x60
	v_add_nc_u32_e32 v24, v5, v14
	v_cndmask_b32_e32 v22, v22, v21, vcc_lo
	v_ashrrev_i32_e32 v25, 31, v24
	v_ashrrev_i32_e32 v23, 31, v22
	v_lshlrev_b64 v[26:27], 2, v[24:25]
	v_lshlrev_b64 v[24:25], 3, v[24:25]
	;; [unrolled: 1-line block ×3, first 2 shown]
	v_add_co_u32 v22, s0, s14, v22
	v_add_co_ci_u32_e64 v23, null, s15, v23, s0
	v_add_co_u32 v26, s0, s16, v26
	v_add_co_ci_u32_e64 v27, null, s17, v27, s0
	global_load_dwordx2 v[22:23], v[22:23], off
	v_add_co_u32 v24, s0, s12, v24
	v_add_co_ci_u32_e64 v25, null, s13, v25, s0
	global_store_dword v[26:27], v16, off
	s_waitcnt vmcnt(0)
	global_store_dwordx2 v[24:25], v[22:23], off
	s_or_b32 exec_lo, exec_lo, s7
	s_and_saveexec_b32 s7, s5
	s_cbranch_execz .LBB63_30
.LBB63_42:                              ;   in Loop: Header=BB63_13 Depth=1
	v_add3_u32 v16, v5, v11, 32
	v_add3_u32 v22, v2, s26, 0x60
	;; [unrolled: 1-line block ×3, first 2 shown]
	v_cndmask_b32_e32 v22, v22, v16, vcc_lo
	v_ashrrev_i32_e32 v25, 31, v24
	v_ashrrev_i32_e32 v23, 31, v22
	v_lshlrev_b64 v[26:27], 2, v[24:25]
	v_lshlrev_b64 v[24:25], 3, v[24:25]
	;; [unrolled: 1-line block ×3, first 2 shown]
	v_add_co_u32 v22, s0, s14, v22
	v_add_co_ci_u32_e64 v23, null, s15, v23, s0
	v_add_co_u32 v26, s0, s16, v26
	v_add_co_ci_u32_e64 v27, null, s17, v27, s0
	global_load_dwordx2 v[22:23], v[22:23], off
	v_add_co_u32 v24, s0, s12, v24
	v_add_co_ci_u32_e64 v25, null, s13, v25, s0
	global_store_dword v[26:27], v17, off
	s_waitcnt vmcnt(0)
	global_store_dwordx2 v[24:25], v[22:23], off
	s_or_b32 exec_lo, exec_lo, s7
	s_and_saveexec_b32 s7, s6
	s_cbranch_execz .LBB63_31
.LBB63_43:                              ;   in Loop: Header=BB63_13 Depth=1
	v_add3_u32 v16, v5, v11, 64
	v_add3_u32 v17, v1, s26, 0x60
	;; [unrolled: 1-line block ×3, first 2 shown]
	v_cndmask_b32_e32 v16, v17, v16, vcc_lo
	v_ashrrev_i32_e32 v23, 31, v22
	v_ashrrev_i32_e32 v17, 31, v16
	v_lshlrev_b64 v[24:25], 2, v[22:23]
	v_lshlrev_b64 v[22:23], 3, v[22:23]
	;; [unrolled: 1-line block ×3, first 2 shown]
	v_add_co_u32 v16, s0, s14, v16
	v_add_co_ci_u32_e64 v17, null, s15, v17, s0
	v_add_co_u32 v24, s0, s16, v24
	v_add_co_ci_u32_e64 v25, null, s17, v25, s0
	global_load_dwordx2 v[16:17], v[16:17], off
	v_add_co_u32 v22, s0, s12, v22
	v_add_co_ci_u32_e64 v23, null, s13, v23, s0
	global_store_dword v[24:25], v18, off
	s_waitcnt vmcnt(0)
	global_store_dwordx2 v[22:23], v[16:17], off
	s_or_b32 exec_lo, exec_lo, s7
	s_and_saveexec_b32 s7, s1
	s_cbranch_execz .LBB63_12
.LBB63_44:                              ;   in Loop: Header=BB63_13 Depth=1
	v_cndmask_b32_e32 v16, v20, v21, vcc_lo
	v_add3_u32 v20, v5, v14, 0x60
	v_add_nc_u32_e32 v16, 0x60, v16
	v_ashrrev_i32_e32 v21, 31, v20
	v_ashrrev_i32_e32 v17, 31, v16
	v_lshlrev_b64 v[22:23], 2, v[20:21]
	v_lshlrev_b64 v[20:21], 3, v[20:21]
	;; [unrolled: 1-line block ×3, first 2 shown]
	v_add_co_u32 v16, s0, s14, v16
	v_add_co_ci_u32_e64 v17, null, s15, v17, s0
	v_add_co_u32 v22, s0, s16, v22
	v_add_co_ci_u32_e64 v23, null, s17, v23, s0
	global_load_dwordx2 v[16:17], v[16:17], off
	v_add_co_u32 v20, s0, s12, v20
	v_add_co_ci_u32_e64 v21, null, s13, v21, s0
	global_store_dword v[22:23], v19, off
	s_waitcnt vmcnt(0)
	global_store_dwordx2 v[20:21], v[16:17], off
	s_branch .LBB63_12
.LBB63_45:
	s_endpgm
	.section	.rodata,"a",@progbits
	.p2align	6, 0x0
	.amdhsa_kernel _ZN9rocsparseL35bsr2csr_block_per_row_33_256_kernelILj1024ELj128ELj32EliiEEv20rocsparse_direction_T4_S2_21rocsparse_index_base_PKT2_PKT3_PKS2_S2_S3_PS4_PS7_PS2_
		.amdhsa_group_segment_fixed_size 0
		.amdhsa_private_segment_fixed_size 0
		.amdhsa_kernarg_size 72
		.amdhsa_user_sgpr_count 6
		.amdhsa_user_sgpr_private_segment_buffer 1
		.amdhsa_user_sgpr_dispatch_ptr 0
		.amdhsa_user_sgpr_queue_ptr 0
		.amdhsa_user_sgpr_kernarg_segment_ptr 1
		.amdhsa_user_sgpr_dispatch_id 0
		.amdhsa_user_sgpr_flat_scratch_init 0
		.amdhsa_user_sgpr_private_segment_size 0
		.amdhsa_wavefront_size32 1
		.amdhsa_uses_dynamic_stack 0
		.amdhsa_system_sgpr_private_segment_wavefront_offset 0
		.amdhsa_system_sgpr_workgroup_id_x 1
		.amdhsa_system_sgpr_workgroup_id_y 0
		.amdhsa_system_sgpr_workgroup_id_z 0
		.amdhsa_system_sgpr_workgroup_info 0
		.amdhsa_system_vgpr_workitem_id 0
		.amdhsa_next_free_vgpr 30
		.amdhsa_next_free_sgpr 40
		.amdhsa_reserve_vcc 1
		.amdhsa_reserve_flat_scratch 0
		.amdhsa_float_round_mode_32 0
		.amdhsa_float_round_mode_16_64 0
		.amdhsa_float_denorm_mode_32 3
		.amdhsa_float_denorm_mode_16_64 3
		.amdhsa_dx10_clamp 1
		.amdhsa_ieee_mode 1
		.amdhsa_fp16_overflow 0
		.amdhsa_workgroup_processor_mode 1
		.amdhsa_memory_ordered 1
		.amdhsa_forward_progress 1
		.amdhsa_shared_vgpr_count 0
		.amdhsa_exception_fp_ieee_invalid_op 0
		.amdhsa_exception_fp_denorm_src 0
		.amdhsa_exception_fp_ieee_div_zero 0
		.amdhsa_exception_fp_ieee_overflow 0
		.amdhsa_exception_fp_ieee_underflow 0
		.amdhsa_exception_fp_ieee_inexact 0
		.amdhsa_exception_int_div_zero 0
	.end_amdhsa_kernel
	.section	.text._ZN9rocsparseL35bsr2csr_block_per_row_33_256_kernelILj1024ELj128ELj32EliiEEv20rocsparse_direction_T4_S2_21rocsparse_index_base_PKT2_PKT3_PKS2_S2_S3_PS4_PS7_PS2_,"axG",@progbits,_ZN9rocsparseL35bsr2csr_block_per_row_33_256_kernelILj1024ELj128ELj32EliiEEv20rocsparse_direction_T4_S2_21rocsparse_index_base_PKT2_PKT3_PKS2_S2_S3_PS4_PS7_PS2_,comdat
.Lfunc_end63:
	.size	_ZN9rocsparseL35bsr2csr_block_per_row_33_256_kernelILj1024ELj128ELj32EliiEEv20rocsparse_direction_T4_S2_21rocsparse_index_base_PKT2_PKT3_PKS2_S2_S3_PS4_PS7_PS2_, .Lfunc_end63-_ZN9rocsparseL35bsr2csr_block_per_row_33_256_kernelILj1024ELj128ELj32EliiEEv20rocsparse_direction_T4_S2_21rocsparse_index_base_PKT2_PKT3_PKS2_S2_S3_PS4_PS7_PS2_
                                        ; -- End function
	.set _ZN9rocsparseL35bsr2csr_block_per_row_33_256_kernelILj1024ELj128ELj32EliiEEv20rocsparse_direction_T4_S2_21rocsparse_index_base_PKT2_PKT3_PKS2_S2_S3_PS4_PS7_PS2_.num_vgpr, 30
	.set _ZN9rocsparseL35bsr2csr_block_per_row_33_256_kernelILj1024ELj128ELj32EliiEEv20rocsparse_direction_T4_S2_21rocsparse_index_base_PKT2_PKT3_PKS2_S2_S3_PS4_PS7_PS2_.num_agpr, 0
	.set _ZN9rocsparseL35bsr2csr_block_per_row_33_256_kernelILj1024ELj128ELj32EliiEEv20rocsparse_direction_T4_S2_21rocsparse_index_base_PKT2_PKT3_PKS2_S2_S3_PS4_PS7_PS2_.numbered_sgpr, 40
	.set _ZN9rocsparseL35bsr2csr_block_per_row_33_256_kernelILj1024ELj128ELj32EliiEEv20rocsparse_direction_T4_S2_21rocsparse_index_base_PKT2_PKT3_PKS2_S2_S3_PS4_PS7_PS2_.num_named_barrier, 0
	.set _ZN9rocsparseL35bsr2csr_block_per_row_33_256_kernelILj1024ELj128ELj32EliiEEv20rocsparse_direction_T4_S2_21rocsparse_index_base_PKT2_PKT3_PKS2_S2_S3_PS4_PS7_PS2_.private_seg_size, 0
	.set _ZN9rocsparseL35bsr2csr_block_per_row_33_256_kernelILj1024ELj128ELj32EliiEEv20rocsparse_direction_T4_S2_21rocsparse_index_base_PKT2_PKT3_PKS2_S2_S3_PS4_PS7_PS2_.uses_vcc, 1
	.set _ZN9rocsparseL35bsr2csr_block_per_row_33_256_kernelILj1024ELj128ELj32EliiEEv20rocsparse_direction_T4_S2_21rocsparse_index_base_PKT2_PKT3_PKS2_S2_S3_PS4_PS7_PS2_.uses_flat_scratch, 0
	.set _ZN9rocsparseL35bsr2csr_block_per_row_33_256_kernelILj1024ELj128ELj32EliiEEv20rocsparse_direction_T4_S2_21rocsparse_index_base_PKT2_PKT3_PKS2_S2_S3_PS4_PS7_PS2_.has_dyn_sized_stack, 0
	.set _ZN9rocsparseL35bsr2csr_block_per_row_33_256_kernelILj1024ELj128ELj32EliiEEv20rocsparse_direction_T4_S2_21rocsparse_index_base_PKT2_PKT3_PKS2_S2_S3_PS4_PS7_PS2_.has_recursion, 0
	.set _ZN9rocsparseL35bsr2csr_block_per_row_33_256_kernelILj1024ELj128ELj32EliiEEv20rocsparse_direction_T4_S2_21rocsparse_index_base_PKT2_PKT3_PKS2_S2_S3_PS4_PS7_PS2_.has_indirect_call, 0
	.section	.AMDGPU.csdata,"",@progbits
; Kernel info:
; codeLenInByte = 3472
; TotalNumSgprs: 42
; NumVgprs: 30
; ScratchSize: 0
; MemoryBound: 0
; FloatMode: 240
; IeeeMode: 1
; LDSByteSize: 0 bytes/workgroup (compile time only)
; SGPRBlocks: 0
; VGPRBlocks: 3
; NumSGPRsForWavesPerEU: 42
; NumVGPRsForWavesPerEU: 30
; Occupancy: 16
; WaveLimiterHint : 1
; COMPUTE_PGM_RSRC2:SCRATCH_EN: 0
; COMPUTE_PGM_RSRC2:USER_SGPR: 6
; COMPUTE_PGM_RSRC2:TRAP_HANDLER: 0
; COMPUTE_PGM_RSRC2:TGID_X_EN: 1
; COMPUTE_PGM_RSRC2:TGID_Y_EN: 0
; COMPUTE_PGM_RSRC2:TGID_Z_EN: 0
; COMPUTE_PGM_RSRC2:TIDIG_COMP_CNT: 0
	.section	.text._ZN9rocsparseL35bsr2csr_block_per_row_33_256_kernelILj1024ELj256ELj32EliiEEv20rocsparse_direction_T4_S2_21rocsparse_index_base_PKT2_PKT3_PKS2_S2_S3_PS4_PS7_PS2_,"axG",@progbits,_ZN9rocsparseL35bsr2csr_block_per_row_33_256_kernelILj1024ELj256ELj32EliiEEv20rocsparse_direction_T4_S2_21rocsparse_index_base_PKT2_PKT3_PKS2_S2_S3_PS4_PS7_PS2_,comdat
	.globl	_ZN9rocsparseL35bsr2csr_block_per_row_33_256_kernelILj1024ELj256ELj32EliiEEv20rocsparse_direction_T4_S2_21rocsparse_index_base_PKT2_PKT3_PKS2_S2_S3_PS4_PS7_PS2_ ; -- Begin function _ZN9rocsparseL35bsr2csr_block_per_row_33_256_kernelILj1024ELj256ELj32EliiEEv20rocsparse_direction_T4_S2_21rocsparse_index_base_PKT2_PKT3_PKS2_S2_S3_PS4_PS7_PS2_
	.p2align	8
	.type	_ZN9rocsparseL35bsr2csr_block_per_row_33_256_kernelILj1024ELj256ELj32EliiEEv20rocsparse_direction_T4_S2_21rocsparse_index_base_PKT2_PKT3_PKS2_S2_S3_PS4_PS7_PS2_,@function
_ZN9rocsparseL35bsr2csr_block_per_row_33_256_kernelILj1024ELj256ELj32EliiEEv20rocsparse_direction_T4_S2_21rocsparse_index_base_PKT2_PKT3_PKS2_S2_S3_PS4_PS7_PS2_: ; @_ZN9rocsparseL35bsr2csr_block_per_row_33_256_kernelILj1024ELj256ELj32EliiEEv20rocsparse_direction_T4_S2_21rocsparse_index_base_PKT2_PKT3_PKS2_S2_S3_PS4_PS7_PS2_
; %bb.0:
	s_load_dwordx2 s[0:1], s[4:5], 0x18
	s_ashr_i32 s7, s6, 31
	s_clause 0x1
	s_load_dwordx2 s[16:17], s[4:5], 0x28
	s_load_dwordx2 s[10:11], s[4:5], 0x38
	s_lshl_b64 s[2:3], s[6:7], 2
	v_or_b32_e32 v1, s6, v0
	s_waitcnt lgkmcnt(0)
	s_add_u32 s0, s0, s2
	s_addc_u32 s1, s1, s3
	s_load_dwordx2 s[26:27], s[0:1], 0x0
	s_mov_b32 s0, exec_lo
	v_cmpx_eq_u32_e32 0, v1
	s_cbranch_execz .LBB64_2
; %bb.1:
	v_mov_b32_e32 v1, 0
	v_mov_b32_e32 v2, s17
	global_store_dword v1, v2, s[10:11]
.LBB64_2:
	s_or_b32 exec_lo, exec_lo, s0
	s_load_dword s29, s[4:5], 0xc
	v_lshrrev_b32_e32 v13, 5, v0
	s_mul_i32 s14, s16, s6
	v_cmp_gt_i32_e64 s0, s16, v13
	s_waitcnt lgkmcnt(0)
	s_sub_i32 s18, s26, s29
	s_sub_i32 s33, s27, s29
	s_mul_i32 s28, s16, s18
	s_sub_i32 s19, s33, s18
	s_mul_i32 s1, s28, s16
	s_mul_i32 s13, s19, s16
	s_add_i32 s1, s1, s17
	s_add_i32 s12, s1, s13
	s_and_saveexec_b32 s1, s0
	s_cbranch_execz .LBB64_4
; %bb.3:
	v_add_nc_u32_e32 v1, s14, v13
	v_mad_u64_u32 v[3:4], null, v13, s13, s[12:13]
	v_ashrrev_i32_e32 v2, 31, v1
	v_lshlrev_b64 v[1:2], 2, v[1:2]
	v_add_co_u32 v1, vcc_lo, s10, v1
	v_add_co_ci_u32_e64 v2, null, s11, v2, vcc_lo
	global_store_dword v[1:2], v3, off offset:4
.LBB64_4:
	s_or_b32 exec_lo, exec_lo, s1
	v_or_b32_e32 v1, 32, v13
	v_cmp_gt_i32_e64 s1, s16, v1
	s_and_saveexec_b32 s2, s1
	s_cbranch_execz .LBB64_6
; %bb.5:
	s_ashr_i32 s3, s14, 31
	v_add_co_u32 v2, s6, v13, s14
	v_add_co_ci_u32_e64 v3, null, 0, s3, s6
	v_mad_u64_u32 v[4:5], null, v1, s13, s[12:13]
	v_lshlrev_b64 v[2:3], 2, v[2:3]
	v_add_co_u32 v1, vcc_lo, s10, v2
	v_add_co_ci_u32_e64 v2, null, s11, v3, vcc_lo
	global_store_dword v[1:2], v4, off offset:132
.LBB64_6:
	s_or_b32 exec_lo, exec_lo, s2
	v_or_b32_e32 v1, 64, v13
	v_cmp_gt_i32_e64 s3, s16, v1
	s_and_saveexec_b32 s2, s3
	s_cbranch_execz .LBB64_8
; %bb.7:
	s_ashr_i32 s6, s14, 31
	v_add_co_u32 v2, s7, v13, s14
	v_add_co_ci_u32_e64 v3, null, 0, s6, s7
	v_mad_u64_u32 v[4:5], null, v1, s13, s[12:13]
	v_lshlrev_b64 v[2:3], 2, v[2:3]
	v_add_co_u32 v1, vcc_lo, s10, v2
	v_add_co_ci_u32_e64 v2, null, s11, v3, vcc_lo
	global_store_dword v[1:2], v4, off offset:260
.LBB64_8:
	;; [unrolled: 15-line block ×7, first 2 shown]
	s_or_b32 exec_lo, exec_lo, s15
	s_cmp_lt_i32 s26, s27
	s_cbranch_scc0 .LBB64_149
; %bb.19:
	v_and_b32_e32 v0, 31, v0
	v_add_nc_u32_e32 v17, s28, v13
	s_clause 0x3
	s_load_dwordx2 s[30:31], s[4:5], 0x20
	s_load_dwordx2 s[20:21], s[4:5], 0x30
	s_load_dword s11, s[4:5], 0x0
	s_load_dwordx2 s[22:23], s[4:5], 0x10
	v_mad_u64_u32 v[31:32], null, v13, s19, s[28:29]
	v_add_nc_u32_e32 v9, s28, v0
	v_mad_u64_u32 v[1:2], null, s16, v17, v[0:1]
	v_add_nc_u32_e32 v12, 32, v17
	v_or_b32_e32 v18, 32, v0
	v_mad_u64_u32 v[2:3], null, s16, v9, v[13:14]
	v_add_nc_u32_e32 v3, 0xe0, v9
	v_add_nc_u32_e32 v5, 0xc0, v9
	v_add_nc_u32_e32 v6, 0xa0, v9
	v_add_nc_u32_e32 v7, 0x80, v9
	v_add_nc_u32_e32 v8, 0x60, v9
	v_mad_u64_u32 v[3:4], null, s16, v3, v[13:14]
	v_add_nc_u32_e32 v10, 64, v9
	v_mad_u64_u32 v[4:5], null, s16, v5, v[13:14]
	v_mad_u64_u32 v[5:6], null, s16, v6, v[13:14]
	;; [unrolled: 1-line block ×4, first 2 shown]
	v_add_nc_u32_e32 v11, 32, v9
	v_mad_u64_u32 v[8:9], null, s16, v10, v[13:14]
	v_add_nc_u32_e32 v14, 64, v17
	v_or_b32_e32 v19, 64, v0
	v_or_b32_e32 v20, 0x60, v0
	;; [unrolled: 1-line block ×4, first 2 shown]
	v_mad_u64_u32 v[9:10], null, s16, v11, v[13:14]
	v_mad_u64_u32 v[10:11], null, s16, v12, v[0:1]
	;; [unrolled: 1-line block ×3, first 2 shown]
	v_add_nc_u32_e32 v12, 0x60, v17
	v_add_nc_u32_e32 v14, 0x80, v17
	v_or_b32_e32 v23, 0xc0, v0
	v_or_b32_e32 v24, 0xe0, v0
	v_mad_u64_u32 v[25:26], null, 0xe0, s27, v[31:32]
	v_mad_u64_u32 v[12:13], null, s16, v12, v[0:1]
	v_mad_u64_u32 v[13:14], null, s16, v14, v[0:1]
	v_add_nc_u32_e32 v14, 0xa0, v17
	v_mad_u64_u32 v[26:27], null, 0xc0, s27, v[31:32]
	s_load_dwordx2 s[24:25], s[4:5], 0x40
	v_cmp_gt_i32_e64 s4, s16, v0
	v_cmp_gt_i32_e64 s5, s16, v18
	;; [unrolled: 1-line block ×3, first 2 shown]
	s_waitcnt lgkmcnt(0)
	s_cmp_eq_u32 s11, 0
	v_cmp_gt_i32_e64 s11, s16, v20
	v_cmp_gt_i32_e64 s12, s16, v21
	;; [unrolled: 1-line block ×5, first 2 shown]
	v_add_nc_u32_e32 v16, 0xc0, v17
	v_mad_u64_u32 v[14:15], null, s16, v14, v[0:1]
	s_cselect_b32 vcc_lo, -1, 0
	s_and_b32 s36, s0, s4
	s_and_b32 s37, s0, s5
	s_and_b32 s38, s0, s10
	s_and_b32 s39, s0, s11
	s_and_b32 s40, s0, s12
	s_and_b32 s41, s0, s13
	s_and_b32 s42, s0, s14
	s_and_b32 s43, s0, s15
	s_and_b32 s51, s3, s4
	s_and_b32 s52, s3, s5
	s_and_b32 s53, s3, s10
	s_and_b32 s54, s3, s11
	s_and_b32 s55, s3, s12
	s_and_b32 s56, s3, s13
	s_and_b32 s57, s3, s14
	s_and_b32 s58, s3, s15
	v_mad_u64_u32 v[15:16], null, s16, v16, v[0:1]
	s_mul_i32 s0, s26, 0xe0
	s_mul_i32 s3, s26, 0xc0
	v_add_nc_u32_e32 v16, 0xe0, v17
	v_subrev_nc_u32_e32 v25, s0, v25
	v_subrev_nc_u32_e32 v28, s3, v26
	v_mad_u64_u32 v[26:27], null, 0xa0, s27, v[31:32]
	v_mad_u64_u32 v[16:17], null, s16, v16, v[0:1]
	v_mul_lo_u32 v17, s16, v25
	v_mul_lo_u32 v25, s16, v28
	v_lshl_add_u32 v29, s27, 7, v31
	v_mad_u64_u32 v[27:28], null, 0x60, s27, v[31:32]
	s_lshl_b32 s3, s26, 7
	s_mul_i32 s0, s26, 0xa0
	v_subrev_nc_u32_e32 v28, s3, v29
	v_lshl_add_u32 v29, s27, 6, v31
	v_lshl_add_u32 v30, s27, 5, v31
	v_subrev_nc_u32_e32 v26, s0, v26
	s_mul_i32 s0, s26, 0x60
	s_lshl_b32 s3, s26, 5
	v_subrev_nc_u32_e32 v32, s0, v27
	s_lshl_b32 s0, s26, 6
	v_subrev_nc_u32_e32 v30, s3, v30
	v_subrev_nc_u32_e32 v29, s0, v29
	v_mul_lo_u32 v26, s16, v26
	v_mul_lo_u32 v27, s16, v28
	;; [unrolled: 1-line block ×6, first 2 shown]
	s_ashr_i32 s19, s18, 31
	v_cndmask_b32_e32 v32, v2, v1, vcc_lo
	s_lshl_b64 s[26:27], s[18:19], 2
	s_and_b32 s44, s1, s4
	s_and_b32 s45, s1, s5
	;; [unrolled: 1-line block ×48, first 2 shown]
	s_add_u32 s2, s30, s26
	s_mul_i32 s34, s16, s16
	s_mov_b32 s35, 0
	s_addc_u32 s3, s31, s27
	s_branch .LBB64_21
.LBB64_20:                              ;   in Loop: Header=BB64_21 Depth=1
	s_or_b32 exec_lo, exec_lo, s19
	s_add_i32 s18, s18, 1
	s_add_i32 s35, s35, s34
	v_add_nc_u32_e32 v17, s16, v17
	v_add_nc_u32_e32 v25, s16, v25
	;; [unrolled: 1-line block ×8, first 2 shown]
	s_add_u32 s2, s2, 4
	s_addc_u32 s3, s3, 0
	s_cmp_ge_i32 s18, s33
	s_cbranch_scc1 .LBB64_149
.LBB64_21:                              ; =>This Inner Loop Header: Depth=1
	s_load_dword s0, s[2:3], 0x0
	s_waitcnt lgkmcnt(0)
	s_sub_i32 s0, s0, s29
	s_mul_i32 s19, s0, s16
	s_add_i32 s19, s19, s17
	v_add_nc_u32_e32 v34, s19, v0
	s_and_saveexec_b32 s26, s36
	s_cbranch_execnz .LBB64_85
; %bb.22:                               ;   in Loop: Header=BB64_21 Depth=1
	s_or_b32 exec_lo, exec_lo, s26
	v_add_nc_u32_e32 v33, s19, v18
	s_and_saveexec_b32 s26, s37
	s_cbranch_execnz .LBB64_86
.LBB64_23:                              ;   in Loop: Header=BB64_21 Depth=1
	s_or_b32 exec_lo, exec_lo, s26
	v_add_nc_u32_e32 v35, s19, v19
	s_and_saveexec_b32 s26, s38
	s_cbranch_execnz .LBB64_87
.LBB64_24:                              ;   in Loop: Header=BB64_21 Depth=1
	s_or_b32 exec_lo, exec_lo, s26
	v_add_nc_u32_e32 v36, s19, v20
	s_and_saveexec_b32 s26, s39
	s_cbranch_execnz .LBB64_88
.LBB64_25:                              ;   in Loop: Header=BB64_21 Depth=1
	s_or_b32 exec_lo, exec_lo, s26
	v_add_nc_u32_e32 v37, s19, v21
	s_and_saveexec_b32 s26, s40
	s_cbranch_execnz .LBB64_89
.LBB64_26:                              ;   in Loop: Header=BB64_21 Depth=1
	s_or_b32 exec_lo, exec_lo, s26
	v_add_nc_u32_e32 v38, s19, v22
	s_and_saveexec_b32 s26, s41
	s_cbranch_execnz .LBB64_90
.LBB64_27:                              ;   in Loop: Header=BB64_21 Depth=1
	s_or_b32 exec_lo, exec_lo, s26
	v_add_nc_u32_e32 v39, s19, v23
	s_and_saveexec_b32 s26, s42
	s_cbranch_execnz .LBB64_91
.LBB64_28:                              ;   in Loop: Header=BB64_21 Depth=1
	s_or_b32 exec_lo, exec_lo, s26
	v_add_nc_u32_e32 v40, s19, v24
	s_and_saveexec_b32 s19, s43
	s_cbranch_execnz .LBB64_92
.LBB64_29:                              ;   in Loop: Header=BB64_21 Depth=1
	s_or_b32 exec_lo, exec_lo, s19
	s_and_saveexec_b32 s19, s44
	s_cbranch_execnz .LBB64_93
.LBB64_30:                              ;   in Loop: Header=BB64_21 Depth=1
	s_or_b32 exec_lo, exec_lo, s19
	s_and_saveexec_b32 s19, s45
	s_cbranch_execnz .LBB64_94
.LBB64_31:                              ;   in Loop: Header=BB64_21 Depth=1
	s_or_b32 exec_lo, exec_lo, s19
	s_and_saveexec_b32 s19, s46
	s_cbranch_execnz .LBB64_95
.LBB64_32:                              ;   in Loop: Header=BB64_21 Depth=1
	s_or_b32 exec_lo, exec_lo, s19
	s_and_saveexec_b32 s19, s47
	s_cbranch_execnz .LBB64_96
.LBB64_33:                              ;   in Loop: Header=BB64_21 Depth=1
	s_or_b32 exec_lo, exec_lo, s19
	s_and_saveexec_b32 s19, s48
	s_cbranch_execnz .LBB64_97
.LBB64_34:                              ;   in Loop: Header=BB64_21 Depth=1
	s_or_b32 exec_lo, exec_lo, s19
	s_and_saveexec_b32 s19, s49
	s_cbranch_execnz .LBB64_98
.LBB64_35:                              ;   in Loop: Header=BB64_21 Depth=1
	s_or_b32 exec_lo, exec_lo, s19
	s_and_saveexec_b32 s19, s50
	s_cbranch_execnz .LBB64_99
.LBB64_36:                              ;   in Loop: Header=BB64_21 Depth=1
	s_or_b32 exec_lo, exec_lo, s19
	s_and_saveexec_b32 s19, s1
	s_cbranch_execnz .LBB64_100
.LBB64_37:                              ;   in Loop: Header=BB64_21 Depth=1
	s_or_b32 exec_lo, exec_lo, s19
	s_and_saveexec_b32 s19, s51
	s_cbranch_execnz .LBB64_101
.LBB64_38:                              ;   in Loop: Header=BB64_21 Depth=1
	s_or_b32 exec_lo, exec_lo, s19
	s_and_saveexec_b32 s19, s52
	s_cbranch_execnz .LBB64_102
.LBB64_39:                              ;   in Loop: Header=BB64_21 Depth=1
	s_or_b32 exec_lo, exec_lo, s19
	s_and_saveexec_b32 s19, s53
	s_cbranch_execnz .LBB64_103
.LBB64_40:                              ;   in Loop: Header=BB64_21 Depth=1
	s_or_b32 exec_lo, exec_lo, s19
	s_and_saveexec_b32 s19, s54
	s_cbranch_execnz .LBB64_104
.LBB64_41:                              ;   in Loop: Header=BB64_21 Depth=1
	s_or_b32 exec_lo, exec_lo, s19
	s_and_saveexec_b32 s19, s55
	s_cbranch_execnz .LBB64_105
.LBB64_42:                              ;   in Loop: Header=BB64_21 Depth=1
	s_or_b32 exec_lo, exec_lo, s19
	s_and_saveexec_b32 s19, s56
	s_cbranch_execnz .LBB64_106
.LBB64_43:                              ;   in Loop: Header=BB64_21 Depth=1
	s_or_b32 exec_lo, exec_lo, s19
	s_and_saveexec_b32 s19, s57
	s_cbranch_execnz .LBB64_107
.LBB64_44:                              ;   in Loop: Header=BB64_21 Depth=1
	s_or_b32 exec_lo, exec_lo, s19
	s_and_saveexec_b32 s19, s58
	s_cbranch_execnz .LBB64_108
.LBB64_45:                              ;   in Loop: Header=BB64_21 Depth=1
	s_or_b32 exec_lo, exec_lo, s19
	s_and_saveexec_b32 s19, s59
	s_cbranch_execnz .LBB64_109
.LBB64_46:                              ;   in Loop: Header=BB64_21 Depth=1
	s_or_b32 exec_lo, exec_lo, s19
	s_and_saveexec_b32 s19, s60
	s_cbranch_execnz .LBB64_110
.LBB64_47:                              ;   in Loop: Header=BB64_21 Depth=1
	s_or_b32 exec_lo, exec_lo, s19
	s_and_saveexec_b32 s19, s61
	s_cbranch_execnz .LBB64_111
.LBB64_48:                              ;   in Loop: Header=BB64_21 Depth=1
	s_or_b32 exec_lo, exec_lo, s19
	s_and_saveexec_b32 s19, s62
	s_cbranch_execnz .LBB64_112
.LBB64_49:                              ;   in Loop: Header=BB64_21 Depth=1
	s_or_b32 exec_lo, exec_lo, s19
	s_and_saveexec_b32 s19, s63
	s_cbranch_execnz .LBB64_113
.LBB64_50:                              ;   in Loop: Header=BB64_21 Depth=1
	s_or_b32 exec_lo, exec_lo, s19
	s_and_saveexec_b32 s19, s64
	s_cbranch_execnz .LBB64_114
.LBB64_51:                              ;   in Loop: Header=BB64_21 Depth=1
	s_or_b32 exec_lo, exec_lo, s19
	s_and_saveexec_b32 s19, s65
	s_cbranch_execnz .LBB64_115
.LBB64_52:                              ;   in Loop: Header=BB64_21 Depth=1
	s_or_b32 exec_lo, exec_lo, s19
	s_and_saveexec_b32 s19, s6
	s_cbranch_execnz .LBB64_116
.LBB64_53:                              ;   in Loop: Header=BB64_21 Depth=1
	s_or_b32 exec_lo, exec_lo, s19
	s_and_saveexec_b32 s19, s66
	s_cbranch_execnz .LBB64_117
.LBB64_54:                              ;   in Loop: Header=BB64_21 Depth=1
	s_or_b32 exec_lo, exec_lo, s19
	s_and_saveexec_b32 s19, s67
	s_cbranch_execnz .LBB64_118
.LBB64_55:                              ;   in Loop: Header=BB64_21 Depth=1
	s_or_b32 exec_lo, exec_lo, s19
	s_and_saveexec_b32 s19, s68
	s_cbranch_execnz .LBB64_119
.LBB64_56:                              ;   in Loop: Header=BB64_21 Depth=1
	s_or_b32 exec_lo, exec_lo, s19
	s_and_saveexec_b32 s19, s69
	s_cbranch_execnz .LBB64_120
.LBB64_57:                              ;   in Loop: Header=BB64_21 Depth=1
	s_or_b32 exec_lo, exec_lo, s19
	s_and_saveexec_b32 s19, s70
	s_cbranch_execnz .LBB64_121
.LBB64_58:                              ;   in Loop: Header=BB64_21 Depth=1
	s_or_b32 exec_lo, exec_lo, s19
	s_and_saveexec_b32 s19, s71
	s_cbranch_execnz .LBB64_122
.LBB64_59:                              ;   in Loop: Header=BB64_21 Depth=1
	s_or_b32 exec_lo, exec_lo, s19
	s_and_saveexec_b32 s19, s72
	s_cbranch_execnz .LBB64_123
.LBB64_60:                              ;   in Loop: Header=BB64_21 Depth=1
	s_or_b32 exec_lo, exec_lo, s19
	s_and_saveexec_b32 s19, s7
	s_cbranch_execnz .LBB64_124
.LBB64_61:                              ;   in Loop: Header=BB64_21 Depth=1
	s_or_b32 exec_lo, exec_lo, s19
	s_and_saveexec_b32 s19, s73
	s_cbranch_execnz .LBB64_125
.LBB64_62:                              ;   in Loop: Header=BB64_21 Depth=1
	s_or_b32 exec_lo, exec_lo, s19
	s_and_saveexec_b32 s19, s74
	s_cbranch_execnz .LBB64_126
.LBB64_63:                              ;   in Loop: Header=BB64_21 Depth=1
	s_or_b32 exec_lo, exec_lo, s19
	s_and_saveexec_b32 s19, s75
	s_cbranch_execnz .LBB64_127
.LBB64_64:                              ;   in Loop: Header=BB64_21 Depth=1
	s_or_b32 exec_lo, exec_lo, s19
	s_and_saveexec_b32 s19, s76
	s_cbranch_execnz .LBB64_128
.LBB64_65:                              ;   in Loop: Header=BB64_21 Depth=1
	s_or_b32 exec_lo, exec_lo, s19
	s_and_saveexec_b32 s19, s77
	s_cbranch_execnz .LBB64_129
.LBB64_66:                              ;   in Loop: Header=BB64_21 Depth=1
	s_or_b32 exec_lo, exec_lo, s19
	s_and_saveexec_b32 s19, s78
	s_cbranch_execnz .LBB64_130
.LBB64_67:                              ;   in Loop: Header=BB64_21 Depth=1
	s_or_b32 exec_lo, exec_lo, s19
	s_and_saveexec_b32 s19, s79
	s_cbranch_execnz .LBB64_131
.LBB64_68:                              ;   in Loop: Header=BB64_21 Depth=1
	s_or_b32 exec_lo, exec_lo, s19
	s_and_saveexec_b32 s19, s8
	s_cbranch_execnz .LBB64_132
.LBB64_69:                              ;   in Loop: Header=BB64_21 Depth=1
	s_or_b32 exec_lo, exec_lo, s19
	s_and_saveexec_b32 s19, s80
	s_cbranch_execnz .LBB64_133
.LBB64_70:                              ;   in Loop: Header=BB64_21 Depth=1
	s_or_b32 exec_lo, exec_lo, s19
	s_and_saveexec_b32 s19, s81
	s_cbranch_execnz .LBB64_134
.LBB64_71:                              ;   in Loop: Header=BB64_21 Depth=1
	s_or_b32 exec_lo, exec_lo, s19
	s_and_saveexec_b32 s19, s82
	s_cbranch_execnz .LBB64_135
.LBB64_72:                              ;   in Loop: Header=BB64_21 Depth=1
	s_or_b32 exec_lo, exec_lo, s19
	s_and_saveexec_b32 s19, s83
	s_cbranch_execnz .LBB64_136
.LBB64_73:                              ;   in Loop: Header=BB64_21 Depth=1
	s_or_b32 exec_lo, exec_lo, s19
	s_and_saveexec_b32 s19, s84
	s_cbranch_execnz .LBB64_137
.LBB64_74:                              ;   in Loop: Header=BB64_21 Depth=1
	s_or_b32 exec_lo, exec_lo, s19
	s_and_saveexec_b32 s19, s85
	s_cbranch_execnz .LBB64_138
.LBB64_75:                              ;   in Loop: Header=BB64_21 Depth=1
	s_or_b32 exec_lo, exec_lo, s19
	s_and_saveexec_b32 s19, s86
	s_cbranch_execnz .LBB64_139
.LBB64_76:                              ;   in Loop: Header=BB64_21 Depth=1
	s_or_b32 exec_lo, exec_lo, s19
	s_and_saveexec_b32 s19, s9
	s_cbranch_execnz .LBB64_140
.LBB64_77:                              ;   in Loop: Header=BB64_21 Depth=1
	s_or_b32 exec_lo, exec_lo, s19
	s_and_saveexec_b32 s19, s4
	s_cbranch_execnz .LBB64_141
.LBB64_78:                              ;   in Loop: Header=BB64_21 Depth=1
	s_or_b32 exec_lo, exec_lo, s19
	s_and_saveexec_b32 s19, s5
	s_cbranch_execnz .LBB64_142
.LBB64_79:                              ;   in Loop: Header=BB64_21 Depth=1
	s_or_b32 exec_lo, exec_lo, s19
	s_and_saveexec_b32 s19, s10
	s_cbranch_execnz .LBB64_143
.LBB64_80:                              ;   in Loop: Header=BB64_21 Depth=1
	s_or_b32 exec_lo, exec_lo, s19
	s_and_saveexec_b32 s19, s11
	s_cbranch_execnz .LBB64_144
.LBB64_81:                              ;   in Loop: Header=BB64_21 Depth=1
	s_or_b32 exec_lo, exec_lo, s19
	s_and_saveexec_b32 s19, s12
	s_cbranch_execnz .LBB64_145
.LBB64_82:                              ;   in Loop: Header=BB64_21 Depth=1
	s_or_b32 exec_lo, exec_lo, s19
	s_and_saveexec_b32 s19, s13
	s_cbranch_execnz .LBB64_146
.LBB64_83:                              ;   in Loop: Header=BB64_21 Depth=1
	s_or_b32 exec_lo, exec_lo, s19
	s_and_saveexec_b32 s19, s14
	s_cbranch_execnz .LBB64_147
.LBB64_84:                              ;   in Loop: Header=BB64_21 Depth=1
	s_or_b32 exec_lo, exec_lo, s19
	s_and_saveexec_b32 s19, s15
	s_cbranch_execz .LBB64_20
	s_branch .LBB64_148
.LBB64_85:                              ;   in Loop: Header=BB64_21 Depth=1
	v_add_nc_u32_e32 v35, s35, v32
	v_add_nc_u32_e32 v37, v0, v31
	v_ashrrev_i32_e32 v36, 31, v35
	v_ashrrev_i32_e32 v38, 31, v37
	v_lshlrev_b64 v[35:36], 3, v[35:36]
	v_lshlrev_b64 v[39:40], 2, v[37:38]
	v_lshlrev_b64 v[37:38], 3, v[37:38]
	v_add_co_u32 v35, s0, s22, v35
	v_add_co_ci_u32_e64 v36, null, s23, v36, s0
	v_add_co_u32 v39, s0, s24, v39
	v_add_co_ci_u32_e64 v40, null, s25, v40, s0
	global_load_dwordx2 v[35:36], v[35:36], off
	v_add_co_u32 v37, s0, s20, v37
	v_add_co_ci_u32_e64 v38, null, s21, v38, s0
	global_store_dword v[39:40], v34, off
	s_waitcnt vmcnt(0)
	global_store_dwordx2 v[37:38], v[35:36], off
	s_or_b32 exec_lo, exec_lo, s26
	v_add_nc_u32_e32 v33, s19, v18
	s_and_saveexec_b32 s26, s37
	s_cbranch_execz .LBB64_23
.LBB64_86:                              ;   in Loop: Header=BB64_21 Depth=1
	v_add3_u32 v35, v1, s35, 32
	v_add_nc_u32_e32 v36, s35, v9
	v_add3_u32 v37, v0, v31, 32
	v_cndmask_b32_e32 v35, v36, v35, vcc_lo
	v_ashrrev_i32_e32 v38, 31, v37
	v_ashrrev_i32_e32 v36, 31, v35
	v_lshlrev_b64 v[39:40], 2, v[37:38]
	v_lshlrev_b64 v[37:38], 3, v[37:38]
	;; [unrolled: 1-line block ×3, first 2 shown]
	v_add_co_u32 v35, s0, s22, v35
	v_add_co_ci_u32_e64 v36, null, s23, v36, s0
	v_add_co_u32 v39, s0, s24, v39
	v_add_co_ci_u32_e64 v40, null, s25, v40, s0
	global_load_dwordx2 v[35:36], v[35:36], off
	v_add_co_u32 v37, s0, s20, v37
	v_add_co_ci_u32_e64 v38, null, s21, v38, s0
	global_store_dword v[39:40], v33, off
	s_waitcnt vmcnt(0)
	global_store_dwordx2 v[37:38], v[35:36], off
	s_or_b32 exec_lo, exec_lo, s26
	v_add_nc_u32_e32 v35, s19, v19
	s_and_saveexec_b32 s26, s38
	s_cbranch_execz .LBB64_24
.LBB64_87:                              ;   in Loop: Header=BB64_21 Depth=1
	v_add3_u32 v36, v1, s35, 64
	v_add_nc_u32_e32 v37, s35, v8
	v_add3_u32 v38, v0, v31, 64
	v_cndmask_b32_e32 v36, v37, v36, vcc_lo
	v_ashrrev_i32_e32 v39, 31, v38
	v_ashrrev_i32_e32 v37, 31, v36
	v_lshlrev_b64 v[40:41], 2, v[38:39]
	v_lshlrev_b64 v[38:39], 3, v[38:39]
	;; [unrolled: 1-line block ×3, first 2 shown]
	v_add_co_u32 v36, s0, s22, v36
	v_add_co_ci_u32_e64 v37, null, s23, v37, s0
	v_add_co_u32 v40, s0, s24, v40
	v_add_co_ci_u32_e64 v41, null, s25, v41, s0
	global_load_dwordx2 v[36:37], v[36:37], off
	v_add_co_u32 v38, s0, s20, v38
	v_add_co_ci_u32_e64 v39, null, s21, v39, s0
	global_store_dword v[40:41], v35, off
	s_waitcnt vmcnt(0)
	global_store_dwordx2 v[38:39], v[36:37], off
	s_or_b32 exec_lo, exec_lo, s26
	v_add_nc_u32_e32 v36, s19, v20
	s_and_saveexec_b32 s26, s39
	s_cbranch_execz .LBB64_25
.LBB64_88:                              ;   in Loop: Header=BB64_21 Depth=1
	v_add3_u32 v37, v1, s35, 0x60
	v_add_nc_u32_e32 v38, s35, v7
	v_add3_u32 v39, v0, v31, 0x60
	v_cndmask_b32_e32 v37, v38, v37, vcc_lo
	v_ashrrev_i32_e32 v40, 31, v39
	v_ashrrev_i32_e32 v38, 31, v37
	v_lshlrev_b64 v[41:42], 2, v[39:40]
	v_lshlrev_b64 v[39:40], 3, v[39:40]
	;; [unrolled: 1-line block ×3, first 2 shown]
	v_add_co_u32 v37, s0, s22, v37
	v_add_co_ci_u32_e64 v38, null, s23, v38, s0
	v_add_co_u32 v41, s0, s24, v41
	v_add_co_ci_u32_e64 v42, null, s25, v42, s0
	global_load_dwordx2 v[37:38], v[37:38], off
	v_add_co_u32 v39, s0, s20, v39
	v_add_co_ci_u32_e64 v40, null, s21, v40, s0
	global_store_dword v[41:42], v36, off
	s_waitcnt vmcnt(0)
	global_store_dwordx2 v[39:40], v[37:38], off
	s_or_b32 exec_lo, exec_lo, s26
	v_add_nc_u32_e32 v37, s19, v21
	s_and_saveexec_b32 s26, s40
	s_cbranch_execz .LBB64_26
.LBB64_89:                              ;   in Loop: Header=BB64_21 Depth=1
	v_add3_u32 v38, v1, s35, 0x80
	v_add_nc_u32_e32 v39, s35, v6
	v_add3_u32 v40, v0, v31, 0x80
	v_cndmask_b32_e32 v38, v39, v38, vcc_lo
	v_ashrrev_i32_e32 v41, 31, v40
	v_ashrrev_i32_e32 v39, 31, v38
	v_lshlrev_b64 v[42:43], 2, v[40:41]
	v_lshlrev_b64 v[40:41], 3, v[40:41]
	;; [unrolled: 1-line block ×3, first 2 shown]
	v_add_co_u32 v38, s0, s22, v38
	v_add_co_ci_u32_e64 v39, null, s23, v39, s0
	v_add_co_u32 v42, s0, s24, v42
	v_add_co_ci_u32_e64 v43, null, s25, v43, s0
	global_load_dwordx2 v[38:39], v[38:39], off
	v_add_co_u32 v40, s0, s20, v40
	v_add_co_ci_u32_e64 v41, null, s21, v41, s0
	global_store_dword v[42:43], v37, off
	s_waitcnt vmcnt(0)
	global_store_dwordx2 v[40:41], v[38:39], off
	s_or_b32 exec_lo, exec_lo, s26
	v_add_nc_u32_e32 v38, s19, v22
	s_and_saveexec_b32 s26, s41
	s_cbranch_execz .LBB64_27
.LBB64_90:                              ;   in Loop: Header=BB64_21 Depth=1
	v_add3_u32 v39, v1, s35, 0xa0
	v_add_nc_u32_e32 v40, s35, v5
	v_add3_u32 v41, v0, v31, 0xa0
	v_cndmask_b32_e32 v39, v40, v39, vcc_lo
	v_ashrrev_i32_e32 v42, 31, v41
	v_ashrrev_i32_e32 v40, 31, v39
	v_lshlrev_b64 v[43:44], 2, v[41:42]
	v_lshlrev_b64 v[41:42], 3, v[41:42]
	;; [unrolled: 1-line block ×3, first 2 shown]
	v_add_co_u32 v39, s0, s22, v39
	v_add_co_ci_u32_e64 v40, null, s23, v40, s0
	v_add_co_u32 v43, s0, s24, v43
	v_add_co_ci_u32_e64 v44, null, s25, v44, s0
	global_load_dwordx2 v[39:40], v[39:40], off
	v_add_co_u32 v41, s0, s20, v41
	v_add_co_ci_u32_e64 v42, null, s21, v42, s0
	global_store_dword v[43:44], v38, off
	s_waitcnt vmcnt(0)
	global_store_dwordx2 v[41:42], v[39:40], off
	s_or_b32 exec_lo, exec_lo, s26
	v_add_nc_u32_e32 v39, s19, v23
	s_and_saveexec_b32 s26, s42
	s_cbranch_execz .LBB64_28
.LBB64_91:                              ;   in Loop: Header=BB64_21 Depth=1
	v_add3_u32 v40, v1, s35, 0xc0
	v_add_nc_u32_e32 v41, s35, v4
	v_add3_u32 v42, v0, v31, 0xc0
	v_cndmask_b32_e32 v40, v41, v40, vcc_lo
	v_ashrrev_i32_e32 v43, 31, v42
	v_ashrrev_i32_e32 v41, 31, v40
	v_lshlrev_b64 v[44:45], 2, v[42:43]
	v_lshlrev_b64 v[42:43], 3, v[42:43]
	;; [unrolled: 1-line block ×3, first 2 shown]
	v_add_co_u32 v40, s0, s22, v40
	v_add_co_ci_u32_e64 v41, null, s23, v41, s0
	v_add_co_u32 v44, s0, s24, v44
	v_add_co_ci_u32_e64 v45, null, s25, v45, s0
	global_load_dwordx2 v[40:41], v[40:41], off
	v_add_co_u32 v42, s0, s20, v42
	v_add_co_ci_u32_e64 v43, null, s21, v43, s0
	global_store_dword v[44:45], v39, off
	s_waitcnt vmcnt(0)
	global_store_dwordx2 v[42:43], v[40:41], off
	s_or_b32 exec_lo, exec_lo, s26
	v_add_nc_u32_e32 v40, s19, v24
	s_and_saveexec_b32 s19, s43
	s_cbranch_execz .LBB64_29
.LBB64_92:                              ;   in Loop: Header=BB64_21 Depth=1
	v_add3_u32 v41, v1, s35, 0xe0
	v_add_nc_u32_e32 v42, s35, v3
	v_add3_u32 v43, v0, v31, 0xe0
	v_cndmask_b32_e32 v41, v42, v41, vcc_lo
	v_ashrrev_i32_e32 v44, 31, v43
	v_ashrrev_i32_e32 v42, 31, v41
	v_lshlrev_b64 v[45:46], 2, v[43:44]
	v_lshlrev_b64 v[43:44], 3, v[43:44]
	;; [unrolled: 1-line block ×3, first 2 shown]
	v_add_co_u32 v41, s0, s22, v41
	v_add_co_ci_u32_e64 v42, null, s23, v42, s0
	v_add_co_u32 v45, s0, s24, v45
	v_add_co_ci_u32_e64 v46, null, s25, v46, s0
	global_load_dwordx2 v[41:42], v[41:42], off
	v_add_co_u32 v43, s0, s20, v43
	v_add_co_ci_u32_e64 v44, null, s21, v44, s0
	global_store_dword v[45:46], v40, off
	s_waitcnt vmcnt(0)
	global_store_dwordx2 v[43:44], v[41:42], off
	s_or_b32 exec_lo, exec_lo, s19
	s_and_saveexec_b32 s19, s44
	s_cbranch_execz .LBB64_30
.LBB64_93:                              ;   in Loop: Header=BB64_21 Depth=1
	v_add_nc_u32_e32 v41, s35, v10
	v_add3_u32 v42, v2, s35, 32
	v_add_nc_u32_e32 v43, v0, v30
	v_cndmask_b32_e32 v41, v42, v41, vcc_lo
	v_ashrrev_i32_e32 v44, 31, v43
	v_ashrrev_i32_e32 v42, 31, v41
	v_lshlrev_b64 v[45:46], 2, v[43:44]
	v_lshlrev_b64 v[43:44], 3, v[43:44]
	;; [unrolled: 1-line block ×3, first 2 shown]
	v_add_co_u32 v41, s0, s22, v41
	v_add_co_ci_u32_e64 v42, null, s23, v42, s0
	v_add_co_u32 v45, s0, s24, v45
	v_add_co_ci_u32_e64 v46, null, s25, v46, s0
	global_load_dwordx2 v[41:42], v[41:42], off
	v_add_co_u32 v43, s0, s20, v43
	v_add_co_ci_u32_e64 v44, null, s21, v44, s0
	global_store_dword v[45:46], v34, off
	s_waitcnt vmcnt(0)
	global_store_dwordx2 v[43:44], v[41:42], off
	s_or_b32 exec_lo, exec_lo, s19
	s_and_saveexec_b32 s19, s45
	s_cbranch_execz .LBB64_31
.LBB64_94:                              ;   in Loop: Header=BB64_21 Depth=1
	v_cndmask_b32_e32 v41, v9, v10, vcc_lo
	v_add3_u32 v43, v0, v30, 32
	v_add3_u32 v41, v41, s35, 32
	v_ashrrev_i32_e32 v44, 31, v43
	v_ashrrev_i32_e32 v42, 31, v41
	v_lshlrev_b64 v[45:46], 2, v[43:44]
	v_lshlrev_b64 v[43:44], 3, v[43:44]
	;; [unrolled: 1-line block ×3, first 2 shown]
	v_add_co_u32 v41, s0, s22, v41
	v_add_co_ci_u32_e64 v42, null, s23, v42, s0
	v_add_co_u32 v45, s0, s24, v45
	v_add_co_ci_u32_e64 v46, null, s25, v46, s0
	global_load_dwordx2 v[41:42], v[41:42], off
	v_add_co_u32 v43, s0, s20, v43
	v_add_co_ci_u32_e64 v44, null, s21, v44, s0
	global_store_dword v[45:46], v33, off
	s_waitcnt vmcnt(0)
	global_store_dwordx2 v[43:44], v[41:42], off
	s_or_b32 exec_lo, exec_lo, s19
	s_and_saveexec_b32 s19, s46
	s_cbranch_execz .LBB64_32
.LBB64_95:                              ;   in Loop: Header=BB64_21 Depth=1
	v_add3_u32 v41, v10, s35, 64
	v_add3_u32 v42, v8, s35, 32
	v_add3_u32 v43, v0, v30, 64
	v_cndmask_b32_e32 v41, v42, v41, vcc_lo
	v_ashrrev_i32_e32 v44, 31, v43
	v_ashrrev_i32_e32 v42, 31, v41
	v_lshlrev_b64 v[45:46], 2, v[43:44]
	v_lshlrev_b64 v[43:44], 3, v[43:44]
	;; [unrolled: 1-line block ×3, first 2 shown]
	v_add_co_u32 v41, s0, s22, v41
	v_add_co_ci_u32_e64 v42, null, s23, v42, s0
	v_add_co_u32 v45, s0, s24, v45
	v_add_co_ci_u32_e64 v46, null, s25, v46, s0
	global_load_dwordx2 v[41:42], v[41:42], off
	v_add_co_u32 v43, s0, s20, v43
	v_add_co_ci_u32_e64 v44, null, s21, v44, s0
	global_store_dword v[45:46], v35, off
	s_waitcnt vmcnt(0)
	global_store_dwordx2 v[43:44], v[41:42], off
	s_or_b32 exec_lo, exec_lo, s19
	s_and_saveexec_b32 s19, s47
	s_cbranch_execz .LBB64_33
.LBB64_96:                              ;   in Loop: Header=BB64_21 Depth=1
	v_add3_u32 v41, v10, s35, 0x60
	v_add3_u32 v42, v7, s35, 32
	;; [unrolled: 1-line block ×3, first 2 shown]
	v_cndmask_b32_e32 v41, v42, v41, vcc_lo
	v_ashrrev_i32_e32 v44, 31, v43
	v_ashrrev_i32_e32 v42, 31, v41
	v_lshlrev_b64 v[45:46], 2, v[43:44]
	v_lshlrev_b64 v[43:44], 3, v[43:44]
	;; [unrolled: 1-line block ×3, first 2 shown]
	v_add_co_u32 v41, s0, s22, v41
	v_add_co_ci_u32_e64 v42, null, s23, v42, s0
	v_add_co_u32 v45, s0, s24, v45
	v_add_co_ci_u32_e64 v46, null, s25, v46, s0
	global_load_dwordx2 v[41:42], v[41:42], off
	v_add_co_u32 v43, s0, s20, v43
	v_add_co_ci_u32_e64 v44, null, s21, v44, s0
	global_store_dword v[45:46], v36, off
	s_waitcnt vmcnt(0)
	global_store_dwordx2 v[43:44], v[41:42], off
	s_or_b32 exec_lo, exec_lo, s19
	s_and_saveexec_b32 s19, s48
	s_cbranch_execz .LBB64_34
.LBB64_97:                              ;   in Loop: Header=BB64_21 Depth=1
	v_add3_u32 v41, v10, s35, 0x80
	v_add3_u32 v42, v6, s35, 32
	;; [unrolled: 1-line block ×3, first 2 shown]
	v_cndmask_b32_e32 v41, v42, v41, vcc_lo
	v_ashrrev_i32_e32 v44, 31, v43
	v_ashrrev_i32_e32 v42, 31, v41
	v_lshlrev_b64 v[45:46], 2, v[43:44]
	v_lshlrev_b64 v[43:44], 3, v[43:44]
	;; [unrolled: 1-line block ×3, first 2 shown]
	v_add_co_u32 v41, s0, s22, v41
	v_add_co_ci_u32_e64 v42, null, s23, v42, s0
	v_add_co_u32 v45, s0, s24, v45
	v_add_co_ci_u32_e64 v46, null, s25, v46, s0
	global_load_dwordx2 v[41:42], v[41:42], off
	v_add_co_u32 v43, s0, s20, v43
	v_add_co_ci_u32_e64 v44, null, s21, v44, s0
	global_store_dword v[45:46], v37, off
	s_waitcnt vmcnt(0)
	global_store_dwordx2 v[43:44], v[41:42], off
	s_or_b32 exec_lo, exec_lo, s19
	s_and_saveexec_b32 s19, s49
	s_cbranch_execz .LBB64_35
.LBB64_98:                              ;   in Loop: Header=BB64_21 Depth=1
	v_add3_u32 v41, v10, s35, 0xa0
	v_add3_u32 v42, v5, s35, 32
	;; [unrolled: 1-line block ×3, first 2 shown]
	v_cndmask_b32_e32 v41, v42, v41, vcc_lo
	v_ashrrev_i32_e32 v44, 31, v43
	v_ashrrev_i32_e32 v42, 31, v41
	v_lshlrev_b64 v[45:46], 2, v[43:44]
	v_lshlrev_b64 v[43:44], 3, v[43:44]
	;; [unrolled: 1-line block ×3, first 2 shown]
	v_add_co_u32 v41, s0, s22, v41
	v_add_co_ci_u32_e64 v42, null, s23, v42, s0
	v_add_co_u32 v45, s0, s24, v45
	v_add_co_ci_u32_e64 v46, null, s25, v46, s0
	global_load_dwordx2 v[41:42], v[41:42], off
	v_add_co_u32 v43, s0, s20, v43
	v_add_co_ci_u32_e64 v44, null, s21, v44, s0
	global_store_dword v[45:46], v38, off
	s_waitcnt vmcnt(0)
	global_store_dwordx2 v[43:44], v[41:42], off
	s_or_b32 exec_lo, exec_lo, s19
	s_and_saveexec_b32 s19, s50
	s_cbranch_execz .LBB64_36
.LBB64_99:                              ;   in Loop: Header=BB64_21 Depth=1
	v_add3_u32 v41, v10, s35, 0xc0
	v_add3_u32 v42, v4, s35, 32
	;; [unrolled: 1-line block ×3, first 2 shown]
	v_cndmask_b32_e32 v41, v42, v41, vcc_lo
	v_ashrrev_i32_e32 v44, 31, v43
	v_ashrrev_i32_e32 v42, 31, v41
	v_lshlrev_b64 v[45:46], 2, v[43:44]
	v_lshlrev_b64 v[43:44], 3, v[43:44]
	v_lshlrev_b64 v[41:42], 3, v[41:42]
	v_add_co_u32 v41, s0, s22, v41
	v_add_co_ci_u32_e64 v42, null, s23, v42, s0
	v_add_co_u32 v45, s0, s24, v45
	v_add_co_ci_u32_e64 v46, null, s25, v46, s0
	global_load_dwordx2 v[41:42], v[41:42], off
	v_add_co_u32 v43, s0, s20, v43
	v_add_co_ci_u32_e64 v44, null, s21, v44, s0
	global_store_dword v[45:46], v39, off
	s_waitcnt vmcnt(0)
	global_store_dwordx2 v[43:44], v[41:42], off
	s_or_b32 exec_lo, exec_lo, s19
	s_and_saveexec_b32 s19, s1
	s_cbranch_execz .LBB64_37
.LBB64_100:                             ;   in Loop: Header=BB64_21 Depth=1
	v_add3_u32 v41, v10, s35, 0xe0
	v_add3_u32 v42, v3, s35, 32
	;; [unrolled: 1-line block ×3, first 2 shown]
	v_cndmask_b32_e32 v41, v42, v41, vcc_lo
	v_ashrrev_i32_e32 v44, 31, v43
	v_ashrrev_i32_e32 v42, 31, v41
	v_lshlrev_b64 v[45:46], 2, v[43:44]
	v_lshlrev_b64 v[43:44], 3, v[43:44]
	;; [unrolled: 1-line block ×3, first 2 shown]
	v_add_co_u32 v41, s0, s22, v41
	v_add_co_ci_u32_e64 v42, null, s23, v42, s0
	v_add_co_u32 v45, s0, s24, v45
	v_add_co_ci_u32_e64 v46, null, s25, v46, s0
	global_load_dwordx2 v[41:42], v[41:42], off
	v_add_co_u32 v43, s0, s20, v43
	v_add_co_ci_u32_e64 v44, null, s21, v44, s0
	global_store_dword v[45:46], v40, off
	s_waitcnt vmcnt(0)
	global_store_dwordx2 v[43:44], v[41:42], off
	s_or_b32 exec_lo, exec_lo, s19
	s_and_saveexec_b32 s19, s51
	s_cbranch_execz .LBB64_38
.LBB64_101:                             ;   in Loop: Header=BB64_21 Depth=1
	v_add_nc_u32_e32 v41, s35, v11
	v_add3_u32 v42, v2, s35, 64
	v_add_nc_u32_e32 v43, v0, v29
	v_cndmask_b32_e32 v41, v42, v41, vcc_lo
	v_ashrrev_i32_e32 v44, 31, v43
	v_ashrrev_i32_e32 v42, 31, v41
	v_lshlrev_b64 v[45:46], 2, v[43:44]
	v_lshlrev_b64 v[43:44], 3, v[43:44]
	;; [unrolled: 1-line block ×3, first 2 shown]
	v_add_co_u32 v41, s0, s22, v41
	v_add_co_ci_u32_e64 v42, null, s23, v42, s0
	v_add_co_u32 v45, s0, s24, v45
	v_add_co_ci_u32_e64 v46, null, s25, v46, s0
	global_load_dwordx2 v[41:42], v[41:42], off
	v_add_co_u32 v43, s0, s20, v43
	v_add_co_ci_u32_e64 v44, null, s21, v44, s0
	global_store_dword v[45:46], v34, off
	s_waitcnt vmcnt(0)
	global_store_dwordx2 v[43:44], v[41:42], off
	s_or_b32 exec_lo, exec_lo, s19
	s_and_saveexec_b32 s19, s52
	s_cbranch_execz .LBB64_39
.LBB64_102:                             ;   in Loop: Header=BB64_21 Depth=1
	v_add3_u32 v41, v11, s35, 32
	v_add3_u32 v42, v9, s35, 64
	;; [unrolled: 1-line block ×3, first 2 shown]
	v_cndmask_b32_e32 v41, v42, v41, vcc_lo
	v_ashrrev_i32_e32 v44, 31, v43
	v_ashrrev_i32_e32 v42, 31, v41
	v_lshlrev_b64 v[45:46], 2, v[43:44]
	v_lshlrev_b64 v[43:44], 3, v[43:44]
	;; [unrolled: 1-line block ×3, first 2 shown]
	v_add_co_u32 v41, s0, s22, v41
	v_add_co_ci_u32_e64 v42, null, s23, v42, s0
	v_add_co_u32 v45, s0, s24, v45
	v_add_co_ci_u32_e64 v46, null, s25, v46, s0
	global_load_dwordx2 v[41:42], v[41:42], off
	v_add_co_u32 v43, s0, s20, v43
	v_add_co_ci_u32_e64 v44, null, s21, v44, s0
	global_store_dword v[45:46], v33, off
	s_waitcnt vmcnt(0)
	global_store_dwordx2 v[43:44], v[41:42], off
	s_or_b32 exec_lo, exec_lo, s19
	s_and_saveexec_b32 s19, s53
	s_cbranch_execz .LBB64_40
.LBB64_103:                             ;   in Loop: Header=BB64_21 Depth=1
	v_cndmask_b32_e32 v41, v8, v11, vcc_lo
	v_add3_u32 v43, v0, v29, 64
	v_add3_u32 v41, v41, s35, 64
	v_ashrrev_i32_e32 v44, 31, v43
	v_ashrrev_i32_e32 v42, 31, v41
	v_lshlrev_b64 v[45:46], 2, v[43:44]
	v_lshlrev_b64 v[43:44], 3, v[43:44]
	;; [unrolled: 1-line block ×3, first 2 shown]
	v_add_co_u32 v41, s0, s22, v41
	v_add_co_ci_u32_e64 v42, null, s23, v42, s0
	v_add_co_u32 v45, s0, s24, v45
	v_add_co_ci_u32_e64 v46, null, s25, v46, s0
	global_load_dwordx2 v[41:42], v[41:42], off
	v_add_co_u32 v43, s0, s20, v43
	v_add_co_ci_u32_e64 v44, null, s21, v44, s0
	global_store_dword v[45:46], v35, off
	s_waitcnt vmcnt(0)
	global_store_dwordx2 v[43:44], v[41:42], off
	s_or_b32 exec_lo, exec_lo, s19
	s_and_saveexec_b32 s19, s54
	s_cbranch_execz .LBB64_41
.LBB64_104:                             ;   in Loop: Header=BB64_21 Depth=1
	v_add3_u32 v41, v11, s35, 0x60
	v_add3_u32 v42, v7, s35, 64
	;; [unrolled: 1-line block ×3, first 2 shown]
	v_cndmask_b32_e32 v41, v42, v41, vcc_lo
	v_ashrrev_i32_e32 v44, 31, v43
	v_ashrrev_i32_e32 v42, 31, v41
	v_lshlrev_b64 v[45:46], 2, v[43:44]
	v_lshlrev_b64 v[43:44], 3, v[43:44]
	;; [unrolled: 1-line block ×3, first 2 shown]
	v_add_co_u32 v41, s0, s22, v41
	v_add_co_ci_u32_e64 v42, null, s23, v42, s0
	v_add_co_u32 v45, s0, s24, v45
	v_add_co_ci_u32_e64 v46, null, s25, v46, s0
	global_load_dwordx2 v[41:42], v[41:42], off
	v_add_co_u32 v43, s0, s20, v43
	v_add_co_ci_u32_e64 v44, null, s21, v44, s0
	global_store_dword v[45:46], v36, off
	s_waitcnt vmcnt(0)
	global_store_dwordx2 v[43:44], v[41:42], off
	s_or_b32 exec_lo, exec_lo, s19
	s_and_saveexec_b32 s19, s55
	s_cbranch_execz .LBB64_42
.LBB64_105:                             ;   in Loop: Header=BB64_21 Depth=1
	v_add3_u32 v41, v11, s35, 0x80
	v_add3_u32 v42, v6, s35, 64
	;; [unrolled: 1-line block ×3, first 2 shown]
	v_cndmask_b32_e32 v41, v42, v41, vcc_lo
	v_ashrrev_i32_e32 v44, 31, v43
	v_ashrrev_i32_e32 v42, 31, v41
	v_lshlrev_b64 v[45:46], 2, v[43:44]
	v_lshlrev_b64 v[43:44], 3, v[43:44]
	v_lshlrev_b64 v[41:42], 3, v[41:42]
	v_add_co_u32 v41, s0, s22, v41
	v_add_co_ci_u32_e64 v42, null, s23, v42, s0
	v_add_co_u32 v45, s0, s24, v45
	v_add_co_ci_u32_e64 v46, null, s25, v46, s0
	global_load_dwordx2 v[41:42], v[41:42], off
	v_add_co_u32 v43, s0, s20, v43
	v_add_co_ci_u32_e64 v44, null, s21, v44, s0
	global_store_dword v[45:46], v37, off
	s_waitcnt vmcnt(0)
	global_store_dwordx2 v[43:44], v[41:42], off
	s_or_b32 exec_lo, exec_lo, s19
	s_and_saveexec_b32 s19, s56
	s_cbranch_execz .LBB64_43
.LBB64_106:                             ;   in Loop: Header=BB64_21 Depth=1
	v_add3_u32 v41, v11, s35, 0xa0
	v_add3_u32 v42, v5, s35, 64
	;; [unrolled: 1-line block ×3, first 2 shown]
	v_cndmask_b32_e32 v41, v42, v41, vcc_lo
	v_ashrrev_i32_e32 v44, 31, v43
	v_ashrrev_i32_e32 v42, 31, v41
	v_lshlrev_b64 v[45:46], 2, v[43:44]
	v_lshlrev_b64 v[43:44], 3, v[43:44]
	;; [unrolled: 1-line block ×3, first 2 shown]
	v_add_co_u32 v41, s0, s22, v41
	v_add_co_ci_u32_e64 v42, null, s23, v42, s0
	v_add_co_u32 v45, s0, s24, v45
	v_add_co_ci_u32_e64 v46, null, s25, v46, s0
	global_load_dwordx2 v[41:42], v[41:42], off
	v_add_co_u32 v43, s0, s20, v43
	v_add_co_ci_u32_e64 v44, null, s21, v44, s0
	global_store_dword v[45:46], v38, off
	s_waitcnt vmcnt(0)
	global_store_dwordx2 v[43:44], v[41:42], off
	s_or_b32 exec_lo, exec_lo, s19
	s_and_saveexec_b32 s19, s57
	s_cbranch_execz .LBB64_44
.LBB64_107:                             ;   in Loop: Header=BB64_21 Depth=1
	v_add3_u32 v41, v11, s35, 0xc0
	v_add3_u32 v42, v4, s35, 64
	;; [unrolled: 1-line block ×3, first 2 shown]
	v_cndmask_b32_e32 v41, v42, v41, vcc_lo
	v_ashrrev_i32_e32 v44, 31, v43
	v_ashrrev_i32_e32 v42, 31, v41
	v_lshlrev_b64 v[45:46], 2, v[43:44]
	v_lshlrev_b64 v[43:44], 3, v[43:44]
	;; [unrolled: 1-line block ×3, first 2 shown]
	v_add_co_u32 v41, s0, s22, v41
	v_add_co_ci_u32_e64 v42, null, s23, v42, s0
	v_add_co_u32 v45, s0, s24, v45
	v_add_co_ci_u32_e64 v46, null, s25, v46, s0
	global_load_dwordx2 v[41:42], v[41:42], off
	v_add_co_u32 v43, s0, s20, v43
	v_add_co_ci_u32_e64 v44, null, s21, v44, s0
	global_store_dword v[45:46], v39, off
	s_waitcnt vmcnt(0)
	global_store_dwordx2 v[43:44], v[41:42], off
	s_or_b32 exec_lo, exec_lo, s19
	s_and_saveexec_b32 s19, s58
	s_cbranch_execz .LBB64_45
.LBB64_108:                             ;   in Loop: Header=BB64_21 Depth=1
	v_add3_u32 v41, v11, s35, 0xe0
	v_add3_u32 v42, v3, s35, 64
	;; [unrolled: 1-line block ×3, first 2 shown]
	v_cndmask_b32_e32 v41, v42, v41, vcc_lo
	v_ashrrev_i32_e32 v44, 31, v43
	v_ashrrev_i32_e32 v42, 31, v41
	v_lshlrev_b64 v[45:46], 2, v[43:44]
	v_lshlrev_b64 v[43:44], 3, v[43:44]
	;; [unrolled: 1-line block ×3, first 2 shown]
	v_add_co_u32 v41, s0, s22, v41
	v_add_co_ci_u32_e64 v42, null, s23, v42, s0
	v_add_co_u32 v45, s0, s24, v45
	v_add_co_ci_u32_e64 v46, null, s25, v46, s0
	global_load_dwordx2 v[41:42], v[41:42], off
	v_add_co_u32 v43, s0, s20, v43
	v_add_co_ci_u32_e64 v44, null, s21, v44, s0
	global_store_dword v[45:46], v40, off
	s_waitcnt vmcnt(0)
	global_store_dwordx2 v[43:44], v[41:42], off
	s_or_b32 exec_lo, exec_lo, s19
	s_and_saveexec_b32 s19, s59
	s_cbranch_execz .LBB64_46
.LBB64_109:                             ;   in Loop: Header=BB64_21 Depth=1
	v_add_nc_u32_e32 v41, s35, v12
	v_add3_u32 v42, v2, s35, 0x60
	v_add_nc_u32_e32 v43, v0, v28
	v_cndmask_b32_e32 v41, v42, v41, vcc_lo
	v_ashrrev_i32_e32 v44, 31, v43
	v_ashrrev_i32_e32 v42, 31, v41
	v_lshlrev_b64 v[45:46], 2, v[43:44]
	v_lshlrev_b64 v[43:44], 3, v[43:44]
	;; [unrolled: 1-line block ×3, first 2 shown]
	v_add_co_u32 v41, s0, s22, v41
	v_add_co_ci_u32_e64 v42, null, s23, v42, s0
	v_add_co_u32 v45, s0, s24, v45
	v_add_co_ci_u32_e64 v46, null, s25, v46, s0
	global_load_dwordx2 v[41:42], v[41:42], off
	v_add_co_u32 v43, s0, s20, v43
	v_add_co_ci_u32_e64 v44, null, s21, v44, s0
	global_store_dword v[45:46], v34, off
	s_waitcnt vmcnt(0)
	global_store_dwordx2 v[43:44], v[41:42], off
	s_or_b32 exec_lo, exec_lo, s19
	s_and_saveexec_b32 s19, s60
	s_cbranch_execz .LBB64_47
.LBB64_110:                             ;   in Loop: Header=BB64_21 Depth=1
	v_add3_u32 v41, v12, s35, 32
	v_add3_u32 v42, v9, s35, 0x60
	;; [unrolled: 1-line block ×3, first 2 shown]
	v_cndmask_b32_e32 v41, v42, v41, vcc_lo
	v_ashrrev_i32_e32 v44, 31, v43
	v_ashrrev_i32_e32 v42, 31, v41
	v_lshlrev_b64 v[45:46], 2, v[43:44]
	v_lshlrev_b64 v[43:44], 3, v[43:44]
	;; [unrolled: 1-line block ×3, first 2 shown]
	v_add_co_u32 v41, s0, s22, v41
	v_add_co_ci_u32_e64 v42, null, s23, v42, s0
	v_add_co_u32 v45, s0, s24, v45
	v_add_co_ci_u32_e64 v46, null, s25, v46, s0
	global_load_dwordx2 v[41:42], v[41:42], off
	v_add_co_u32 v43, s0, s20, v43
	v_add_co_ci_u32_e64 v44, null, s21, v44, s0
	global_store_dword v[45:46], v33, off
	s_waitcnt vmcnt(0)
	global_store_dwordx2 v[43:44], v[41:42], off
	s_or_b32 exec_lo, exec_lo, s19
	s_and_saveexec_b32 s19, s61
	s_cbranch_execz .LBB64_48
.LBB64_111:                             ;   in Loop: Header=BB64_21 Depth=1
	v_add3_u32 v41, v12, s35, 64
	v_add3_u32 v42, v8, s35, 0x60
	;; [unrolled: 1-line block ×3, first 2 shown]
	v_cndmask_b32_e32 v41, v42, v41, vcc_lo
	v_ashrrev_i32_e32 v44, 31, v43
	v_ashrrev_i32_e32 v42, 31, v41
	v_lshlrev_b64 v[45:46], 2, v[43:44]
	v_lshlrev_b64 v[43:44], 3, v[43:44]
	;; [unrolled: 1-line block ×3, first 2 shown]
	v_add_co_u32 v41, s0, s22, v41
	v_add_co_ci_u32_e64 v42, null, s23, v42, s0
	v_add_co_u32 v45, s0, s24, v45
	v_add_co_ci_u32_e64 v46, null, s25, v46, s0
	global_load_dwordx2 v[41:42], v[41:42], off
	v_add_co_u32 v43, s0, s20, v43
	v_add_co_ci_u32_e64 v44, null, s21, v44, s0
	global_store_dword v[45:46], v35, off
	s_waitcnt vmcnt(0)
	global_store_dwordx2 v[43:44], v[41:42], off
	s_or_b32 exec_lo, exec_lo, s19
	s_and_saveexec_b32 s19, s62
	s_cbranch_execz .LBB64_49
.LBB64_112:                             ;   in Loop: Header=BB64_21 Depth=1
	v_cndmask_b32_e32 v41, v7, v12, vcc_lo
	v_add3_u32 v43, v0, v28, 0x60
	v_add3_u32 v41, v41, s35, 0x60
	v_ashrrev_i32_e32 v44, 31, v43
	v_ashrrev_i32_e32 v42, 31, v41
	v_lshlrev_b64 v[45:46], 2, v[43:44]
	v_lshlrev_b64 v[43:44], 3, v[43:44]
	;; [unrolled: 1-line block ×3, first 2 shown]
	v_add_co_u32 v41, s0, s22, v41
	v_add_co_ci_u32_e64 v42, null, s23, v42, s0
	v_add_co_u32 v45, s0, s24, v45
	v_add_co_ci_u32_e64 v46, null, s25, v46, s0
	global_load_dwordx2 v[41:42], v[41:42], off
	v_add_co_u32 v43, s0, s20, v43
	v_add_co_ci_u32_e64 v44, null, s21, v44, s0
	global_store_dword v[45:46], v36, off
	s_waitcnt vmcnt(0)
	global_store_dwordx2 v[43:44], v[41:42], off
	s_or_b32 exec_lo, exec_lo, s19
	s_and_saveexec_b32 s19, s63
	s_cbranch_execz .LBB64_50
.LBB64_113:                             ;   in Loop: Header=BB64_21 Depth=1
	v_add3_u32 v41, v12, s35, 0x80
	v_add3_u32 v42, v6, s35, 0x60
	;; [unrolled: 1-line block ×3, first 2 shown]
	v_cndmask_b32_e32 v41, v42, v41, vcc_lo
	v_ashrrev_i32_e32 v44, 31, v43
	v_ashrrev_i32_e32 v42, 31, v41
	v_lshlrev_b64 v[45:46], 2, v[43:44]
	v_lshlrev_b64 v[43:44], 3, v[43:44]
	;; [unrolled: 1-line block ×3, first 2 shown]
	v_add_co_u32 v41, s0, s22, v41
	v_add_co_ci_u32_e64 v42, null, s23, v42, s0
	v_add_co_u32 v45, s0, s24, v45
	v_add_co_ci_u32_e64 v46, null, s25, v46, s0
	global_load_dwordx2 v[41:42], v[41:42], off
	v_add_co_u32 v43, s0, s20, v43
	v_add_co_ci_u32_e64 v44, null, s21, v44, s0
	global_store_dword v[45:46], v37, off
	s_waitcnt vmcnt(0)
	global_store_dwordx2 v[43:44], v[41:42], off
	s_or_b32 exec_lo, exec_lo, s19
	s_and_saveexec_b32 s19, s64
	s_cbranch_execz .LBB64_51
.LBB64_114:                             ;   in Loop: Header=BB64_21 Depth=1
	v_add3_u32 v41, v12, s35, 0xa0
	v_add3_u32 v42, v5, s35, 0x60
	;; [unrolled: 1-line block ×3, first 2 shown]
	v_cndmask_b32_e32 v41, v42, v41, vcc_lo
	v_ashrrev_i32_e32 v44, 31, v43
	v_ashrrev_i32_e32 v42, 31, v41
	v_lshlrev_b64 v[45:46], 2, v[43:44]
	v_lshlrev_b64 v[43:44], 3, v[43:44]
	;; [unrolled: 1-line block ×3, first 2 shown]
	v_add_co_u32 v41, s0, s22, v41
	v_add_co_ci_u32_e64 v42, null, s23, v42, s0
	v_add_co_u32 v45, s0, s24, v45
	v_add_co_ci_u32_e64 v46, null, s25, v46, s0
	global_load_dwordx2 v[41:42], v[41:42], off
	v_add_co_u32 v43, s0, s20, v43
	v_add_co_ci_u32_e64 v44, null, s21, v44, s0
	global_store_dword v[45:46], v38, off
	s_waitcnt vmcnt(0)
	global_store_dwordx2 v[43:44], v[41:42], off
	s_or_b32 exec_lo, exec_lo, s19
	s_and_saveexec_b32 s19, s65
	s_cbranch_execz .LBB64_52
.LBB64_115:                             ;   in Loop: Header=BB64_21 Depth=1
	v_add3_u32 v41, v12, s35, 0xc0
	v_add3_u32 v42, v4, s35, 0x60
	;; [unrolled: 1-line block ×3, first 2 shown]
	v_cndmask_b32_e32 v41, v42, v41, vcc_lo
	v_ashrrev_i32_e32 v44, 31, v43
	v_ashrrev_i32_e32 v42, 31, v41
	v_lshlrev_b64 v[45:46], 2, v[43:44]
	v_lshlrev_b64 v[43:44], 3, v[43:44]
	;; [unrolled: 1-line block ×3, first 2 shown]
	v_add_co_u32 v41, s0, s22, v41
	v_add_co_ci_u32_e64 v42, null, s23, v42, s0
	v_add_co_u32 v45, s0, s24, v45
	v_add_co_ci_u32_e64 v46, null, s25, v46, s0
	global_load_dwordx2 v[41:42], v[41:42], off
	v_add_co_u32 v43, s0, s20, v43
	v_add_co_ci_u32_e64 v44, null, s21, v44, s0
	global_store_dword v[45:46], v39, off
	s_waitcnt vmcnt(0)
	global_store_dwordx2 v[43:44], v[41:42], off
	s_or_b32 exec_lo, exec_lo, s19
	s_and_saveexec_b32 s19, s6
	s_cbranch_execz .LBB64_53
.LBB64_116:                             ;   in Loop: Header=BB64_21 Depth=1
	v_add3_u32 v41, v12, s35, 0xe0
	v_add3_u32 v42, v3, s35, 0x60
	;; [unrolled: 1-line block ×3, first 2 shown]
	v_cndmask_b32_e32 v41, v42, v41, vcc_lo
	v_ashrrev_i32_e32 v44, 31, v43
	v_ashrrev_i32_e32 v42, 31, v41
	v_lshlrev_b64 v[45:46], 2, v[43:44]
	v_lshlrev_b64 v[43:44], 3, v[43:44]
	;; [unrolled: 1-line block ×3, first 2 shown]
	v_add_co_u32 v41, s0, s22, v41
	v_add_co_ci_u32_e64 v42, null, s23, v42, s0
	v_add_co_u32 v45, s0, s24, v45
	v_add_co_ci_u32_e64 v46, null, s25, v46, s0
	global_load_dwordx2 v[41:42], v[41:42], off
	v_add_co_u32 v43, s0, s20, v43
	v_add_co_ci_u32_e64 v44, null, s21, v44, s0
	global_store_dword v[45:46], v40, off
	s_waitcnt vmcnt(0)
	global_store_dwordx2 v[43:44], v[41:42], off
	s_or_b32 exec_lo, exec_lo, s19
	s_and_saveexec_b32 s19, s66
	s_cbranch_execz .LBB64_54
.LBB64_117:                             ;   in Loop: Header=BB64_21 Depth=1
	v_add_nc_u32_e32 v41, s35, v13
	v_add3_u32 v42, v2, s35, 0x80
	v_add_nc_u32_e32 v43, v0, v27
	v_cndmask_b32_e32 v41, v42, v41, vcc_lo
	v_ashrrev_i32_e32 v44, 31, v43
	v_ashrrev_i32_e32 v42, 31, v41
	v_lshlrev_b64 v[45:46], 2, v[43:44]
	v_lshlrev_b64 v[43:44], 3, v[43:44]
	;; [unrolled: 1-line block ×3, first 2 shown]
	v_add_co_u32 v41, s0, s22, v41
	v_add_co_ci_u32_e64 v42, null, s23, v42, s0
	v_add_co_u32 v45, s0, s24, v45
	v_add_co_ci_u32_e64 v46, null, s25, v46, s0
	global_load_dwordx2 v[41:42], v[41:42], off
	v_add_co_u32 v43, s0, s20, v43
	v_add_co_ci_u32_e64 v44, null, s21, v44, s0
	global_store_dword v[45:46], v34, off
	s_waitcnt vmcnt(0)
	global_store_dwordx2 v[43:44], v[41:42], off
	s_or_b32 exec_lo, exec_lo, s19
	s_and_saveexec_b32 s19, s67
	s_cbranch_execz .LBB64_55
.LBB64_118:                             ;   in Loop: Header=BB64_21 Depth=1
	v_add3_u32 v41, v13, s35, 32
	v_add3_u32 v42, v9, s35, 0x80
	;; [unrolled: 1-line block ×3, first 2 shown]
	v_cndmask_b32_e32 v41, v42, v41, vcc_lo
	v_ashrrev_i32_e32 v44, 31, v43
	v_ashrrev_i32_e32 v42, 31, v41
	v_lshlrev_b64 v[45:46], 2, v[43:44]
	v_lshlrev_b64 v[43:44], 3, v[43:44]
	v_lshlrev_b64 v[41:42], 3, v[41:42]
	v_add_co_u32 v41, s0, s22, v41
	v_add_co_ci_u32_e64 v42, null, s23, v42, s0
	v_add_co_u32 v45, s0, s24, v45
	v_add_co_ci_u32_e64 v46, null, s25, v46, s0
	global_load_dwordx2 v[41:42], v[41:42], off
	v_add_co_u32 v43, s0, s20, v43
	v_add_co_ci_u32_e64 v44, null, s21, v44, s0
	global_store_dword v[45:46], v33, off
	s_waitcnt vmcnt(0)
	global_store_dwordx2 v[43:44], v[41:42], off
	s_or_b32 exec_lo, exec_lo, s19
	s_and_saveexec_b32 s19, s68
	s_cbranch_execz .LBB64_56
.LBB64_119:                             ;   in Loop: Header=BB64_21 Depth=1
	v_add3_u32 v41, v13, s35, 64
	v_add3_u32 v42, v8, s35, 0x80
	;; [unrolled: 1-line block ×3, first 2 shown]
	v_cndmask_b32_e32 v41, v42, v41, vcc_lo
	v_ashrrev_i32_e32 v44, 31, v43
	v_ashrrev_i32_e32 v42, 31, v41
	v_lshlrev_b64 v[45:46], 2, v[43:44]
	v_lshlrev_b64 v[43:44], 3, v[43:44]
	;; [unrolled: 1-line block ×3, first 2 shown]
	v_add_co_u32 v41, s0, s22, v41
	v_add_co_ci_u32_e64 v42, null, s23, v42, s0
	v_add_co_u32 v45, s0, s24, v45
	v_add_co_ci_u32_e64 v46, null, s25, v46, s0
	global_load_dwordx2 v[41:42], v[41:42], off
	v_add_co_u32 v43, s0, s20, v43
	v_add_co_ci_u32_e64 v44, null, s21, v44, s0
	global_store_dword v[45:46], v35, off
	s_waitcnt vmcnt(0)
	global_store_dwordx2 v[43:44], v[41:42], off
	s_or_b32 exec_lo, exec_lo, s19
	s_and_saveexec_b32 s19, s69
	s_cbranch_execz .LBB64_57
.LBB64_120:                             ;   in Loop: Header=BB64_21 Depth=1
	v_add3_u32 v41, v13, s35, 0x60
	v_add3_u32 v42, v7, s35, 0x80
	;; [unrolled: 1-line block ×3, first 2 shown]
	v_cndmask_b32_e32 v41, v42, v41, vcc_lo
	v_ashrrev_i32_e32 v44, 31, v43
	v_ashrrev_i32_e32 v42, 31, v41
	v_lshlrev_b64 v[45:46], 2, v[43:44]
	v_lshlrev_b64 v[43:44], 3, v[43:44]
	;; [unrolled: 1-line block ×3, first 2 shown]
	v_add_co_u32 v41, s0, s22, v41
	v_add_co_ci_u32_e64 v42, null, s23, v42, s0
	v_add_co_u32 v45, s0, s24, v45
	v_add_co_ci_u32_e64 v46, null, s25, v46, s0
	global_load_dwordx2 v[41:42], v[41:42], off
	v_add_co_u32 v43, s0, s20, v43
	v_add_co_ci_u32_e64 v44, null, s21, v44, s0
	global_store_dword v[45:46], v36, off
	s_waitcnt vmcnt(0)
	global_store_dwordx2 v[43:44], v[41:42], off
	s_or_b32 exec_lo, exec_lo, s19
	s_and_saveexec_b32 s19, s70
	s_cbranch_execz .LBB64_58
.LBB64_121:                             ;   in Loop: Header=BB64_21 Depth=1
	v_cndmask_b32_e32 v41, v6, v13, vcc_lo
	v_add3_u32 v43, v0, v27, 0x80
	v_add3_u32 v41, v41, s35, 0x80
	v_ashrrev_i32_e32 v44, 31, v43
	v_ashrrev_i32_e32 v42, 31, v41
	v_lshlrev_b64 v[45:46], 2, v[43:44]
	v_lshlrev_b64 v[43:44], 3, v[43:44]
	;; [unrolled: 1-line block ×3, first 2 shown]
	v_add_co_u32 v41, s0, s22, v41
	v_add_co_ci_u32_e64 v42, null, s23, v42, s0
	v_add_co_u32 v45, s0, s24, v45
	v_add_co_ci_u32_e64 v46, null, s25, v46, s0
	global_load_dwordx2 v[41:42], v[41:42], off
	v_add_co_u32 v43, s0, s20, v43
	v_add_co_ci_u32_e64 v44, null, s21, v44, s0
	global_store_dword v[45:46], v37, off
	s_waitcnt vmcnt(0)
	global_store_dwordx2 v[43:44], v[41:42], off
	s_or_b32 exec_lo, exec_lo, s19
	s_and_saveexec_b32 s19, s71
	s_cbranch_execz .LBB64_59
.LBB64_122:                             ;   in Loop: Header=BB64_21 Depth=1
	v_add3_u32 v41, v13, s35, 0xa0
	v_add3_u32 v42, v5, s35, 0x80
	v_add3_u32 v43, v0, v27, 0xa0
	v_cndmask_b32_e32 v41, v42, v41, vcc_lo
	v_ashrrev_i32_e32 v44, 31, v43
	v_ashrrev_i32_e32 v42, 31, v41
	v_lshlrev_b64 v[45:46], 2, v[43:44]
	v_lshlrev_b64 v[43:44], 3, v[43:44]
	;; [unrolled: 1-line block ×3, first 2 shown]
	v_add_co_u32 v41, s0, s22, v41
	v_add_co_ci_u32_e64 v42, null, s23, v42, s0
	v_add_co_u32 v45, s0, s24, v45
	v_add_co_ci_u32_e64 v46, null, s25, v46, s0
	global_load_dwordx2 v[41:42], v[41:42], off
	v_add_co_u32 v43, s0, s20, v43
	v_add_co_ci_u32_e64 v44, null, s21, v44, s0
	global_store_dword v[45:46], v38, off
	s_waitcnt vmcnt(0)
	global_store_dwordx2 v[43:44], v[41:42], off
	s_or_b32 exec_lo, exec_lo, s19
	s_and_saveexec_b32 s19, s72
	s_cbranch_execz .LBB64_60
.LBB64_123:                             ;   in Loop: Header=BB64_21 Depth=1
	v_add3_u32 v41, v13, s35, 0xc0
	v_add3_u32 v42, v4, s35, 0x80
	;; [unrolled: 1-line block ×3, first 2 shown]
	v_cndmask_b32_e32 v41, v42, v41, vcc_lo
	v_ashrrev_i32_e32 v44, 31, v43
	v_ashrrev_i32_e32 v42, 31, v41
	v_lshlrev_b64 v[45:46], 2, v[43:44]
	v_lshlrev_b64 v[43:44], 3, v[43:44]
	;; [unrolled: 1-line block ×3, first 2 shown]
	v_add_co_u32 v41, s0, s22, v41
	v_add_co_ci_u32_e64 v42, null, s23, v42, s0
	v_add_co_u32 v45, s0, s24, v45
	v_add_co_ci_u32_e64 v46, null, s25, v46, s0
	global_load_dwordx2 v[41:42], v[41:42], off
	v_add_co_u32 v43, s0, s20, v43
	v_add_co_ci_u32_e64 v44, null, s21, v44, s0
	global_store_dword v[45:46], v39, off
	s_waitcnt vmcnt(0)
	global_store_dwordx2 v[43:44], v[41:42], off
	s_or_b32 exec_lo, exec_lo, s19
	s_and_saveexec_b32 s19, s7
	s_cbranch_execz .LBB64_61
.LBB64_124:                             ;   in Loop: Header=BB64_21 Depth=1
	v_add3_u32 v41, v13, s35, 0xe0
	v_add3_u32 v42, v3, s35, 0x80
	;; [unrolled: 1-line block ×3, first 2 shown]
	v_cndmask_b32_e32 v41, v42, v41, vcc_lo
	v_ashrrev_i32_e32 v44, 31, v43
	v_ashrrev_i32_e32 v42, 31, v41
	v_lshlrev_b64 v[45:46], 2, v[43:44]
	v_lshlrev_b64 v[43:44], 3, v[43:44]
	;; [unrolled: 1-line block ×3, first 2 shown]
	v_add_co_u32 v41, s0, s22, v41
	v_add_co_ci_u32_e64 v42, null, s23, v42, s0
	v_add_co_u32 v45, s0, s24, v45
	v_add_co_ci_u32_e64 v46, null, s25, v46, s0
	global_load_dwordx2 v[41:42], v[41:42], off
	v_add_co_u32 v43, s0, s20, v43
	v_add_co_ci_u32_e64 v44, null, s21, v44, s0
	global_store_dword v[45:46], v40, off
	s_waitcnt vmcnt(0)
	global_store_dwordx2 v[43:44], v[41:42], off
	s_or_b32 exec_lo, exec_lo, s19
	s_and_saveexec_b32 s19, s73
	s_cbranch_execz .LBB64_62
.LBB64_125:                             ;   in Loop: Header=BB64_21 Depth=1
	v_add_nc_u32_e32 v41, s35, v14
	v_add3_u32 v42, v2, s35, 0xa0
	v_add_nc_u32_e32 v43, v0, v26
	v_cndmask_b32_e32 v41, v42, v41, vcc_lo
	v_ashrrev_i32_e32 v44, 31, v43
	v_ashrrev_i32_e32 v42, 31, v41
	v_lshlrev_b64 v[45:46], 2, v[43:44]
	v_lshlrev_b64 v[43:44], 3, v[43:44]
	;; [unrolled: 1-line block ×3, first 2 shown]
	v_add_co_u32 v41, s0, s22, v41
	v_add_co_ci_u32_e64 v42, null, s23, v42, s0
	v_add_co_u32 v45, s0, s24, v45
	v_add_co_ci_u32_e64 v46, null, s25, v46, s0
	global_load_dwordx2 v[41:42], v[41:42], off
	v_add_co_u32 v43, s0, s20, v43
	v_add_co_ci_u32_e64 v44, null, s21, v44, s0
	global_store_dword v[45:46], v34, off
	s_waitcnt vmcnt(0)
	global_store_dwordx2 v[43:44], v[41:42], off
	s_or_b32 exec_lo, exec_lo, s19
	s_and_saveexec_b32 s19, s74
	s_cbranch_execz .LBB64_63
.LBB64_126:                             ;   in Loop: Header=BB64_21 Depth=1
	v_add3_u32 v41, v14, s35, 32
	v_add3_u32 v42, v9, s35, 0xa0
	;; [unrolled: 1-line block ×3, first 2 shown]
	v_cndmask_b32_e32 v41, v42, v41, vcc_lo
	v_ashrrev_i32_e32 v44, 31, v43
	v_ashrrev_i32_e32 v42, 31, v41
	v_lshlrev_b64 v[45:46], 2, v[43:44]
	v_lshlrev_b64 v[43:44], 3, v[43:44]
	;; [unrolled: 1-line block ×3, first 2 shown]
	v_add_co_u32 v41, s0, s22, v41
	v_add_co_ci_u32_e64 v42, null, s23, v42, s0
	v_add_co_u32 v45, s0, s24, v45
	v_add_co_ci_u32_e64 v46, null, s25, v46, s0
	global_load_dwordx2 v[41:42], v[41:42], off
	v_add_co_u32 v43, s0, s20, v43
	v_add_co_ci_u32_e64 v44, null, s21, v44, s0
	global_store_dword v[45:46], v33, off
	s_waitcnt vmcnt(0)
	global_store_dwordx2 v[43:44], v[41:42], off
	s_or_b32 exec_lo, exec_lo, s19
	s_and_saveexec_b32 s19, s75
	s_cbranch_execz .LBB64_64
.LBB64_127:                             ;   in Loop: Header=BB64_21 Depth=1
	v_add3_u32 v41, v14, s35, 64
	v_add3_u32 v42, v8, s35, 0xa0
	;; [unrolled: 1-line block ×3, first 2 shown]
	v_cndmask_b32_e32 v41, v42, v41, vcc_lo
	v_ashrrev_i32_e32 v44, 31, v43
	v_ashrrev_i32_e32 v42, 31, v41
	v_lshlrev_b64 v[45:46], 2, v[43:44]
	v_lshlrev_b64 v[43:44], 3, v[43:44]
	;; [unrolled: 1-line block ×3, first 2 shown]
	v_add_co_u32 v41, s0, s22, v41
	v_add_co_ci_u32_e64 v42, null, s23, v42, s0
	v_add_co_u32 v45, s0, s24, v45
	v_add_co_ci_u32_e64 v46, null, s25, v46, s0
	global_load_dwordx2 v[41:42], v[41:42], off
	v_add_co_u32 v43, s0, s20, v43
	v_add_co_ci_u32_e64 v44, null, s21, v44, s0
	global_store_dword v[45:46], v35, off
	s_waitcnt vmcnt(0)
	global_store_dwordx2 v[43:44], v[41:42], off
	s_or_b32 exec_lo, exec_lo, s19
	s_and_saveexec_b32 s19, s76
	s_cbranch_execz .LBB64_65
.LBB64_128:                             ;   in Loop: Header=BB64_21 Depth=1
	v_add3_u32 v41, v14, s35, 0x60
	v_add3_u32 v42, v7, s35, 0xa0
	;; [unrolled: 1-line block ×3, first 2 shown]
	v_cndmask_b32_e32 v41, v42, v41, vcc_lo
	v_ashrrev_i32_e32 v44, 31, v43
	v_ashrrev_i32_e32 v42, 31, v41
	v_lshlrev_b64 v[45:46], 2, v[43:44]
	v_lshlrev_b64 v[43:44], 3, v[43:44]
	;; [unrolled: 1-line block ×3, first 2 shown]
	v_add_co_u32 v41, s0, s22, v41
	v_add_co_ci_u32_e64 v42, null, s23, v42, s0
	v_add_co_u32 v45, s0, s24, v45
	v_add_co_ci_u32_e64 v46, null, s25, v46, s0
	global_load_dwordx2 v[41:42], v[41:42], off
	v_add_co_u32 v43, s0, s20, v43
	v_add_co_ci_u32_e64 v44, null, s21, v44, s0
	global_store_dword v[45:46], v36, off
	s_waitcnt vmcnt(0)
	global_store_dwordx2 v[43:44], v[41:42], off
	s_or_b32 exec_lo, exec_lo, s19
	s_and_saveexec_b32 s19, s77
	s_cbranch_execz .LBB64_66
.LBB64_129:                             ;   in Loop: Header=BB64_21 Depth=1
	v_add3_u32 v41, v14, s35, 0x80
	v_add3_u32 v42, v6, s35, 0xa0
	;; [unrolled: 1-line block ×3, first 2 shown]
	v_cndmask_b32_e32 v41, v42, v41, vcc_lo
	v_ashrrev_i32_e32 v44, 31, v43
	v_ashrrev_i32_e32 v42, 31, v41
	v_lshlrev_b64 v[45:46], 2, v[43:44]
	v_lshlrev_b64 v[43:44], 3, v[43:44]
	;; [unrolled: 1-line block ×3, first 2 shown]
	v_add_co_u32 v41, s0, s22, v41
	v_add_co_ci_u32_e64 v42, null, s23, v42, s0
	v_add_co_u32 v45, s0, s24, v45
	v_add_co_ci_u32_e64 v46, null, s25, v46, s0
	global_load_dwordx2 v[41:42], v[41:42], off
	v_add_co_u32 v43, s0, s20, v43
	v_add_co_ci_u32_e64 v44, null, s21, v44, s0
	global_store_dword v[45:46], v37, off
	s_waitcnt vmcnt(0)
	global_store_dwordx2 v[43:44], v[41:42], off
	s_or_b32 exec_lo, exec_lo, s19
	s_and_saveexec_b32 s19, s78
	s_cbranch_execz .LBB64_67
.LBB64_130:                             ;   in Loop: Header=BB64_21 Depth=1
	v_cndmask_b32_e32 v41, v5, v14, vcc_lo
	v_add3_u32 v43, v0, v26, 0xa0
	v_add3_u32 v41, v41, s35, 0xa0
	v_ashrrev_i32_e32 v44, 31, v43
	v_ashrrev_i32_e32 v42, 31, v41
	v_lshlrev_b64 v[45:46], 2, v[43:44]
	v_lshlrev_b64 v[43:44], 3, v[43:44]
	;; [unrolled: 1-line block ×3, first 2 shown]
	v_add_co_u32 v41, s0, s22, v41
	v_add_co_ci_u32_e64 v42, null, s23, v42, s0
	v_add_co_u32 v45, s0, s24, v45
	v_add_co_ci_u32_e64 v46, null, s25, v46, s0
	global_load_dwordx2 v[41:42], v[41:42], off
	v_add_co_u32 v43, s0, s20, v43
	v_add_co_ci_u32_e64 v44, null, s21, v44, s0
	global_store_dword v[45:46], v38, off
	s_waitcnt vmcnt(0)
	global_store_dwordx2 v[43:44], v[41:42], off
	s_or_b32 exec_lo, exec_lo, s19
	s_and_saveexec_b32 s19, s79
	s_cbranch_execz .LBB64_68
.LBB64_131:                             ;   in Loop: Header=BB64_21 Depth=1
	v_add3_u32 v41, v14, s35, 0xc0
	v_add3_u32 v42, v4, s35, 0xa0
	;; [unrolled: 1-line block ×3, first 2 shown]
	v_cndmask_b32_e32 v41, v42, v41, vcc_lo
	v_ashrrev_i32_e32 v44, 31, v43
	v_ashrrev_i32_e32 v42, 31, v41
	v_lshlrev_b64 v[45:46], 2, v[43:44]
	v_lshlrev_b64 v[43:44], 3, v[43:44]
	;; [unrolled: 1-line block ×3, first 2 shown]
	v_add_co_u32 v41, s0, s22, v41
	v_add_co_ci_u32_e64 v42, null, s23, v42, s0
	v_add_co_u32 v45, s0, s24, v45
	v_add_co_ci_u32_e64 v46, null, s25, v46, s0
	global_load_dwordx2 v[41:42], v[41:42], off
	v_add_co_u32 v43, s0, s20, v43
	v_add_co_ci_u32_e64 v44, null, s21, v44, s0
	global_store_dword v[45:46], v39, off
	s_waitcnt vmcnt(0)
	global_store_dwordx2 v[43:44], v[41:42], off
	s_or_b32 exec_lo, exec_lo, s19
	s_and_saveexec_b32 s19, s8
	s_cbranch_execz .LBB64_69
.LBB64_132:                             ;   in Loop: Header=BB64_21 Depth=1
	v_add3_u32 v41, v14, s35, 0xe0
	v_add3_u32 v42, v3, s35, 0xa0
	;; [unrolled: 1-line block ×3, first 2 shown]
	v_cndmask_b32_e32 v41, v42, v41, vcc_lo
	v_ashrrev_i32_e32 v44, 31, v43
	v_ashrrev_i32_e32 v42, 31, v41
	v_lshlrev_b64 v[45:46], 2, v[43:44]
	v_lshlrev_b64 v[43:44], 3, v[43:44]
	v_lshlrev_b64 v[41:42], 3, v[41:42]
	v_add_co_u32 v41, s0, s22, v41
	v_add_co_ci_u32_e64 v42, null, s23, v42, s0
	v_add_co_u32 v45, s0, s24, v45
	v_add_co_ci_u32_e64 v46, null, s25, v46, s0
	global_load_dwordx2 v[41:42], v[41:42], off
	v_add_co_u32 v43, s0, s20, v43
	v_add_co_ci_u32_e64 v44, null, s21, v44, s0
	global_store_dword v[45:46], v40, off
	s_waitcnt vmcnt(0)
	global_store_dwordx2 v[43:44], v[41:42], off
	s_or_b32 exec_lo, exec_lo, s19
	s_and_saveexec_b32 s19, s80
	s_cbranch_execz .LBB64_70
.LBB64_133:                             ;   in Loop: Header=BB64_21 Depth=1
	v_add_nc_u32_e32 v41, s35, v15
	v_add3_u32 v42, v2, s35, 0xc0
	v_add_nc_u32_e32 v43, v0, v25
	v_cndmask_b32_e32 v41, v42, v41, vcc_lo
	v_ashrrev_i32_e32 v44, 31, v43
	v_ashrrev_i32_e32 v42, 31, v41
	v_lshlrev_b64 v[45:46], 2, v[43:44]
	v_lshlrev_b64 v[43:44], 3, v[43:44]
	;; [unrolled: 1-line block ×3, first 2 shown]
	v_add_co_u32 v41, s0, s22, v41
	v_add_co_ci_u32_e64 v42, null, s23, v42, s0
	v_add_co_u32 v45, s0, s24, v45
	v_add_co_ci_u32_e64 v46, null, s25, v46, s0
	global_load_dwordx2 v[41:42], v[41:42], off
	v_add_co_u32 v43, s0, s20, v43
	v_add_co_ci_u32_e64 v44, null, s21, v44, s0
	global_store_dword v[45:46], v34, off
	s_waitcnt vmcnt(0)
	global_store_dwordx2 v[43:44], v[41:42], off
	s_or_b32 exec_lo, exec_lo, s19
	s_and_saveexec_b32 s19, s81
	s_cbranch_execz .LBB64_71
.LBB64_134:                             ;   in Loop: Header=BB64_21 Depth=1
	v_add3_u32 v41, v15, s35, 32
	v_add3_u32 v42, v9, s35, 0xc0
	;; [unrolled: 1-line block ×3, first 2 shown]
	v_cndmask_b32_e32 v41, v42, v41, vcc_lo
	v_ashrrev_i32_e32 v44, 31, v43
	v_ashrrev_i32_e32 v42, 31, v41
	v_lshlrev_b64 v[45:46], 2, v[43:44]
	v_lshlrev_b64 v[43:44], 3, v[43:44]
	;; [unrolled: 1-line block ×3, first 2 shown]
	v_add_co_u32 v41, s0, s22, v41
	v_add_co_ci_u32_e64 v42, null, s23, v42, s0
	v_add_co_u32 v45, s0, s24, v45
	v_add_co_ci_u32_e64 v46, null, s25, v46, s0
	global_load_dwordx2 v[41:42], v[41:42], off
	v_add_co_u32 v43, s0, s20, v43
	v_add_co_ci_u32_e64 v44, null, s21, v44, s0
	global_store_dword v[45:46], v33, off
	s_waitcnt vmcnt(0)
	global_store_dwordx2 v[43:44], v[41:42], off
	s_or_b32 exec_lo, exec_lo, s19
	s_and_saveexec_b32 s19, s82
	s_cbranch_execz .LBB64_72
.LBB64_135:                             ;   in Loop: Header=BB64_21 Depth=1
	v_add3_u32 v41, v15, s35, 64
	v_add3_u32 v42, v8, s35, 0xc0
	v_add3_u32 v43, v0, v25, 64
	v_cndmask_b32_e32 v41, v42, v41, vcc_lo
	v_ashrrev_i32_e32 v44, 31, v43
	v_ashrrev_i32_e32 v42, 31, v41
	v_lshlrev_b64 v[45:46], 2, v[43:44]
	v_lshlrev_b64 v[43:44], 3, v[43:44]
	;; [unrolled: 1-line block ×3, first 2 shown]
	v_add_co_u32 v41, s0, s22, v41
	v_add_co_ci_u32_e64 v42, null, s23, v42, s0
	v_add_co_u32 v45, s0, s24, v45
	v_add_co_ci_u32_e64 v46, null, s25, v46, s0
	global_load_dwordx2 v[41:42], v[41:42], off
	v_add_co_u32 v43, s0, s20, v43
	v_add_co_ci_u32_e64 v44, null, s21, v44, s0
	global_store_dword v[45:46], v35, off
	s_waitcnt vmcnt(0)
	global_store_dwordx2 v[43:44], v[41:42], off
	s_or_b32 exec_lo, exec_lo, s19
	s_and_saveexec_b32 s19, s83
	s_cbranch_execz .LBB64_73
.LBB64_136:                             ;   in Loop: Header=BB64_21 Depth=1
	v_add3_u32 v41, v15, s35, 0x60
	v_add3_u32 v42, v7, s35, 0xc0
	;; [unrolled: 1-line block ×3, first 2 shown]
	v_cndmask_b32_e32 v41, v42, v41, vcc_lo
	v_ashrrev_i32_e32 v44, 31, v43
	v_ashrrev_i32_e32 v42, 31, v41
	v_lshlrev_b64 v[45:46], 2, v[43:44]
	v_lshlrev_b64 v[43:44], 3, v[43:44]
	;; [unrolled: 1-line block ×3, first 2 shown]
	v_add_co_u32 v41, s0, s22, v41
	v_add_co_ci_u32_e64 v42, null, s23, v42, s0
	v_add_co_u32 v45, s0, s24, v45
	v_add_co_ci_u32_e64 v46, null, s25, v46, s0
	global_load_dwordx2 v[41:42], v[41:42], off
	v_add_co_u32 v43, s0, s20, v43
	v_add_co_ci_u32_e64 v44, null, s21, v44, s0
	global_store_dword v[45:46], v36, off
	s_waitcnt vmcnt(0)
	global_store_dwordx2 v[43:44], v[41:42], off
	s_or_b32 exec_lo, exec_lo, s19
	s_and_saveexec_b32 s19, s84
	s_cbranch_execz .LBB64_74
.LBB64_137:                             ;   in Loop: Header=BB64_21 Depth=1
	v_add3_u32 v41, v15, s35, 0x80
	v_add3_u32 v42, v6, s35, 0xc0
	;; [unrolled: 1-line block ×3, first 2 shown]
	v_cndmask_b32_e32 v41, v42, v41, vcc_lo
	v_ashrrev_i32_e32 v44, 31, v43
	v_ashrrev_i32_e32 v42, 31, v41
	v_lshlrev_b64 v[45:46], 2, v[43:44]
	v_lshlrev_b64 v[43:44], 3, v[43:44]
	;; [unrolled: 1-line block ×3, first 2 shown]
	v_add_co_u32 v41, s0, s22, v41
	v_add_co_ci_u32_e64 v42, null, s23, v42, s0
	v_add_co_u32 v45, s0, s24, v45
	v_add_co_ci_u32_e64 v46, null, s25, v46, s0
	global_load_dwordx2 v[41:42], v[41:42], off
	v_add_co_u32 v43, s0, s20, v43
	v_add_co_ci_u32_e64 v44, null, s21, v44, s0
	global_store_dword v[45:46], v37, off
	s_waitcnt vmcnt(0)
	global_store_dwordx2 v[43:44], v[41:42], off
	s_or_b32 exec_lo, exec_lo, s19
	s_and_saveexec_b32 s19, s85
	s_cbranch_execz .LBB64_75
.LBB64_138:                             ;   in Loop: Header=BB64_21 Depth=1
	v_add3_u32 v41, v15, s35, 0xa0
	v_add3_u32 v42, v5, s35, 0xc0
	;; [unrolled: 1-line block ×3, first 2 shown]
	v_cndmask_b32_e32 v41, v42, v41, vcc_lo
	v_ashrrev_i32_e32 v44, 31, v43
	v_ashrrev_i32_e32 v42, 31, v41
	v_lshlrev_b64 v[45:46], 2, v[43:44]
	v_lshlrev_b64 v[43:44], 3, v[43:44]
	;; [unrolled: 1-line block ×3, first 2 shown]
	v_add_co_u32 v41, s0, s22, v41
	v_add_co_ci_u32_e64 v42, null, s23, v42, s0
	v_add_co_u32 v45, s0, s24, v45
	v_add_co_ci_u32_e64 v46, null, s25, v46, s0
	global_load_dwordx2 v[41:42], v[41:42], off
	v_add_co_u32 v43, s0, s20, v43
	v_add_co_ci_u32_e64 v44, null, s21, v44, s0
	global_store_dword v[45:46], v38, off
	s_waitcnt vmcnt(0)
	global_store_dwordx2 v[43:44], v[41:42], off
	s_or_b32 exec_lo, exec_lo, s19
	s_and_saveexec_b32 s19, s86
	s_cbranch_execz .LBB64_76
.LBB64_139:                             ;   in Loop: Header=BB64_21 Depth=1
	v_cndmask_b32_e32 v41, v4, v15, vcc_lo
	v_add3_u32 v43, v0, v25, 0xc0
	v_add3_u32 v41, v41, s35, 0xc0
	v_ashrrev_i32_e32 v44, 31, v43
	v_ashrrev_i32_e32 v42, 31, v41
	v_lshlrev_b64 v[45:46], 2, v[43:44]
	v_lshlrev_b64 v[43:44], 3, v[43:44]
	;; [unrolled: 1-line block ×3, first 2 shown]
	v_add_co_u32 v41, s0, s22, v41
	v_add_co_ci_u32_e64 v42, null, s23, v42, s0
	v_add_co_u32 v45, s0, s24, v45
	v_add_co_ci_u32_e64 v46, null, s25, v46, s0
	global_load_dwordx2 v[41:42], v[41:42], off
	v_add_co_u32 v43, s0, s20, v43
	v_add_co_ci_u32_e64 v44, null, s21, v44, s0
	global_store_dword v[45:46], v39, off
	s_waitcnt vmcnt(0)
	global_store_dwordx2 v[43:44], v[41:42], off
	s_or_b32 exec_lo, exec_lo, s19
	s_and_saveexec_b32 s19, s9
	s_cbranch_execz .LBB64_77
.LBB64_140:                             ;   in Loop: Header=BB64_21 Depth=1
	v_add3_u32 v41, v15, s35, 0xe0
	v_add3_u32 v42, v3, s35, 0xc0
	;; [unrolled: 1-line block ×3, first 2 shown]
	v_cndmask_b32_e32 v41, v42, v41, vcc_lo
	v_ashrrev_i32_e32 v44, 31, v43
	v_ashrrev_i32_e32 v42, 31, v41
	v_lshlrev_b64 v[45:46], 2, v[43:44]
	v_lshlrev_b64 v[43:44], 3, v[43:44]
	v_lshlrev_b64 v[41:42], 3, v[41:42]
	v_add_co_u32 v41, s0, s22, v41
	v_add_co_ci_u32_e64 v42, null, s23, v42, s0
	v_add_co_u32 v45, s0, s24, v45
	v_add_co_ci_u32_e64 v46, null, s25, v46, s0
	global_load_dwordx2 v[41:42], v[41:42], off
	v_add_co_u32 v43, s0, s20, v43
	v_add_co_ci_u32_e64 v44, null, s21, v44, s0
	global_store_dword v[45:46], v40, off
	s_waitcnt vmcnt(0)
	global_store_dwordx2 v[43:44], v[41:42], off
	s_or_b32 exec_lo, exec_lo, s19
	s_and_saveexec_b32 s19, s4
	s_cbranch_execz .LBB64_78
.LBB64_141:                             ;   in Loop: Header=BB64_21 Depth=1
	v_add_nc_u32_e32 v41, s35, v16
	v_add3_u32 v42, v2, s35, 0xe0
	v_add_nc_u32_e32 v43, v0, v17
	v_cndmask_b32_e32 v41, v42, v41, vcc_lo
	v_ashrrev_i32_e32 v44, 31, v43
	v_ashrrev_i32_e32 v42, 31, v41
	v_lshlrev_b64 v[45:46], 2, v[43:44]
	v_lshlrev_b64 v[43:44], 3, v[43:44]
	;; [unrolled: 1-line block ×3, first 2 shown]
	v_add_co_u32 v41, s0, s22, v41
	v_add_co_ci_u32_e64 v42, null, s23, v42, s0
	v_add_co_u32 v45, s0, s24, v45
	v_add_co_ci_u32_e64 v46, null, s25, v46, s0
	global_load_dwordx2 v[41:42], v[41:42], off
	v_add_co_u32 v43, s0, s20, v43
	v_add_co_ci_u32_e64 v44, null, s21, v44, s0
	global_store_dword v[45:46], v34, off
	s_waitcnt vmcnt(0)
	global_store_dwordx2 v[43:44], v[41:42], off
	s_or_b32 exec_lo, exec_lo, s19
	s_and_saveexec_b32 s19, s5
	s_cbranch_execz .LBB64_79
.LBB64_142:                             ;   in Loop: Header=BB64_21 Depth=1
	v_add3_u32 v34, v16, s35, 32
	v_add3_u32 v41, v9, s35, 0xe0
	;; [unrolled: 1-line block ×3, first 2 shown]
	v_cndmask_b32_e32 v41, v41, v34, vcc_lo
	v_ashrrev_i32_e32 v44, 31, v43
	v_ashrrev_i32_e32 v42, 31, v41
	v_lshlrev_b64 v[45:46], 2, v[43:44]
	v_lshlrev_b64 v[43:44], 3, v[43:44]
	;; [unrolled: 1-line block ×3, first 2 shown]
	v_add_co_u32 v41, s0, s22, v41
	v_add_co_ci_u32_e64 v42, null, s23, v42, s0
	v_add_co_u32 v45, s0, s24, v45
	v_add_co_ci_u32_e64 v46, null, s25, v46, s0
	global_load_dwordx2 v[41:42], v[41:42], off
	v_add_co_u32 v43, s0, s20, v43
	v_add_co_ci_u32_e64 v44, null, s21, v44, s0
	global_store_dword v[45:46], v33, off
	s_waitcnt vmcnt(0)
	global_store_dwordx2 v[43:44], v[41:42], off
	s_or_b32 exec_lo, exec_lo, s19
	s_and_saveexec_b32 s19, s10
	s_cbranch_execz .LBB64_80
.LBB64_143:                             ;   in Loop: Header=BB64_21 Depth=1
	v_add3_u32 v33, v16, s35, 64
	v_add3_u32 v34, v8, s35, 0xe0
	;; [unrolled: 1-line block ×3, first 2 shown]
	v_cndmask_b32_e32 v33, v34, v33, vcc_lo
	v_ashrrev_i32_e32 v42, 31, v41
	v_ashrrev_i32_e32 v34, 31, v33
	v_lshlrev_b64 v[43:44], 2, v[41:42]
	v_lshlrev_b64 v[41:42], 3, v[41:42]
	;; [unrolled: 1-line block ×3, first 2 shown]
	v_add_co_u32 v33, s0, s22, v33
	v_add_co_ci_u32_e64 v34, null, s23, v34, s0
	v_add_co_u32 v43, s0, s24, v43
	v_add_co_ci_u32_e64 v44, null, s25, v44, s0
	global_load_dwordx2 v[33:34], v[33:34], off
	v_add_co_u32 v41, s0, s20, v41
	v_add_co_ci_u32_e64 v42, null, s21, v42, s0
	global_store_dword v[43:44], v35, off
	s_waitcnt vmcnt(0)
	global_store_dwordx2 v[41:42], v[33:34], off
	s_or_b32 exec_lo, exec_lo, s19
	s_and_saveexec_b32 s19, s11
	s_cbranch_execz .LBB64_81
.LBB64_144:                             ;   in Loop: Header=BB64_21 Depth=1
	v_add3_u32 v33, v16, s35, 0x60
	v_add3_u32 v34, v7, s35, 0xe0
	;; [unrolled: 1-line block ×3, first 2 shown]
	v_cndmask_b32_e32 v33, v34, v33, vcc_lo
	v_ashrrev_i32_e32 v42, 31, v41
	v_ashrrev_i32_e32 v34, 31, v33
	v_lshlrev_b64 v[43:44], 2, v[41:42]
	v_lshlrev_b64 v[41:42], 3, v[41:42]
	;; [unrolled: 1-line block ×3, first 2 shown]
	v_add_co_u32 v33, s0, s22, v33
	v_add_co_ci_u32_e64 v34, null, s23, v34, s0
	v_add_co_u32 v43, s0, s24, v43
	v_add_co_ci_u32_e64 v44, null, s25, v44, s0
	global_load_dwordx2 v[33:34], v[33:34], off
	v_add_co_u32 v41, s0, s20, v41
	v_add_co_ci_u32_e64 v42, null, s21, v42, s0
	global_store_dword v[43:44], v36, off
	s_waitcnt vmcnt(0)
	global_store_dwordx2 v[41:42], v[33:34], off
	s_or_b32 exec_lo, exec_lo, s19
	s_and_saveexec_b32 s19, s12
	s_cbranch_execz .LBB64_82
.LBB64_145:                             ;   in Loop: Header=BB64_21 Depth=1
	v_add3_u32 v33, v16, s35, 0x80
	v_add3_u32 v34, v6, s35, 0xe0
	;; [unrolled: 1-line block ×3, first 2 shown]
	v_cndmask_b32_e32 v33, v34, v33, vcc_lo
	v_ashrrev_i32_e32 v36, 31, v35
	v_ashrrev_i32_e32 v34, 31, v33
	v_lshlrev_b64 v[41:42], 2, v[35:36]
	v_lshlrev_b64 v[35:36], 3, v[35:36]
	;; [unrolled: 1-line block ×3, first 2 shown]
	v_add_co_u32 v33, s0, s22, v33
	v_add_co_ci_u32_e64 v34, null, s23, v34, s0
	v_add_co_u32 v41, s0, s24, v41
	v_add_co_ci_u32_e64 v42, null, s25, v42, s0
	global_load_dwordx2 v[33:34], v[33:34], off
	v_add_co_u32 v35, s0, s20, v35
	v_add_co_ci_u32_e64 v36, null, s21, v36, s0
	global_store_dword v[41:42], v37, off
	s_waitcnt vmcnt(0)
	global_store_dwordx2 v[35:36], v[33:34], off
	s_or_b32 exec_lo, exec_lo, s19
	s_and_saveexec_b32 s19, s13
	s_cbranch_execz .LBB64_83
.LBB64_146:                             ;   in Loop: Header=BB64_21 Depth=1
	v_add3_u32 v33, v16, s35, 0xa0
	v_add3_u32 v34, v5, s35, 0xe0
	;; [unrolled: 1-line block ×3, first 2 shown]
	v_cndmask_b32_e32 v33, v34, v33, vcc_lo
	v_ashrrev_i32_e32 v36, 31, v35
	v_ashrrev_i32_e32 v34, 31, v33
	v_lshlrev_b64 v[41:42], 2, v[35:36]
	v_lshlrev_b64 v[35:36], 3, v[35:36]
	v_lshlrev_b64 v[33:34], 3, v[33:34]
	v_add_co_u32 v33, s0, s22, v33
	v_add_co_ci_u32_e64 v34, null, s23, v34, s0
	v_add_co_u32 v41, s0, s24, v41
	v_add_co_ci_u32_e64 v42, null, s25, v42, s0
	global_load_dwordx2 v[33:34], v[33:34], off
	v_add_co_u32 v35, s0, s20, v35
	v_add_co_ci_u32_e64 v36, null, s21, v36, s0
	global_store_dword v[41:42], v38, off
	s_waitcnt vmcnt(0)
	global_store_dwordx2 v[35:36], v[33:34], off
	s_or_b32 exec_lo, exec_lo, s19
	s_and_saveexec_b32 s19, s14
	s_cbranch_execz .LBB64_84
.LBB64_147:                             ;   in Loop: Header=BB64_21 Depth=1
	v_add3_u32 v33, v16, s35, 0xc0
	v_add3_u32 v34, v4, s35, 0xe0
	;; [unrolled: 1-line block ×3, first 2 shown]
	v_cndmask_b32_e32 v33, v34, v33, vcc_lo
	v_ashrrev_i32_e32 v36, 31, v35
	v_ashrrev_i32_e32 v34, 31, v33
	v_lshlrev_b64 v[37:38], 2, v[35:36]
	v_lshlrev_b64 v[35:36], 3, v[35:36]
	;; [unrolled: 1-line block ×3, first 2 shown]
	v_add_co_u32 v33, s0, s22, v33
	v_add_co_ci_u32_e64 v34, null, s23, v34, s0
	v_add_co_u32 v37, s0, s24, v37
	v_add_co_ci_u32_e64 v38, null, s25, v38, s0
	global_load_dwordx2 v[33:34], v[33:34], off
	v_add_co_u32 v35, s0, s20, v35
	v_add_co_ci_u32_e64 v36, null, s21, v36, s0
	global_store_dword v[37:38], v39, off
	s_waitcnt vmcnt(0)
	global_store_dwordx2 v[35:36], v[33:34], off
	s_or_b32 exec_lo, exec_lo, s19
	s_and_saveexec_b32 s19, s15
	s_cbranch_execz .LBB64_20
.LBB64_148:                             ;   in Loop: Header=BB64_21 Depth=1
	v_cndmask_b32_e32 v33, v3, v16, vcc_lo
	v_add3_u32 v35, v0, v17, 0xe0
	v_add3_u32 v33, v33, s35, 0xe0
	v_ashrrev_i32_e32 v36, 31, v35
	v_ashrrev_i32_e32 v34, 31, v33
	v_lshlrev_b64 v[37:38], 2, v[35:36]
	v_lshlrev_b64 v[35:36], 3, v[35:36]
	;; [unrolled: 1-line block ×3, first 2 shown]
	v_add_co_u32 v33, s0, s22, v33
	v_add_co_ci_u32_e64 v34, null, s23, v34, s0
	v_add_co_u32 v37, s0, s24, v37
	v_add_co_ci_u32_e64 v38, null, s25, v38, s0
	global_load_dwordx2 v[33:34], v[33:34], off
	v_add_co_u32 v35, s0, s20, v35
	v_add_co_ci_u32_e64 v36, null, s21, v36, s0
	global_store_dword v[37:38], v40, off
	s_waitcnt vmcnt(0)
	global_store_dwordx2 v[35:36], v[33:34], off
	s_branch .LBB64_20
.LBB64_149:
	s_endpgm
	.section	.rodata,"a",@progbits
	.p2align	6, 0x0
	.amdhsa_kernel _ZN9rocsparseL35bsr2csr_block_per_row_33_256_kernelILj1024ELj256ELj32EliiEEv20rocsparse_direction_T4_S2_21rocsparse_index_base_PKT2_PKT3_PKS2_S2_S3_PS4_PS7_PS2_
		.amdhsa_group_segment_fixed_size 0
		.amdhsa_private_segment_fixed_size 0
		.amdhsa_kernarg_size 72
		.amdhsa_user_sgpr_count 6
		.amdhsa_user_sgpr_private_segment_buffer 1
		.amdhsa_user_sgpr_dispatch_ptr 0
		.amdhsa_user_sgpr_queue_ptr 0
		.amdhsa_user_sgpr_kernarg_segment_ptr 1
		.amdhsa_user_sgpr_dispatch_id 0
		.amdhsa_user_sgpr_flat_scratch_init 0
		.amdhsa_user_sgpr_private_segment_size 0
		.amdhsa_wavefront_size32 1
		.amdhsa_uses_dynamic_stack 0
		.amdhsa_system_sgpr_private_segment_wavefront_offset 0
		.amdhsa_system_sgpr_workgroup_id_x 1
		.amdhsa_system_sgpr_workgroup_id_y 0
		.amdhsa_system_sgpr_workgroup_id_z 0
		.amdhsa_system_sgpr_workgroup_info 0
		.amdhsa_system_vgpr_workitem_id 0
		.amdhsa_next_free_vgpr 47
		.amdhsa_next_free_sgpr 87
		.amdhsa_reserve_vcc 1
		.amdhsa_reserve_flat_scratch 0
		.amdhsa_float_round_mode_32 0
		.amdhsa_float_round_mode_16_64 0
		.amdhsa_float_denorm_mode_32 3
		.amdhsa_float_denorm_mode_16_64 3
		.amdhsa_dx10_clamp 1
		.amdhsa_ieee_mode 1
		.amdhsa_fp16_overflow 0
		.amdhsa_workgroup_processor_mode 1
		.amdhsa_memory_ordered 1
		.amdhsa_forward_progress 1
		.amdhsa_shared_vgpr_count 0
		.amdhsa_exception_fp_ieee_invalid_op 0
		.amdhsa_exception_fp_denorm_src 0
		.amdhsa_exception_fp_ieee_div_zero 0
		.amdhsa_exception_fp_ieee_overflow 0
		.amdhsa_exception_fp_ieee_underflow 0
		.amdhsa_exception_fp_ieee_inexact 0
		.amdhsa_exception_int_div_zero 0
	.end_amdhsa_kernel
	.section	.text._ZN9rocsparseL35bsr2csr_block_per_row_33_256_kernelILj1024ELj256ELj32EliiEEv20rocsparse_direction_T4_S2_21rocsparse_index_base_PKT2_PKT3_PKS2_S2_S3_PS4_PS7_PS2_,"axG",@progbits,_ZN9rocsparseL35bsr2csr_block_per_row_33_256_kernelILj1024ELj256ELj32EliiEEv20rocsparse_direction_T4_S2_21rocsparse_index_base_PKT2_PKT3_PKS2_S2_S3_PS4_PS7_PS2_,comdat
.Lfunc_end64:
	.size	_ZN9rocsparseL35bsr2csr_block_per_row_33_256_kernelILj1024ELj256ELj32EliiEEv20rocsparse_direction_T4_S2_21rocsparse_index_base_PKT2_PKT3_PKS2_S2_S3_PS4_PS7_PS2_, .Lfunc_end64-_ZN9rocsparseL35bsr2csr_block_per_row_33_256_kernelILj1024ELj256ELj32EliiEEv20rocsparse_direction_T4_S2_21rocsparse_index_base_PKT2_PKT3_PKS2_S2_S3_PS4_PS7_PS2_
                                        ; -- End function
	.set _ZN9rocsparseL35bsr2csr_block_per_row_33_256_kernelILj1024ELj256ELj32EliiEEv20rocsparse_direction_T4_S2_21rocsparse_index_base_PKT2_PKT3_PKS2_S2_S3_PS4_PS7_PS2_.num_vgpr, 47
	.set _ZN9rocsparseL35bsr2csr_block_per_row_33_256_kernelILj1024ELj256ELj32EliiEEv20rocsparse_direction_T4_S2_21rocsparse_index_base_PKT2_PKT3_PKS2_S2_S3_PS4_PS7_PS2_.num_agpr, 0
	.set _ZN9rocsparseL35bsr2csr_block_per_row_33_256_kernelILj1024ELj256ELj32EliiEEv20rocsparse_direction_T4_S2_21rocsparse_index_base_PKT2_PKT3_PKS2_S2_S3_PS4_PS7_PS2_.numbered_sgpr, 87
	.set _ZN9rocsparseL35bsr2csr_block_per_row_33_256_kernelILj1024ELj256ELj32EliiEEv20rocsparse_direction_T4_S2_21rocsparse_index_base_PKT2_PKT3_PKS2_S2_S3_PS4_PS7_PS2_.num_named_barrier, 0
	.set _ZN9rocsparseL35bsr2csr_block_per_row_33_256_kernelILj1024ELj256ELj32EliiEEv20rocsparse_direction_T4_S2_21rocsparse_index_base_PKT2_PKT3_PKS2_S2_S3_PS4_PS7_PS2_.private_seg_size, 0
	.set _ZN9rocsparseL35bsr2csr_block_per_row_33_256_kernelILj1024ELj256ELj32EliiEEv20rocsparse_direction_T4_S2_21rocsparse_index_base_PKT2_PKT3_PKS2_S2_S3_PS4_PS7_PS2_.uses_vcc, 1
	.set _ZN9rocsparseL35bsr2csr_block_per_row_33_256_kernelILj1024ELj256ELj32EliiEEv20rocsparse_direction_T4_S2_21rocsparse_index_base_PKT2_PKT3_PKS2_S2_S3_PS4_PS7_PS2_.uses_flat_scratch, 0
	.set _ZN9rocsparseL35bsr2csr_block_per_row_33_256_kernelILj1024ELj256ELj32EliiEEv20rocsparse_direction_T4_S2_21rocsparse_index_base_PKT2_PKT3_PKS2_S2_S3_PS4_PS7_PS2_.has_dyn_sized_stack, 0
	.set _ZN9rocsparseL35bsr2csr_block_per_row_33_256_kernelILj1024ELj256ELj32EliiEEv20rocsparse_direction_T4_S2_21rocsparse_index_base_PKT2_PKT3_PKS2_S2_S3_PS4_PS7_PS2_.has_recursion, 0
	.set _ZN9rocsparseL35bsr2csr_block_per_row_33_256_kernelILj1024ELj256ELj32EliiEEv20rocsparse_direction_T4_S2_21rocsparse_index_base_PKT2_PKT3_PKS2_S2_S3_PS4_PS7_PS2_.has_indirect_call, 0
	.section	.AMDGPU.csdata,"",@progbits
; Kernel info:
; codeLenInByte = 12416
; TotalNumSgprs: 89
; NumVgprs: 47
; ScratchSize: 0
; MemoryBound: 0
; FloatMode: 240
; IeeeMode: 1
; LDSByteSize: 0 bytes/workgroup (compile time only)
; SGPRBlocks: 0
; VGPRBlocks: 5
; NumSGPRsForWavesPerEU: 89
; NumVGPRsForWavesPerEU: 47
; Occupancy: 16
; WaveLimiterHint : 1
; COMPUTE_PGM_RSRC2:SCRATCH_EN: 0
; COMPUTE_PGM_RSRC2:USER_SGPR: 6
; COMPUTE_PGM_RSRC2:TRAP_HANDLER: 0
; COMPUTE_PGM_RSRC2:TGID_X_EN: 1
; COMPUTE_PGM_RSRC2:TGID_Y_EN: 0
; COMPUTE_PGM_RSRC2:TGID_Z_EN: 0
; COMPUTE_PGM_RSRC2:TIDIG_COMP_CNT: 0
	.section	.text._ZN9rocsparseL35bsr2csr_block_dim_equals_one_kernelILj1024ElliEEvT2_S1_21rocsparse_index_base_PKT0_PKT1_PKS1_S2_PS3_PS6_PS1_,"axG",@progbits,_ZN9rocsparseL35bsr2csr_block_dim_equals_one_kernelILj1024ElliEEvT2_S1_21rocsparse_index_base_PKT0_PKT1_PKS1_S2_PS3_PS6_PS1_,comdat
	.globl	_ZN9rocsparseL35bsr2csr_block_dim_equals_one_kernelILj1024ElliEEvT2_S1_21rocsparse_index_base_PKT0_PKT1_PKS1_S2_PS3_PS6_PS1_ ; -- Begin function _ZN9rocsparseL35bsr2csr_block_dim_equals_one_kernelILj1024ElliEEvT2_S1_21rocsparse_index_base_PKT0_PKT1_PKS1_S2_PS3_PS6_PS1_
	.p2align	8
	.type	_ZN9rocsparseL35bsr2csr_block_dim_equals_one_kernelILj1024ElliEEvT2_S1_21rocsparse_index_base_PKT0_PKT1_PKS1_S2_PS3_PS6_PS1_,@function
_ZN9rocsparseL35bsr2csr_block_dim_equals_one_kernelILj1024ElliEEvT2_S1_21rocsparse_index_base_PKT0_PKT1_PKS1_S2_PS3_PS6_PS1_: ; @_ZN9rocsparseL35bsr2csr_block_dim_equals_one_kernelILj1024ElliEEvT2_S1_21rocsparse_index_base_PKT0_PKT1_PKS1_S2_PS3_PS6_PS1_
; %bb.0:
	s_clause 0x1
	s_load_dword s12, s[4:5], 0x0
	s_load_dwordx2 s[0:1], s[4:5], 0x18
	s_lshl_b32 s18, s6, 10
	s_mov_b32 s2, exec_lo
	v_or_b32_e32 v1, s18, v0
	v_ashrrev_i32_e32 v2, 31, v1
	s_waitcnt lgkmcnt(0)
	v_cmpx_le_i32_e64 s12, v1
	s_xor_b32 s2, exec_lo, s2
	s_or_saveexec_b32 s13, s2
	s_clause 0x5
	s_load_dwordx2 s[2:3], s[4:5], 0x40
	s_load_dwordx2 s[6:7], s[4:5], 0x30
	;; [unrolled: 1-line block ×4, first 2 shown]
	s_load_dword s19, s[4:5], 0x28
	s_load_dword s20, s[4:5], 0x8
	s_xor_b32 exec_lo, exec_lo, s13
	s_cbranch_execz .LBB65_6
; %bb.1:
	s_load_dwordx2 s[14:15], s[4:5], 0x38
	s_mov_b32 s21, exec_lo
                                        ; implicit-def: $sgpr16_sgpr17
	v_cmpx_ne_u32_e32 0, v1
	s_xor_b32 s21, exec_lo, s21
	s_cbranch_execz .LBB65_3
; %bb.2:
	s_waitcnt lgkmcnt(0)
	s_sub_u32 s16, s19, s20
	s_subb_u32 s17, 0, 0
.LBB65_3:
	s_or_saveexec_b32 s21, s21
	v_mov_b32_e32 v3, s16
	v_mov_b32_e32 v4, s17
	s_xor_b32 exec_lo, exec_lo, s21
	s_cbranch_execz .LBB65_5
; %bb.4:
	s_load_dwordx2 s[16:17], s[0:1], 0x0
	s_waitcnt lgkmcnt(0)
	s_sub_u32 s22, s19, s20
	s_subb_u32 s23, 0, 0
	v_mov_b32_e32 v3, s22
	v_mov_b32_e32 v7, 0
	;; [unrolled: 1-line block ×3, first 2 shown]
	s_add_u32 s16, s22, s16
	s_addc_u32 s17, s23, s17
	v_mov_b32_e32 v5, s16
	v_mov_b32_e32 v6, s17
	global_store_dwordx2 v7, v[5:6], s[14:15]
.LBB65_5:
	s_or_b32 exec_lo, exec_lo, s21
	v_lshlrev_b64 v[5:6], 3, v[1:2]
	v_add_co_u32 v7, vcc_lo, s0, v5
	v_add_co_ci_u32_e64 v8, null, s1, v6, vcc_lo
	global_load_dwordx2 v[7:8], v[7:8], off offset:8
	s_waitcnt vmcnt(0)
	v_add_co_u32 v3, vcc_lo, v3, v7
	v_add_co_ci_u32_e64 v4, null, v4, v8, vcc_lo
	s_waitcnt lgkmcnt(0)
	v_add_co_u32 v5, vcc_lo, s14, v5
	v_add_co_ci_u32_e64 v6, null, s15, v6, vcc_lo
	global_store_dwordx2 v[5:6], v[3:4], off offset:8
.LBB65_6:
	s_or_b32 exec_lo, exec_lo, s13
	s_ashr_i32 s13, s12, 31
	s_lshl_b64 s[12:13], s[12:13], 3
	s_add_u32 s12, s0, s12
	s_addc_u32 s13, s1, s13
	s_clause 0x1
	s_load_dwordx2 s[12:13], s[12:13], 0x0
	s_load_dwordx2 s[0:1], s[0:1], 0x0
	s_waitcnt lgkmcnt(0)
	s_sub_u32 s12, s12, s0
	s_subb_u32 s13, s13, s1
	s_mov_b32 s0, exec_lo
	v_cmpx_gt_i64_e64 s[12:13], v[1:2]
	s_cbranch_execz .LBB65_9
; %bb.7:
	s_load_dword s0, s[4:5], 0x48
	s_sub_i32 s4, s19, s20
	s_mov_b32 s5, 0
	s_waitcnt lgkmcnt(0)
	s_lshl_b32 s1, s0, 10
	v_add3_u32 v3, s1, s18, v0
	s_inst_prefetch 0x1
	.p2align	6
.LBB65_8:                               ; =>This Inner Loop Header: Depth=1
	v_lshlrev_b64 v[5:6], 2, v[1:2]
	v_lshlrev_b64 v[7:8], 3, v[1:2]
	v_ashrrev_i32_e32 v4, 31, v3
	v_add_co_u32 v0, vcc_lo, s10, v5
	v_add_co_ci_u32_e64 v1, null, s11, v6, vcc_lo
	v_add_co_u32 v9, vcc_lo, s8, v7
	v_add_co_ci_u32_e64 v10, null, s9, v8, vcc_lo
	global_load_dword v0, v[0:1], off
	global_load_dwordx2 v[9:10], v[9:10], off
	v_mov_b32_e32 v1, v3
	v_mov_b32_e32 v2, v4
	v_cmp_le_i64_e32 vcc_lo, s[12:13], v[3:4]
	v_add_co_u32 v4, s0, s2, v5
	v_add_co_ci_u32_e64 v5, null, s3, v6, s0
	v_add_co_u32 v6, s0, s6, v7
	v_add_co_ci_u32_e64 v7, null, s7, v8, s0
	v_add_nc_u32_e32 v3, s1, v3
	s_or_b32 s5, vcc_lo, s5
	s_waitcnt vmcnt(1)
	v_add_nc_u32_e32 v0, s4, v0
	s_waitcnt vmcnt(0)
	global_store_dwordx2 v[6:7], v[9:10], off
	global_store_dword v[4:5], v0, off
	s_andn2_b32 exec_lo, exec_lo, s5
	s_cbranch_execnz .LBB65_8
.LBB65_9:
	s_inst_prefetch 0x2
	s_endpgm
	.section	.rodata,"a",@progbits
	.p2align	6, 0x0
	.amdhsa_kernel _ZN9rocsparseL35bsr2csr_block_dim_equals_one_kernelILj1024ElliEEvT2_S1_21rocsparse_index_base_PKT0_PKT1_PKS1_S2_PS3_PS6_PS1_
		.amdhsa_group_segment_fixed_size 0
		.amdhsa_private_segment_fixed_size 0
		.amdhsa_kernarg_size 328
		.amdhsa_user_sgpr_count 6
		.amdhsa_user_sgpr_private_segment_buffer 1
		.amdhsa_user_sgpr_dispatch_ptr 0
		.amdhsa_user_sgpr_queue_ptr 0
		.amdhsa_user_sgpr_kernarg_segment_ptr 1
		.amdhsa_user_sgpr_dispatch_id 0
		.amdhsa_user_sgpr_flat_scratch_init 0
		.amdhsa_user_sgpr_private_segment_size 0
		.amdhsa_wavefront_size32 1
		.amdhsa_uses_dynamic_stack 0
		.amdhsa_system_sgpr_private_segment_wavefront_offset 0
		.amdhsa_system_sgpr_workgroup_id_x 1
		.amdhsa_system_sgpr_workgroup_id_y 0
		.amdhsa_system_sgpr_workgroup_id_z 0
		.amdhsa_system_sgpr_workgroup_info 0
		.amdhsa_system_vgpr_workitem_id 0
		.amdhsa_next_free_vgpr 11
		.amdhsa_next_free_sgpr 24
		.amdhsa_reserve_vcc 1
		.amdhsa_reserve_flat_scratch 0
		.amdhsa_float_round_mode_32 0
		.amdhsa_float_round_mode_16_64 0
		.amdhsa_float_denorm_mode_32 3
		.amdhsa_float_denorm_mode_16_64 3
		.amdhsa_dx10_clamp 1
		.amdhsa_ieee_mode 1
		.amdhsa_fp16_overflow 0
		.amdhsa_workgroup_processor_mode 1
		.amdhsa_memory_ordered 1
		.amdhsa_forward_progress 1
		.amdhsa_shared_vgpr_count 0
		.amdhsa_exception_fp_ieee_invalid_op 0
		.amdhsa_exception_fp_denorm_src 0
		.amdhsa_exception_fp_ieee_div_zero 0
		.amdhsa_exception_fp_ieee_overflow 0
		.amdhsa_exception_fp_ieee_underflow 0
		.amdhsa_exception_fp_ieee_inexact 0
		.amdhsa_exception_int_div_zero 0
	.end_amdhsa_kernel
	.section	.text._ZN9rocsparseL35bsr2csr_block_dim_equals_one_kernelILj1024ElliEEvT2_S1_21rocsparse_index_base_PKT0_PKT1_PKS1_S2_PS3_PS6_PS1_,"axG",@progbits,_ZN9rocsparseL35bsr2csr_block_dim_equals_one_kernelILj1024ElliEEvT2_S1_21rocsparse_index_base_PKT0_PKT1_PKS1_S2_PS3_PS6_PS1_,comdat
.Lfunc_end65:
	.size	_ZN9rocsparseL35bsr2csr_block_dim_equals_one_kernelILj1024ElliEEvT2_S1_21rocsparse_index_base_PKT0_PKT1_PKS1_S2_PS3_PS6_PS1_, .Lfunc_end65-_ZN9rocsparseL35bsr2csr_block_dim_equals_one_kernelILj1024ElliEEvT2_S1_21rocsparse_index_base_PKT0_PKT1_PKS1_S2_PS3_PS6_PS1_
                                        ; -- End function
	.set _ZN9rocsparseL35bsr2csr_block_dim_equals_one_kernelILj1024ElliEEvT2_S1_21rocsparse_index_base_PKT0_PKT1_PKS1_S2_PS3_PS6_PS1_.num_vgpr, 11
	.set _ZN9rocsparseL35bsr2csr_block_dim_equals_one_kernelILj1024ElliEEvT2_S1_21rocsparse_index_base_PKT0_PKT1_PKS1_S2_PS3_PS6_PS1_.num_agpr, 0
	.set _ZN9rocsparseL35bsr2csr_block_dim_equals_one_kernelILj1024ElliEEvT2_S1_21rocsparse_index_base_PKT0_PKT1_PKS1_S2_PS3_PS6_PS1_.numbered_sgpr, 24
	.set _ZN9rocsparseL35bsr2csr_block_dim_equals_one_kernelILj1024ElliEEvT2_S1_21rocsparse_index_base_PKT0_PKT1_PKS1_S2_PS3_PS6_PS1_.num_named_barrier, 0
	.set _ZN9rocsparseL35bsr2csr_block_dim_equals_one_kernelILj1024ElliEEvT2_S1_21rocsparse_index_base_PKT0_PKT1_PKS1_S2_PS3_PS6_PS1_.private_seg_size, 0
	.set _ZN9rocsparseL35bsr2csr_block_dim_equals_one_kernelILj1024ElliEEvT2_S1_21rocsparse_index_base_PKT0_PKT1_PKS1_S2_PS3_PS6_PS1_.uses_vcc, 1
	.set _ZN9rocsparseL35bsr2csr_block_dim_equals_one_kernelILj1024ElliEEvT2_S1_21rocsparse_index_base_PKT0_PKT1_PKS1_S2_PS3_PS6_PS1_.uses_flat_scratch, 0
	.set _ZN9rocsparseL35bsr2csr_block_dim_equals_one_kernelILj1024ElliEEvT2_S1_21rocsparse_index_base_PKT0_PKT1_PKS1_S2_PS3_PS6_PS1_.has_dyn_sized_stack, 0
	.set _ZN9rocsparseL35bsr2csr_block_dim_equals_one_kernelILj1024ElliEEvT2_S1_21rocsparse_index_base_PKT0_PKT1_PKS1_S2_PS3_PS6_PS1_.has_recursion, 0
	.set _ZN9rocsparseL35bsr2csr_block_dim_equals_one_kernelILj1024ElliEEvT2_S1_21rocsparse_index_base_PKT0_PKT1_PKS1_S2_PS3_PS6_PS1_.has_indirect_call, 0
	.section	.AMDGPU.csdata,"",@progbits
; Kernel info:
; codeLenInByte = 612
; TotalNumSgprs: 26
; NumVgprs: 11
; ScratchSize: 0
; MemoryBound: 0
; FloatMode: 240
; IeeeMode: 1
; LDSByteSize: 0 bytes/workgroup (compile time only)
; SGPRBlocks: 0
; VGPRBlocks: 1
; NumSGPRsForWavesPerEU: 26
; NumVGPRsForWavesPerEU: 11
; Occupancy: 16
; WaveLimiterHint : 0
; COMPUTE_PGM_RSRC2:SCRATCH_EN: 0
; COMPUTE_PGM_RSRC2:USER_SGPR: 6
; COMPUTE_PGM_RSRC2:TRAP_HANDLER: 0
; COMPUTE_PGM_RSRC2:TGID_X_EN: 1
; COMPUTE_PGM_RSRC2:TGID_Y_EN: 0
; COMPUTE_PGM_RSRC2:TGID_Z_EN: 0
; COMPUTE_PGM_RSRC2:TIDIG_COMP_CNT: 0
	.section	.text._ZN9rocsparseL32bsr2csr_block_per_row_2_7_kernelILj256ELj2ElliEEv20rocsparse_direction_T3_S2_21rocsparse_index_base_PKT1_PKT2_PKS2_S2_S3_PS4_PS7_PS2_,"axG",@progbits,_ZN9rocsparseL32bsr2csr_block_per_row_2_7_kernelILj256ELj2ElliEEv20rocsparse_direction_T3_S2_21rocsparse_index_base_PKT1_PKT2_PKS2_S2_S3_PS4_PS7_PS2_,comdat
	.globl	_ZN9rocsparseL32bsr2csr_block_per_row_2_7_kernelILj256ELj2ElliEEv20rocsparse_direction_T3_S2_21rocsparse_index_base_PKT1_PKT2_PKS2_S2_S3_PS4_PS7_PS2_ ; -- Begin function _ZN9rocsparseL32bsr2csr_block_per_row_2_7_kernelILj256ELj2ElliEEv20rocsparse_direction_T3_S2_21rocsparse_index_base_PKT1_PKT2_PKS2_S2_S3_PS4_PS7_PS2_
	.p2align	8
	.type	_ZN9rocsparseL32bsr2csr_block_per_row_2_7_kernelILj256ELj2ElliEEv20rocsparse_direction_T3_S2_21rocsparse_index_base_PKT1_PKT2_PKS2_S2_S3_PS4_PS7_PS2_,@function
_ZN9rocsparseL32bsr2csr_block_per_row_2_7_kernelILj256ELj2ElliEEv20rocsparse_direction_T3_S2_21rocsparse_index_base_PKT1_PKT2_PKS2_S2_S3_PS4_PS7_PS2_: ; @_ZN9rocsparseL32bsr2csr_block_per_row_2_7_kernelILj256ELj2ElliEEv20rocsparse_direction_T3_S2_21rocsparse_index_base_PKT1_PKT2_PKS2_S2_S3_PS4_PS7_PS2_
; %bb.0:
	s_load_dwordx2 s[0:1], s[4:5], 0x18
	s_ashr_i32 s7, s6, 31
	s_clause 0x1
	s_load_dword s8, s[4:5], 0x2c
	s_load_dwordx2 s[12:13], s[4:5], 0x38
	s_lshl_b64 s[2:3], s[6:7], 3
	v_or_b32_e32 v1, s6, v0
	s_mov_b32 s11, 0
	s_mov_b32 s7, exec_lo
	s_waitcnt lgkmcnt(0)
	s_add_u32 s0, s0, s2
	s_addc_u32 s1, s1, s3
	s_load_dwordx4 s[0:3], s[0:1], 0x0
	v_cmpx_eq_u32_e32 0, v1
	s_cbranch_execz .LBB66_2
; %bb.1:
	s_mov_b32 s9, s11
	v_mov_b32_e32 v1, s8
	v_mov_b32_e32 v3, 0
	;; [unrolled: 1-line block ×3, first 2 shown]
	global_store_dwordx2 v3, v[1:2], s[12:13]
.LBB66_2:
	s_or_b32 exec_lo, exec_lo, s7
	s_load_dword s10, s[4:5], 0xc
	v_and_b32_e32 v8, 1, v0
	v_mov_b32_e32 v2, 0
	v_lshrrev_b32_e32 v3, 1, v0
	v_lshl_or_b32 v1, s6, 1, v8
	v_add_nc_u32_e32 v1, 1, v1
	v_lshlrev_b64 v[0:1], 3, v[1:2]
	s_waitcnt lgkmcnt(0)
	s_sub_u32 s6, s0, s10
	s_subb_u32 s7, s1, 0
	s_sub_u32 s2, s2, s10
	s_subb_u32 s3, s3, 0
	s_lshl_b64 s[14:15], s[6:7], 2
	s_sub_u32 s16, s2, s6
	s_subb_u32 s17, s3, s7
	v_add_co_u32 v5, vcc_lo, s12, v0
	v_add_co_ci_u32_e64 v6, null, s13, v1, vcc_lo
	s_lshl_b64 s[12:13], s[16:17], 1
	s_lshr_b64 s[16:17], s[16:17], 31
	v_mul_lo_u32 v2, s12, v8
	v_add_co_u32 v0, s6, s6, v3
	v_mul_lo_u32 v4, s16, v8
	v_add_co_ci_u32_e64 v1, null, s7, 0, s6
	s_add_u32 s6, s12, s8
	s_addc_u32 s7, s13, 0
	s_add_u32 s6, s6, s14
	s_addc_u32 s7, s7, s15
	v_add_co_u32 v9, vcc_lo, s6, v2
	v_add_co_ci_u32_e64 v10, null, s7, v4, vcc_lo
	s_mov_b32 s6, exec_lo
	global_store_dwordx2 v[5:6], v[9:10], off
	v_cmpx_gt_i64_e64 s[2:3], v[0:1]
	s_cbranch_execz .LBB66_5
; %bb.3:
	s_clause 0x4
	s_load_dwordx2 s[6:7], s[4:5], 0x20
	s_load_dwordx2 s[12:13], s[4:5], 0x30
	s_load_dword s9, s[4:5], 0x0
	s_load_dwordx2 s[14:15], s[4:5], 0x10
	s_load_dwordx2 s[4:5], s[4:5], 0x40
	v_lshlrev_b32_e32 v3, 1, v3
	v_lshlrev_b64 v[5:6], 2, v[0:1]
	v_lshlrev_b64 v[10:11], 5, v[0:1]
	v_lshlrev_b32_e32 v9, 3, v8
	v_lshlrev_b32_e32 v8, 4, v8
	s_waitcnt lgkmcnt(0)
	s_cmp_eq_u32 s9, 0
	s_cselect_b32 vcc_lo, -1, 0
	s_lshl_b64 s[0:1], s[0:1], 2
	v_add_co_u32 v2, s0, v2, s0
	v_add_co_ci_u32_e64 v4, null, s1, v4, s0
	v_add_co_u32 v2, s0, v2, v3
	v_add_co_ci_u32_e64 v3, null, 0, v4, s0
	s_lshl_b64 s[0:1], s[10:11], 2
	v_sub_co_u32 v12, s0, v2, s0
	v_subrev_co_ci_u32_e64 v13, null, s1, v3, s0
	v_add_co_u32 v2, s0, s6, v5
	v_add_co_ci_u32_e64 v3, null, s7, v6, s0
	v_lshlrev_b64 v[4:5], 3, v[12:13]
	v_lshlrev_b64 v[6:7], 2, v[12:13]
	v_add_co_u32 v10, s0, s14, v10
	v_add_co_ci_u32_e64 v11, null, s15, v11, s0
	v_add_co_u32 v4, s0, s12, v4
	v_add_co_ci_u32_e64 v5, null, s13, v5, s0
	;; [unrolled: 2-line block ×5, first 2 shown]
	s_mov_b32 s4, 0
.LBB66_4:                               ; =>This Inner Loop Header: Depth=1
	v_add_co_u32 v12, s0, v10, v8
	v_add_co_ci_u32_e64 v13, null, 0, v11, s0
	v_add_co_u32 v14, s0, v10, v9
	global_load_dword v16, v[2:3], off
	v_add_co_ci_u32_e64 v15, null, 0, v11, s0
	v_add_co_u32 v17, s0, v12, 8
	v_add_co_ci_u32_e64 v18, null, 0, v13, s0
	v_add_co_u32 v19, s0, v14, 16
	v_add_co_ci_u32_e64 v20, null, 0, v15, s0
	v_cndmask_b32_e32 v13, v15, v13, vcc_lo
	v_cndmask_b32_e32 v12, v14, v12, vcc_lo
	;; [unrolled: 1-line block ×4, first 2 shown]
	global_load_dwordx2 v[12:13], v[12:13], off
	global_load_dwordx2 v[14:15], v[14:15], off
	v_add_co_u32 v0, s0, 0x80, v0
	v_add_co_ci_u32_e64 v1, null, 0, v1, s0
	v_add_co_u32 v2, s0, 0x200, v2
	v_add_co_ci_u32_e64 v3, null, 0, v3, s0
	v_add_co_u32 v10, s0, 0x1000, v10
	v_add_co_ci_u32_e64 v11, null, 0, v11, s0
	v_cmp_le_i64_e64 s0, s[2:3], v[0:1]
	s_or_b32 s4, s0, s4
	s_waitcnt vmcnt(2)
	v_subrev_nc_u32_e32 v16, s10, v16
	v_lshl_add_u32 v16, v16, 1, s8
	v_add_nc_u32_e32 v17, 1, v16
	global_store_dwordx2 v[6:7], v[16:17], off offset:-4
	s_waitcnt vmcnt(0)
	global_store_dwordx4 v[4:5], v[12:15], off offset:-8
	v_add_co_u32 v4, s1, 0x800, v4
	v_add_co_ci_u32_e64 v5, null, 0, v5, s1
	v_add_co_u32 v6, s1, 0x400, v6
	v_add_co_ci_u32_e64 v7, null, 0, v7, s1
	s_andn2_b32 exec_lo, exec_lo, s4
	s_cbranch_execnz .LBB66_4
.LBB66_5:
	s_endpgm
	.section	.rodata,"a",@progbits
	.p2align	6, 0x0
	.amdhsa_kernel _ZN9rocsparseL32bsr2csr_block_per_row_2_7_kernelILj256ELj2ElliEEv20rocsparse_direction_T3_S2_21rocsparse_index_base_PKT1_PKT2_PKS2_S2_S3_PS4_PS7_PS2_
		.amdhsa_group_segment_fixed_size 0
		.amdhsa_private_segment_fixed_size 0
		.amdhsa_kernarg_size 72
		.amdhsa_user_sgpr_count 6
		.amdhsa_user_sgpr_private_segment_buffer 1
		.amdhsa_user_sgpr_dispatch_ptr 0
		.amdhsa_user_sgpr_queue_ptr 0
		.amdhsa_user_sgpr_kernarg_segment_ptr 1
		.amdhsa_user_sgpr_dispatch_id 0
		.amdhsa_user_sgpr_flat_scratch_init 0
		.amdhsa_user_sgpr_private_segment_size 0
		.amdhsa_wavefront_size32 1
		.amdhsa_uses_dynamic_stack 0
		.amdhsa_system_sgpr_private_segment_wavefront_offset 0
		.amdhsa_system_sgpr_workgroup_id_x 1
		.amdhsa_system_sgpr_workgroup_id_y 0
		.amdhsa_system_sgpr_workgroup_id_z 0
		.amdhsa_system_sgpr_workgroup_info 0
		.amdhsa_system_vgpr_workitem_id 0
		.amdhsa_next_free_vgpr 21
		.amdhsa_next_free_sgpr 18
		.amdhsa_reserve_vcc 1
		.amdhsa_reserve_flat_scratch 0
		.amdhsa_float_round_mode_32 0
		.amdhsa_float_round_mode_16_64 0
		.amdhsa_float_denorm_mode_32 3
		.amdhsa_float_denorm_mode_16_64 3
		.amdhsa_dx10_clamp 1
		.amdhsa_ieee_mode 1
		.amdhsa_fp16_overflow 0
		.amdhsa_workgroup_processor_mode 1
		.amdhsa_memory_ordered 1
		.amdhsa_forward_progress 1
		.amdhsa_shared_vgpr_count 0
		.amdhsa_exception_fp_ieee_invalid_op 0
		.amdhsa_exception_fp_denorm_src 0
		.amdhsa_exception_fp_ieee_div_zero 0
		.amdhsa_exception_fp_ieee_overflow 0
		.amdhsa_exception_fp_ieee_underflow 0
		.amdhsa_exception_fp_ieee_inexact 0
		.amdhsa_exception_int_div_zero 0
	.end_amdhsa_kernel
	.section	.text._ZN9rocsparseL32bsr2csr_block_per_row_2_7_kernelILj256ELj2ElliEEv20rocsparse_direction_T3_S2_21rocsparse_index_base_PKT1_PKT2_PKS2_S2_S3_PS4_PS7_PS2_,"axG",@progbits,_ZN9rocsparseL32bsr2csr_block_per_row_2_7_kernelILj256ELj2ElliEEv20rocsparse_direction_T3_S2_21rocsparse_index_base_PKT1_PKT2_PKS2_S2_S3_PS4_PS7_PS2_,comdat
.Lfunc_end66:
	.size	_ZN9rocsparseL32bsr2csr_block_per_row_2_7_kernelILj256ELj2ElliEEv20rocsparse_direction_T3_S2_21rocsparse_index_base_PKT1_PKT2_PKS2_S2_S3_PS4_PS7_PS2_, .Lfunc_end66-_ZN9rocsparseL32bsr2csr_block_per_row_2_7_kernelILj256ELj2ElliEEv20rocsparse_direction_T3_S2_21rocsparse_index_base_PKT1_PKT2_PKS2_S2_S3_PS4_PS7_PS2_
                                        ; -- End function
	.set _ZN9rocsparseL32bsr2csr_block_per_row_2_7_kernelILj256ELj2ElliEEv20rocsparse_direction_T3_S2_21rocsparse_index_base_PKT1_PKT2_PKS2_S2_S3_PS4_PS7_PS2_.num_vgpr, 21
	.set _ZN9rocsparseL32bsr2csr_block_per_row_2_7_kernelILj256ELj2ElliEEv20rocsparse_direction_T3_S2_21rocsparse_index_base_PKT1_PKT2_PKS2_S2_S3_PS4_PS7_PS2_.num_agpr, 0
	.set _ZN9rocsparseL32bsr2csr_block_per_row_2_7_kernelILj256ELj2ElliEEv20rocsparse_direction_T3_S2_21rocsparse_index_base_PKT1_PKT2_PKS2_S2_S3_PS4_PS7_PS2_.numbered_sgpr, 18
	.set _ZN9rocsparseL32bsr2csr_block_per_row_2_7_kernelILj256ELj2ElliEEv20rocsparse_direction_T3_S2_21rocsparse_index_base_PKT1_PKT2_PKS2_S2_S3_PS4_PS7_PS2_.num_named_barrier, 0
	.set _ZN9rocsparseL32bsr2csr_block_per_row_2_7_kernelILj256ELj2ElliEEv20rocsparse_direction_T3_S2_21rocsparse_index_base_PKT1_PKT2_PKS2_S2_S3_PS4_PS7_PS2_.private_seg_size, 0
	.set _ZN9rocsparseL32bsr2csr_block_per_row_2_7_kernelILj256ELj2ElliEEv20rocsparse_direction_T3_S2_21rocsparse_index_base_PKT1_PKT2_PKS2_S2_S3_PS4_PS7_PS2_.uses_vcc, 1
	.set _ZN9rocsparseL32bsr2csr_block_per_row_2_7_kernelILj256ELj2ElliEEv20rocsparse_direction_T3_S2_21rocsparse_index_base_PKT1_PKT2_PKS2_S2_S3_PS4_PS7_PS2_.uses_flat_scratch, 0
	.set _ZN9rocsparseL32bsr2csr_block_per_row_2_7_kernelILj256ELj2ElliEEv20rocsparse_direction_T3_S2_21rocsparse_index_base_PKT1_PKT2_PKS2_S2_S3_PS4_PS7_PS2_.has_dyn_sized_stack, 0
	.set _ZN9rocsparseL32bsr2csr_block_per_row_2_7_kernelILj256ELj2ElliEEv20rocsparse_direction_T3_S2_21rocsparse_index_base_PKT1_PKT2_PKS2_S2_S3_PS4_PS7_PS2_.has_recursion, 0
	.set _ZN9rocsparseL32bsr2csr_block_per_row_2_7_kernelILj256ELj2ElliEEv20rocsparse_direction_T3_S2_21rocsparse_index_base_PKT1_PKT2_PKS2_S2_S3_PS4_PS7_PS2_.has_indirect_call, 0
	.section	.AMDGPU.csdata,"",@progbits
; Kernel info:
; codeLenInByte = 812
; TotalNumSgprs: 20
; NumVgprs: 21
; ScratchSize: 0
; MemoryBound: 0
; FloatMode: 240
; IeeeMode: 1
; LDSByteSize: 0 bytes/workgroup (compile time only)
; SGPRBlocks: 0
; VGPRBlocks: 2
; NumSGPRsForWavesPerEU: 20
; NumVGPRsForWavesPerEU: 21
; Occupancy: 16
; WaveLimiterHint : 0
; COMPUTE_PGM_RSRC2:SCRATCH_EN: 0
; COMPUTE_PGM_RSRC2:USER_SGPR: 6
; COMPUTE_PGM_RSRC2:TRAP_HANDLER: 0
; COMPUTE_PGM_RSRC2:TGID_X_EN: 1
; COMPUTE_PGM_RSRC2:TGID_Y_EN: 0
; COMPUTE_PGM_RSRC2:TGID_Z_EN: 0
; COMPUTE_PGM_RSRC2:TIDIG_COMP_CNT: 0
	.section	.text._ZN9rocsparseL32bsr2csr_block_per_row_2_7_kernelILj256ELj3ElliEEv20rocsparse_direction_T3_S2_21rocsparse_index_base_PKT1_PKT2_PKS2_S2_S3_PS4_PS7_PS2_,"axG",@progbits,_ZN9rocsparseL32bsr2csr_block_per_row_2_7_kernelILj256ELj3ElliEEv20rocsparse_direction_T3_S2_21rocsparse_index_base_PKT1_PKT2_PKS2_S2_S3_PS4_PS7_PS2_,comdat
	.globl	_ZN9rocsparseL32bsr2csr_block_per_row_2_7_kernelILj256ELj3ElliEEv20rocsparse_direction_T3_S2_21rocsparse_index_base_PKT1_PKT2_PKS2_S2_S3_PS4_PS7_PS2_ ; -- Begin function _ZN9rocsparseL32bsr2csr_block_per_row_2_7_kernelILj256ELj3ElliEEv20rocsparse_direction_T3_S2_21rocsparse_index_base_PKT1_PKT2_PKS2_S2_S3_PS4_PS7_PS2_
	.p2align	8
	.type	_ZN9rocsparseL32bsr2csr_block_per_row_2_7_kernelILj256ELj3ElliEEv20rocsparse_direction_T3_S2_21rocsparse_index_base_PKT1_PKT2_PKS2_S2_S3_PS4_PS7_PS2_,@function
_ZN9rocsparseL32bsr2csr_block_per_row_2_7_kernelILj256ELj3ElliEEv20rocsparse_direction_T3_S2_21rocsparse_index_base_PKT1_PKT2_PKS2_S2_S3_PS4_PS7_PS2_: ; @_ZN9rocsparseL32bsr2csr_block_per_row_2_7_kernelILj256ELj3ElliEEv20rocsparse_direction_T3_S2_21rocsparse_index_base_PKT1_PKT2_PKS2_S2_S3_PS4_PS7_PS2_
; %bb.0:
	s_clause 0x2
	s_load_dwordx2 s[0:1], s[4:5], 0x18
	s_load_dword s8, s[4:5], 0x2c
	s_load_dwordx2 s[10:11], s[4:5], 0x38
	s_ashr_i32 s7, s6, 31
	v_or_b32_e32 v1, s6, v0
	s_lshl_b64 s[2:3], s[6:7], 3
	s_waitcnt lgkmcnt(0)
	s_add_u32 s0, s0, s2
	s_addc_u32 s1, s1, s3
	s_mov_b32 s2, exec_lo
	v_cmpx_eq_u32_e32 0, v1
	s_cbranch_execz .LBB67_2
; %bb.1:
	v_mov_b32_e32 v1, s8
	v_mov_b32_e32 v2, 0
	global_store_dwordx2 v2, v[1:2], s[10:11]
.LBB67_2:
	s_or_b32 exec_lo, exec_lo, s2
	v_and_b32_e32 v4, 3, v0
	s_mov_b32 s2, exec_lo
	v_cmpx_ne_u32_e32 3, v4
	s_cbranch_execz .LBB67_6
; %bb.3:
	s_load_dwordx4 s[0:3], s[0:1], 0x0
	s_load_dword s7, s[4:5], 0xc
	s_mul_i32 s6, s6, 3
	v_mov_b32_e32 v2, 0
	v_add3_u32 v1, v4, s6, 1
	v_lshrrev_b32_e32 v5, 2, v0
	v_lshlrev_b64 v[6:7], 3, v[1:2]
	v_add_co_u32 v6, vcc_lo, s10, v6
	v_add_co_ci_u32_e64 v7, null, s11, v7, vcc_lo
	s_waitcnt lgkmcnt(0)
	s_sub_u32 s6, s0, s7
	s_subb_u32 s9, s1, 0
	s_mul_hi_u32 s12, s6, 9
	s_mul_i32 s13, s9, 9
	s_sub_u32 s2, s2, s7
	s_subb_u32 s3, s3, 0
	s_add_i32 s12, s12, s13
	s_sub_u32 s13, s2, s6
	s_subb_u32 s11, s3, s9
	s_mul_i32 s14, s13, 3
	s_mul_hi_u32 s13, s13, 3
	v_mad_u64_u32 v[2:3], null, s14, v4, 0
	s_mul_i32 s11, s11, 3
	s_mul_i32 s10, s6, 9
	s_add_i32 s13, s13, s11
	v_add_co_u32 v0, s6, s6, v5
	v_add_co_ci_u32_e64 v1, null, s9, 0, s6
	v_mad_u64_u32 v[8:9], null, s13, v4, v[3:4]
	s_add_u32 s6, s14, s8
	s_addc_u32 s9, s13, 0
	s_add_u32 s6, s6, s10
	s_addc_u32 s9, s9, s12
	v_add_co_u32 v9, vcc_lo, s6, v2
	v_add_co_ci_u32_e64 v10, null, s9, v8, vcc_lo
	v_cmp_gt_i64_e32 vcc_lo, s[2:3], v[0:1]
	v_mov_b32_e32 v3, v8
	s_mov_b32 s6, 0
	global_store_dwordx2 v[6:7], v[9:10], off
	s_and_b32 exec_lo, exec_lo, vcc_lo
	s_cbranch_execz .LBB67_6
; %bb.4:
	v_mad_u64_u32 v[6:7], null, s0, 9, v[2:3]
	s_clause 0x1
	s_load_dwordx2 s[10:11], s[4:5], 0x30
	s_load_dwordx2 s[12:13], s[4:5], 0x10
	v_mul_u32_u24_e32 v13, 3, v4
	v_lshlrev_b32_e32 v9, 3, v4
	v_mov_b32_e32 v2, v7
	v_mad_u64_u32 v[2:3], null, s1, 9, v[2:3]
	s_clause 0x2
	s_load_dwordx2 s[0:1], s[4:5], 0x20
	s_load_dword s9, s[4:5], 0x0
	s_load_dwordx2 s[4:5], s[4:5], 0x40
	v_mov_b32_e32 v7, v2
	s_waitcnt lgkmcnt(0)
	v_mad_u64_u32 v[2:3], null, 0x48, v0, s[12:13]
	s_mul_i32 s13, s7, 9
	s_mul_hi_u32 s12, s7, 9
	v_mad_u64_u32 v[5:6], null, v5, 3, v[6:7]
	v_lshlrev_b64 v[7:8], 2, v[0:1]
	v_mad_u64_u32 v[10:11], null, 0x48, v1, v[3:4]
	v_sub_co_u32 v5, vcc_lo, v5, s13
	v_subrev_co_ci_u32_e64 v6, null, s12, v6, vcc_lo
	v_add_co_u32 v3, vcc_lo, s0, v7
	v_add_co_ci_u32_e64 v4, null, s1, v8, vcc_lo
	v_lshlrev_b64 v[11:12], 3, v[5:6]
	v_lshlrev_b64 v[5:6], 2, v[5:6]
	s_cmp_eq_u32 s9, 0
	v_add_co_u32 v7, vcc_lo, s10, v11
	v_add_co_ci_u32_e64 v8, null, s11, v12, vcc_lo
	v_add_co_u32 v11, vcc_lo, s4, v5
	v_add_co_ci_u32_e64 v12, null, s5, v6, vcc_lo
	;; [unrolled: 2-line block ×4, first 2 shown]
	v_lshlrev_b32_e32 v11, 3, v13
	s_cselect_b32 vcc_lo, -1, 0
.LBB67_5:                               ; =>This Inner Loop Header: Depth=1
	v_add_co_u32 v12, s0, v2, v11
	v_add_co_ci_u32_e64 v13, null, 0, v10, s0
	v_add_co_u32 v14, s0, v2, v9
	v_add_co_ci_u32_e64 v15, null, 0, v10, s0
	global_load_dword v18, v[3:4], off
	v_add_co_u32 v16, s0, v12, 8
	v_add_co_ci_u32_e64 v17, null, 0, v13, s0
	v_add_co_u32 v19, s0, v14, 24
	v_add_co_ci_u32_e64 v20, null, 0, v15, s0
	;; [unrolled: 2-line block ×4, first 2 shown]
	v_cndmask_b32_e32 v13, v15, v13, vcc_lo
	v_cndmask_b32_e32 v12, v14, v12, vcc_lo
	;; [unrolled: 1-line block ×6, first 2 shown]
	global_load_dwordx2 v[12:13], v[12:13], off
	global_load_dwordx2 v[14:15], v[14:15], off
	global_load_dwordx2 v[19:20], v[16:17], off
	v_add_co_u32 v0, s0, v0, 64
	v_add_co_ci_u32_e64 v1, null, 0, v1, s0
	v_add_co_u32 v3, s0, 0x100, v3
	v_add_co_ci_u32_e64 v4, null, 0, v4, s0
	v_add_co_u32 v2, s0, 0x1200, v2
	v_add_co_ci_u32_e64 v10, null, 0, v10, s0
	v_cmp_le_i64_e64 s0, s[2:3], v[0:1]
	s_waitcnt vmcnt(1)
	global_store_dwordx4 v[5:6], v[12:15], off offset:-8
	s_waitcnt vmcnt(0)
	global_store_dwordx2 v[5:6], v[19:20], off offset:8
	v_subrev_nc_u32_e32 v16, s7, v18
	v_add_co_u32 v5, s1, 0x600, v5
	v_add_co_ci_u32_e64 v6, null, 0, v6, s1
	v_mad_u64_u32 v[16:17], null, v16, 3, s[8:9]
	s_or_b32 s6, s0, s6
	v_add_nc_u32_e32 v17, 1, v16
	v_add_nc_u32_e32 v18, 2, v16
	global_store_dwordx3 v[7:8], v[16:18], off offset:-4
	v_add_co_u32 v7, s1, 0x300, v7
	v_add_co_ci_u32_e64 v8, null, 0, v8, s1
	s_andn2_b32 exec_lo, exec_lo, s6
	s_cbranch_execnz .LBB67_5
.LBB67_6:
	s_endpgm
	.section	.rodata,"a",@progbits
	.p2align	6, 0x0
	.amdhsa_kernel _ZN9rocsparseL32bsr2csr_block_per_row_2_7_kernelILj256ELj3ElliEEv20rocsparse_direction_T3_S2_21rocsparse_index_base_PKT1_PKT2_PKS2_S2_S3_PS4_PS7_PS2_
		.amdhsa_group_segment_fixed_size 0
		.amdhsa_private_segment_fixed_size 0
		.amdhsa_kernarg_size 72
		.amdhsa_user_sgpr_count 6
		.amdhsa_user_sgpr_private_segment_buffer 1
		.amdhsa_user_sgpr_dispatch_ptr 0
		.amdhsa_user_sgpr_queue_ptr 0
		.amdhsa_user_sgpr_kernarg_segment_ptr 1
		.amdhsa_user_sgpr_dispatch_id 0
		.amdhsa_user_sgpr_flat_scratch_init 0
		.amdhsa_user_sgpr_private_segment_size 0
		.amdhsa_wavefront_size32 1
		.amdhsa_uses_dynamic_stack 0
		.amdhsa_system_sgpr_private_segment_wavefront_offset 0
		.amdhsa_system_sgpr_workgroup_id_x 1
		.amdhsa_system_sgpr_workgroup_id_y 0
		.amdhsa_system_sgpr_workgroup_id_z 0
		.amdhsa_system_sgpr_workgroup_info 0
		.amdhsa_system_vgpr_workitem_id 0
		.amdhsa_next_free_vgpr 25
		.amdhsa_next_free_sgpr 15
		.amdhsa_reserve_vcc 1
		.amdhsa_reserve_flat_scratch 0
		.amdhsa_float_round_mode_32 0
		.amdhsa_float_round_mode_16_64 0
		.amdhsa_float_denorm_mode_32 3
		.amdhsa_float_denorm_mode_16_64 3
		.amdhsa_dx10_clamp 1
		.amdhsa_ieee_mode 1
		.amdhsa_fp16_overflow 0
		.amdhsa_workgroup_processor_mode 1
		.amdhsa_memory_ordered 1
		.amdhsa_forward_progress 1
		.amdhsa_shared_vgpr_count 0
		.amdhsa_exception_fp_ieee_invalid_op 0
		.amdhsa_exception_fp_denorm_src 0
		.amdhsa_exception_fp_ieee_div_zero 0
		.amdhsa_exception_fp_ieee_overflow 0
		.amdhsa_exception_fp_ieee_underflow 0
		.amdhsa_exception_fp_ieee_inexact 0
		.amdhsa_exception_int_div_zero 0
	.end_amdhsa_kernel
	.section	.text._ZN9rocsparseL32bsr2csr_block_per_row_2_7_kernelILj256ELj3ElliEEv20rocsparse_direction_T3_S2_21rocsparse_index_base_PKT1_PKT2_PKS2_S2_S3_PS4_PS7_PS2_,"axG",@progbits,_ZN9rocsparseL32bsr2csr_block_per_row_2_7_kernelILj256ELj3ElliEEv20rocsparse_direction_T3_S2_21rocsparse_index_base_PKT1_PKT2_PKS2_S2_S3_PS4_PS7_PS2_,comdat
.Lfunc_end67:
	.size	_ZN9rocsparseL32bsr2csr_block_per_row_2_7_kernelILj256ELj3ElliEEv20rocsparse_direction_T3_S2_21rocsparse_index_base_PKT1_PKT2_PKS2_S2_S3_PS4_PS7_PS2_, .Lfunc_end67-_ZN9rocsparseL32bsr2csr_block_per_row_2_7_kernelILj256ELj3ElliEEv20rocsparse_direction_T3_S2_21rocsparse_index_base_PKT1_PKT2_PKS2_S2_S3_PS4_PS7_PS2_
                                        ; -- End function
	.set _ZN9rocsparseL32bsr2csr_block_per_row_2_7_kernelILj256ELj3ElliEEv20rocsparse_direction_T3_S2_21rocsparse_index_base_PKT1_PKT2_PKS2_S2_S3_PS4_PS7_PS2_.num_vgpr, 25
	.set _ZN9rocsparseL32bsr2csr_block_per_row_2_7_kernelILj256ELj3ElliEEv20rocsparse_direction_T3_S2_21rocsparse_index_base_PKT1_PKT2_PKS2_S2_S3_PS4_PS7_PS2_.num_agpr, 0
	.set _ZN9rocsparseL32bsr2csr_block_per_row_2_7_kernelILj256ELj3ElliEEv20rocsparse_direction_T3_S2_21rocsparse_index_base_PKT1_PKT2_PKS2_S2_S3_PS4_PS7_PS2_.numbered_sgpr, 15
	.set _ZN9rocsparseL32bsr2csr_block_per_row_2_7_kernelILj256ELj3ElliEEv20rocsparse_direction_T3_S2_21rocsparse_index_base_PKT1_PKT2_PKS2_S2_S3_PS4_PS7_PS2_.num_named_barrier, 0
	.set _ZN9rocsparseL32bsr2csr_block_per_row_2_7_kernelILj256ELj3ElliEEv20rocsparse_direction_T3_S2_21rocsparse_index_base_PKT1_PKT2_PKS2_S2_S3_PS4_PS7_PS2_.private_seg_size, 0
	.set _ZN9rocsparseL32bsr2csr_block_per_row_2_7_kernelILj256ELj3ElliEEv20rocsparse_direction_T3_S2_21rocsparse_index_base_PKT1_PKT2_PKS2_S2_S3_PS4_PS7_PS2_.uses_vcc, 1
	.set _ZN9rocsparseL32bsr2csr_block_per_row_2_7_kernelILj256ELj3ElliEEv20rocsparse_direction_T3_S2_21rocsparse_index_base_PKT1_PKT2_PKS2_S2_S3_PS4_PS7_PS2_.uses_flat_scratch, 0
	.set _ZN9rocsparseL32bsr2csr_block_per_row_2_7_kernelILj256ELj3ElliEEv20rocsparse_direction_T3_S2_21rocsparse_index_base_PKT1_PKT2_PKS2_S2_S3_PS4_PS7_PS2_.has_dyn_sized_stack, 0
	.set _ZN9rocsparseL32bsr2csr_block_per_row_2_7_kernelILj256ELj3ElliEEv20rocsparse_direction_T3_S2_21rocsparse_index_base_PKT1_PKT2_PKS2_S2_S3_PS4_PS7_PS2_.has_recursion, 0
	.set _ZN9rocsparseL32bsr2csr_block_per_row_2_7_kernelILj256ELj3ElliEEv20rocsparse_direction_T3_S2_21rocsparse_index_base_PKT1_PKT2_PKS2_S2_S3_PS4_PS7_PS2_.has_indirect_call, 0
	.section	.AMDGPU.csdata,"",@progbits
; Kernel info:
; codeLenInByte = 892
; TotalNumSgprs: 17
; NumVgprs: 25
; ScratchSize: 0
; MemoryBound: 0
; FloatMode: 240
; IeeeMode: 1
; LDSByteSize: 0 bytes/workgroup (compile time only)
; SGPRBlocks: 0
; VGPRBlocks: 3
; NumSGPRsForWavesPerEU: 17
; NumVGPRsForWavesPerEU: 25
; Occupancy: 16
; WaveLimiterHint : 0
; COMPUTE_PGM_RSRC2:SCRATCH_EN: 0
; COMPUTE_PGM_RSRC2:USER_SGPR: 6
; COMPUTE_PGM_RSRC2:TRAP_HANDLER: 0
; COMPUTE_PGM_RSRC2:TGID_X_EN: 1
; COMPUTE_PGM_RSRC2:TGID_Y_EN: 0
; COMPUTE_PGM_RSRC2:TGID_Z_EN: 0
; COMPUTE_PGM_RSRC2:TIDIG_COMP_CNT: 0
	.section	.text._ZN9rocsparseL32bsr2csr_block_per_row_2_7_kernelILj256ELj4ElliEEv20rocsparse_direction_T3_S2_21rocsparse_index_base_PKT1_PKT2_PKS2_S2_S3_PS4_PS7_PS2_,"axG",@progbits,_ZN9rocsparseL32bsr2csr_block_per_row_2_7_kernelILj256ELj4ElliEEv20rocsparse_direction_T3_S2_21rocsparse_index_base_PKT1_PKT2_PKS2_S2_S3_PS4_PS7_PS2_,comdat
	.globl	_ZN9rocsparseL32bsr2csr_block_per_row_2_7_kernelILj256ELj4ElliEEv20rocsparse_direction_T3_S2_21rocsparse_index_base_PKT1_PKT2_PKS2_S2_S3_PS4_PS7_PS2_ ; -- Begin function _ZN9rocsparseL32bsr2csr_block_per_row_2_7_kernelILj256ELj4ElliEEv20rocsparse_direction_T3_S2_21rocsparse_index_base_PKT1_PKT2_PKS2_S2_S3_PS4_PS7_PS2_
	.p2align	8
	.type	_ZN9rocsparseL32bsr2csr_block_per_row_2_7_kernelILj256ELj4ElliEEv20rocsparse_direction_T3_S2_21rocsparse_index_base_PKT1_PKT2_PKS2_S2_S3_PS4_PS7_PS2_,@function
_ZN9rocsparseL32bsr2csr_block_per_row_2_7_kernelILj256ELj4ElliEEv20rocsparse_direction_T3_S2_21rocsparse_index_base_PKT1_PKT2_PKS2_S2_S3_PS4_PS7_PS2_: ; @_ZN9rocsparseL32bsr2csr_block_per_row_2_7_kernelILj256ELj4ElliEEv20rocsparse_direction_T3_S2_21rocsparse_index_base_PKT1_PKT2_PKS2_S2_S3_PS4_PS7_PS2_
; %bb.0:
	s_load_dwordx2 s[0:1], s[4:5], 0x18
	s_ashr_i32 s7, s6, 31
	s_clause 0x1
	s_load_dword s8, s[4:5], 0x2c
	s_load_dwordx2 s[12:13], s[4:5], 0x38
	s_lshl_b64 s[2:3], s[6:7], 3
	v_or_b32_e32 v1, s6, v0
	s_mov_b32 s11, 0
	s_mov_b32 s7, exec_lo
	s_waitcnt lgkmcnt(0)
	s_add_u32 s0, s0, s2
	s_addc_u32 s1, s1, s3
	s_load_dwordx4 s[0:3], s[0:1], 0x0
	v_cmpx_eq_u32_e32 0, v1
	s_cbranch_execz .LBB68_2
; %bb.1:
	s_mov_b32 s9, s11
	v_mov_b32_e32 v1, s8
	v_mov_b32_e32 v3, 0
	;; [unrolled: 1-line block ×3, first 2 shown]
	global_store_dwordx2 v3, v[1:2], s[12:13]
.LBB68_2:
	s_or_b32 exec_lo, exec_lo, s7
	s_load_dword s10, s[4:5], 0xc
	v_and_b32_e32 v4, 3, v0
	v_mov_b32_e32 v2, 0
	v_lshrrev_b32_e32 v5, 2, v0
	v_lshl_or_b32 v1, s6, 2, v4
	v_add_nc_u32_e32 v1, 1, v1
	v_lshlrev_b64 v[6:7], 3, v[1:2]
	s_waitcnt lgkmcnt(0)
	s_sub_u32 s6, s0, s10
	s_subb_u32 s7, s1, 0
	s_sub_u32 s2, s2, s10
	s_subb_u32 s3, s3, 0
	s_lshl_b64 s[14:15], s[6:7], 4
	s_sub_u32 s16, s2, s6
	s_subb_u32 s17, s3, s7
	v_add_co_u32 v0, s6, s6, v5
	s_lshl_b64 s[18:19], s[16:17], 2
	v_add_co_ci_u32_e64 v1, null, s7, 0, s6
	v_mad_u64_u32 v[2:3], null, s18, v4, 0
	s_lshr_b64 s[6:7], s[16:17], 30
	v_add_co_u32 v6, vcc_lo, s12, v6
	v_add_co_ci_u32_e64 v7, null, s13, v7, vcc_lo
	v_mad_u64_u32 v[8:9], null, s6, v4, v[3:4]
	s_add_u32 s6, s18, s8
	s_addc_u32 s7, s19, 0
	s_add_u32 s6, s6, s14
	s_addc_u32 s7, s7, s15
	v_add_co_u32 v9, vcc_lo, s6, v2
	v_add_co_ci_u32_e64 v10, null, s7, v8, vcc_lo
	v_mov_b32_e32 v3, v8
	s_mov_b32 s6, exec_lo
	global_store_dwordx2 v[6:7], v[9:10], off
	v_cmpx_gt_i64_e64 s[2:3], v[0:1]
	s_cbranch_execz .LBB68_5
; %bb.3:
	s_clause 0x4
	s_load_dwordx2 s[6:7], s[4:5], 0x20
	s_load_dwordx2 s[12:13], s[4:5], 0x30
	s_load_dword s9, s[4:5], 0x0
	s_load_dwordx2 s[14:15], s[4:5], 0x10
	s_load_dwordx2 s[4:5], s[4:5], 0x40
	v_lshlrev_b32_e32 v5, 2, v5
	v_lshlrev_b64 v[6:7], 2, v[0:1]
	v_lshlrev_b32_e32 v8, 3, v4
	v_lshlrev_b32_e32 v9, 5, v4
	v_lshlrev_b64 v[10:11], 7, v[0:1]
	s_waitcnt lgkmcnt(0)
	s_cmp_eq_u32 s9, 0
	s_cselect_b32 vcc_lo, -1, 0
	s_lshl_b64 s[0:1], s[0:1], 4
	v_add_co_u32 v2, s0, v2, s0
	v_add_co_ci_u32_e64 v3, null, s1, v3, s0
	v_add_co_u32 v2, s0, v2, v5
	v_add_co_ci_u32_e64 v3, null, 0, v3, s0
	s_lshl_b64 s[0:1], s[10:11], 4
	v_sub_co_u32 v4, s0, v2, s0
	v_subrev_co_ci_u32_e64 v5, null, s1, v3, s0
	v_add_co_u32 v2, s0, s6, v6
	v_add_co_ci_u32_e64 v3, null, s7, v7, s0
	v_lshlrev_b64 v[6:7], 3, v[4:5]
	v_lshlrev_b64 v[4:5], 2, v[4:5]
	v_add_co_u32 v10, s0, s14, v10
	v_add_co_ci_u32_e64 v11, null, s15, v11, s0
	v_add_co_u32 v6, s0, s12, v6
	v_add_co_ci_u32_e64 v7, null, s13, v7, s0
	;; [unrolled: 2-line block ×5, first 2 shown]
	s_mov_b32 s4, 0
.LBB68_4:                               ; =>This Inner Loop Header: Depth=1
	v_add_co_u32 v14, s0, v10, v8
	v_add_co_ci_u32_e64 v15, null, 0, v11, s0
	v_add_co_u32 v16, s0, v10, v9
	v_add_co_ci_u32_e64 v17, null, 0, v11, s0
	global_load_dword v20, v[2:3], off
	v_add_co_u32 v18, s0, v16, 8
	v_add_co_ci_u32_e64 v19, null, 0, v17, s0
	v_add_co_u32 v21, s0, v14, 32
	v_add_co_ci_u32_e64 v22, null, 0, v15, s0
	;; [unrolled: 2-line block ×6, first 2 shown]
	v_cndmask_b32_e32 v13, v15, v17, vcc_lo
	v_cndmask_b32_e32 v12, v14, v16, vcc_lo
	;; [unrolled: 1-line block ×8, first 2 shown]
	global_load_dwordx2 v[12:13], v[12:13], off
	global_load_dwordx2 v[14:15], v[14:15], off
	;; [unrolled: 1-line block ×4, first 2 shown]
	v_add_co_u32 v0, s0, v0, 64
	v_add_co_ci_u32_e64 v1, null, 0, v1, s0
	v_add_co_u32 v2, s0, 0x100, v2
	v_add_co_ci_u32_e64 v3, null, 0, v3, s0
	;; [unrolled: 2-line block ×3, first 2 shown]
	v_cmp_le_i64_e64 s0, s[2:3], v[0:1]
	s_or_b32 s4, s0, s4
	s_waitcnt vmcnt(4)
	v_subrev_nc_u32_e32 v20, s10, v20
	v_lshl_add_u32 v20, v20, 2, s8
	v_add_nc_u32_e32 v21, 1, v20
	v_add_nc_u32_e32 v22, 2, v20
	;; [unrolled: 1-line block ×3, first 2 shown]
	s_waitcnt vmcnt(2)
	global_store_dwordx4 v[4:5], v[12:15], off offset:-16
	global_store_dwordx4 v[6:7], v[20:23], off offset:-8
	s_waitcnt vmcnt(0)
	global_store_dwordx4 v[4:5], v[16:19], off
	v_add_co_u32 v4, s1, 0x800, v4
	v_add_co_ci_u32_e64 v5, null, 0, v5, s1
	v_add_co_u32 v6, s1, 0x400, v6
	v_add_co_ci_u32_e64 v7, null, 0, v7, s1
	s_andn2_b32 exec_lo, exec_lo, s4
	s_cbranch_execnz .LBB68_4
.LBB68_5:
	s_endpgm
	.section	.rodata,"a",@progbits
	.p2align	6, 0x0
	.amdhsa_kernel _ZN9rocsparseL32bsr2csr_block_per_row_2_7_kernelILj256ELj4ElliEEv20rocsparse_direction_T3_S2_21rocsparse_index_base_PKT1_PKT2_PKS2_S2_S3_PS4_PS7_PS2_
		.amdhsa_group_segment_fixed_size 0
		.amdhsa_private_segment_fixed_size 0
		.amdhsa_kernarg_size 72
		.amdhsa_user_sgpr_count 6
		.amdhsa_user_sgpr_private_segment_buffer 1
		.amdhsa_user_sgpr_dispatch_ptr 0
		.amdhsa_user_sgpr_queue_ptr 0
		.amdhsa_user_sgpr_kernarg_segment_ptr 1
		.amdhsa_user_sgpr_dispatch_id 0
		.amdhsa_user_sgpr_flat_scratch_init 0
		.amdhsa_user_sgpr_private_segment_size 0
		.amdhsa_wavefront_size32 1
		.amdhsa_uses_dynamic_stack 0
		.amdhsa_system_sgpr_private_segment_wavefront_offset 0
		.amdhsa_system_sgpr_workgroup_id_x 1
		.amdhsa_system_sgpr_workgroup_id_y 0
		.amdhsa_system_sgpr_workgroup_id_z 0
		.amdhsa_system_sgpr_workgroup_info 0
		.amdhsa_system_vgpr_workitem_id 0
		.amdhsa_next_free_vgpr 31
		.amdhsa_next_free_sgpr 20
		.amdhsa_reserve_vcc 1
		.amdhsa_reserve_flat_scratch 0
		.amdhsa_float_round_mode_32 0
		.amdhsa_float_round_mode_16_64 0
		.amdhsa_float_denorm_mode_32 3
		.amdhsa_float_denorm_mode_16_64 3
		.amdhsa_dx10_clamp 1
		.amdhsa_ieee_mode 1
		.amdhsa_fp16_overflow 0
		.amdhsa_workgroup_processor_mode 1
		.amdhsa_memory_ordered 1
		.amdhsa_forward_progress 1
		.amdhsa_shared_vgpr_count 0
		.amdhsa_exception_fp_ieee_invalid_op 0
		.amdhsa_exception_fp_denorm_src 0
		.amdhsa_exception_fp_ieee_div_zero 0
		.amdhsa_exception_fp_ieee_overflow 0
		.amdhsa_exception_fp_ieee_underflow 0
		.amdhsa_exception_fp_ieee_inexact 0
		.amdhsa_exception_int_div_zero 0
	.end_amdhsa_kernel
	.section	.text._ZN9rocsparseL32bsr2csr_block_per_row_2_7_kernelILj256ELj4ElliEEv20rocsparse_direction_T3_S2_21rocsparse_index_base_PKT1_PKT2_PKS2_S2_S3_PS4_PS7_PS2_,"axG",@progbits,_ZN9rocsparseL32bsr2csr_block_per_row_2_7_kernelILj256ELj4ElliEEv20rocsparse_direction_T3_S2_21rocsparse_index_base_PKT1_PKT2_PKS2_S2_S3_PS4_PS7_PS2_,comdat
.Lfunc_end68:
	.size	_ZN9rocsparseL32bsr2csr_block_per_row_2_7_kernelILj256ELj4ElliEEv20rocsparse_direction_T3_S2_21rocsparse_index_base_PKT1_PKT2_PKS2_S2_S3_PS4_PS7_PS2_, .Lfunc_end68-_ZN9rocsparseL32bsr2csr_block_per_row_2_7_kernelILj256ELj4ElliEEv20rocsparse_direction_T3_S2_21rocsparse_index_base_PKT1_PKT2_PKS2_S2_S3_PS4_PS7_PS2_
                                        ; -- End function
	.set _ZN9rocsparseL32bsr2csr_block_per_row_2_7_kernelILj256ELj4ElliEEv20rocsparse_direction_T3_S2_21rocsparse_index_base_PKT1_PKT2_PKS2_S2_S3_PS4_PS7_PS2_.num_vgpr, 31
	.set _ZN9rocsparseL32bsr2csr_block_per_row_2_7_kernelILj256ELj4ElliEEv20rocsparse_direction_T3_S2_21rocsparse_index_base_PKT1_PKT2_PKS2_S2_S3_PS4_PS7_PS2_.num_agpr, 0
	.set _ZN9rocsparseL32bsr2csr_block_per_row_2_7_kernelILj256ELj4ElliEEv20rocsparse_direction_T3_S2_21rocsparse_index_base_PKT1_PKT2_PKS2_S2_S3_PS4_PS7_PS2_.numbered_sgpr, 20
	.set _ZN9rocsparseL32bsr2csr_block_per_row_2_7_kernelILj256ELj4ElliEEv20rocsparse_direction_T3_S2_21rocsparse_index_base_PKT1_PKT2_PKS2_S2_S3_PS4_PS7_PS2_.num_named_barrier, 0
	.set _ZN9rocsparseL32bsr2csr_block_per_row_2_7_kernelILj256ELj4ElliEEv20rocsparse_direction_T3_S2_21rocsparse_index_base_PKT1_PKT2_PKS2_S2_S3_PS4_PS7_PS2_.private_seg_size, 0
	.set _ZN9rocsparseL32bsr2csr_block_per_row_2_7_kernelILj256ELj4ElliEEv20rocsparse_direction_T3_S2_21rocsparse_index_base_PKT1_PKT2_PKS2_S2_S3_PS4_PS7_PS2_.uses_vcc, 1
	.set _ZN9rocsparseL32bsr2csr_block_per_row_2_7_kernelILj256ELj4ElliEEv20rocsparse_direction_T3_S2_21rocsparse_index_base_PKT1_PKT2_PKS2_S2_S3_PS4_PS7_PS2_.uses_flat_scratch, 0
	.set _ZN9rocsparseL32bsr2csr_block_per_row_2_7_kernelILj256ELj4ElliEEv20rocsparse_direction_T3_S2_21rocsparse_index_base_PKT1_PKT2_PKS2_S2_S3_PS4_PS7_PS2_.has_dyn_sized_stack, 0
	.set _ZN9rocsparseL32bsr2csr_block_per_row_2_7_kernelILj256ELj4ElliEEv20rocsparse_direction_T3_S2_21rocsparse_index_base_PKT1_PKT2_PKS2_S2_S3_PS4_PS7_PS2_.has_recursion, 0
	.set _ZN9rocsparseL32bsr2csr_block_per_row_2_7_kernelILj256ELj4ElliEEv20rocsparse_direction_T3_S2_21rocsparse_index_base_PKT1_PKT2_PKS2_S2_S3_PS4_PS7_PS2_.has_indirect_call, 0
	.section	.AMDGPU.csdata,"",@progbits
; Kernel info:
; codeLenInByte = 932
; TotalNumSgprs: 22
; NumVgprs: 31
; ScratchSize: 0
; MemoryBound: 0
; FloatMode: 240
; IeeeMode: 1
; LDSByteSize: 0 bytes/workgroup (compile time only)
; SGPRBlocks: 0
; VGPRBlocks: 3
; NumSGPRsForWavesPerEU: 22
; NumVGPRsForWavesPerEU: 31
; Occupancy: 16
; WaveLimiterHint : 0
; COMPUTE_PGM_RSRC2:SCRATCH_EN: 0
; COMPUTE_PGM_RSRC2:USER_SGPR: 6
; COMPUTE_PGM_RSRC2:TRAP_HANDLER: 0
; COMPUTE_PGM_RSRC2:TGID_X_EN: 1
; COMPUTE_PGM_RSRC2:TGID_Y_EN: 0
; COMPUTE_PGM_RSRC2:TGID_Z_EN: 0
; COMPUTE_PGM_RSRC2:TIDIG_COMP_CNT: 0
	.section	.text._ZN9rocsparseL32bsr2csr_block_per_row_2_7_kernelILj256ELj5ElliEEv20rocsparse_direction_T3_S2_21rocsparse_index_base_PKT1_PKT2_PKS2_S2_S3_PS4_PS7_PS2_,"axG",@progbits,_ZN9rocsparseL32bsr2csr_block_per_row_2_7_kernelILj256ELj5ElliEEv20rocsparse_direction_T3_S2_21rocsparse_index_base_PKT1_PKT2_PKS2_S2_S3_PS4_PS7_PS2_,comdat
	.globl	_ZN9rocsparseL32bsr2csr_block_per_row_2_7_kernelILj256ELj5ElliEEv20rocsparse_direction_T3_S2_21rocsparse_index_base_PKT1_PKT2_PKS2_S2_S3_PS4_PS7_PS2_ ; -- Begin function _ZN9rocsparseL32bsr2csr_block_per_row_2_7_kernelILj256ELj5ElliEEv20rocsparse_direction_T3_S2_21rocsparse_index_base_PKT1_PKT2_PKS2_S2_S3_PS4_PS7_PS2_
	.p2align	8
	.type	_ZN9rocsparseL32bsr2csr_block_per_row_2_7_kernelILj256ELj5ElliEEv20rocsparse_direction_T3_S2_21rocsparse_index_base_PKT1_PKT2_PKS2_S2_S3_PS4_PS7_PS2_,@function
_ZN9rocsparseL32bsr2csr_block_per_row_2_7_kernelILj256ELj5ElliEEv20rocsparse_direction_T3_S2_21rocsparse_index_base_PKT1_PKT2_PKS2_S2_S3_PS4_PS7_PS2_: ; @_ZN9rocsparseL32bsr2csr_block_per_row_2_7_kernelILj256ELj5ElliEEv20rocsparse_direction_T3_S2_21rocsparse_index_base_PKT1_PKT2_PKS2_S2_S3_PS4_PS7_PS2_
; %bb.0:
	s_clause 0x2
	s_load_dwordx2 s[0:1], s[4:5], 0x18
	s_load_dword s8, s[4:5], 0x2c
	s_load_dwordx2 s[10:11], s[4:5], 0x38
	s_ashr_i32 s7, s6, 31
	v_or_b32_e32 v1, s6, v0
	s_lshl_b64 s[2:3], s[6:7], 3
	s_waitcnt lgkmcnt(0)
	s_add_u32 s0, s0, s2
	s_addc_u32 s1, s1, s3
	s_mov_b32 s2, exec_lo
	v_cmpx_eq_u32_e32 0, v1
	s_cbranch_execz .LBB69_2
; %bb.1:
	v_mov_b32_e32 v1, s8
	v_mov_b32_e32 v2, 0
	global_store_dwordx2 v2, v[1:2], s[10:11]
.LBB69_2:
	s_or_b32 exec_lo, exec_lo, s2
	v_and_b32_e32 v4, 7, v0
	s_mov_b32 s2, exec_lo
	v_cmpx_gt_u32_e32 5, v4
	s_cbranch_execz .LBB69_6
; %bb.3:
	s_load_dwordx4 s[0:3], s[0:1], 0x0
	s_load_dword s7, s[4:5], 0xc
	s_mul_i32 s6, s6, 5
	v_mov_b32_e32 v2, 0
	v_add3_u32 v1, v4, s6, 1
	v_lshrrev_b32_e32 v5, 3, v0
	v_lshlrev_b64 v[6:7], 3, v[1:2]
	v_add_co_u32 v6, vcc_lo, s10, v6
	v_add_co_ci_u32_e64 v7, null, s11, v7, vcc_lo
	s_waitcnt lgkmcnt(0)
	s_sub_u32 s6, s0, s7
	s_subb_u32 s9, s1, 0
	s_mul_hi_u32 s12, s6, 25
	s_mul_i32 s13, s9, 25
	s_sub_u32 s2, s2, s7
	s_subb_u32 s3, s3, 0
	s_add_i32 s12, s12, s13
	s_sub_u32 s13, s2, s6
	s_subb_u32 s11, s3, s9
	s_mul_i32 s14, s13, 5
	s_mul_hi_u32 s13, s13, 5
	v_mad_u64_u32 v[2:3], null, s14, v4, 0
	s_mul_i32 s11, s11, 5
	s_mul_i32 s10, s6, 25
	s_add_i32 s13, s13, s11
	v_add_co_u32 v0, s6, s6, v5
	v_add_co_ci_u32_e64 v1, null, s9, 0, s6
	v_mad_u64_u32 v[8:9], null, s13, v4, v[3:4]
	s_add_u32 s6, s14, s8
	s_addc_u32 s9, s13, 0
	s_add_u32 s6, s6, s10
	s_addc_u32 s9, s9, s12
	v_add_co_u32 v9, vcc_lo, s6, v2
	v_add_co_ci_u32_e64 v10, null, s9, v8, vcc_lo
	v_cmp_gt_i64_e32 vcc_lo, s[2:3], v[0:1]
	v_mov_b32_e32 v3, v8
	s_mov_b32 s6, 0
	global_store_dwordx2 v[6:7], v[9:10], off
	s_and_b32 exec_lo, exec_lo, vcc_lo
	s_cbranch_execz .LBB69_6
; %bb.4:
	v_mad_u64_u32 v[6:7], null, s0, 25, v[2:3]
	s_clause 0x1
	s_load_dwordx2 s[10:11], s[4:5], 0x30
	s_load_dwordx2 s[12:13], s[4:5], 0x10
	v_mul_u32_u24_e32 v10, 5, v4
	v_lshlrev_b32_e32 v9, 3, v4
	v_lshlrev_b32_e32 v10, 3, v10
	v_mov_b32_e32 v2, v7
	v_mad_u64_u32 v[2:3], null, s1, 25, v[2:3]
	s_clause 0x2
	s_load_dwordx2 s[0:1], s[4:5], 0x20
	s_load_dword s9, s[4:5], 0x0
	s_load_dwordx2 s[4:5], s[4:5], 0x40
	v_mov_b32_e32 v7, v2
	s_waitcnt lgkmcnt(0)
	v_mad_u64_u32 v[2:3], null, 0xc8, v0, s[12:13]
	s_mul_i32 s13, s7, 25
	s_mul_hi_u32 s12, s7, 25
	v_mad_u64_u32 v[5:6], null, v5, 5, v[6:7]
	v_lshlrev_b64 v[7:8], 2, v[0:1]
	v_mad_u64_u32 v[11:12], null, 0xc8, v1, v[3:4]
	v_sub_co_u32 v5, vcc_lo, v5, s13
	v_subrev_co_ci_u32_e64 v6, null, s12, v6, vcc_lo
	v_add_co_u32 v3, vcc_lo, s0, v7
	v_add_co_ci_u32_e64 v4, null, s1, v8, vcc_lo
	v_lshlrev_b64 v[12:13], 3, v[5:6]
	v_lshlrev_b64 v[5:6], 2, v[5:6]
	s_cmp_eq_u32 s9, 0
	v_add_co_u32 v7, vcc_lo, s10, v12
	v_add_co_ci_u32_e64 v8, null, s11, v13, vcc_lo
	v_add_co_u32 v12, vcc_lo, s4, v5
	v_add_co_ci_u32_e64 v13, null, s5, v6, vcc_lo
	;; [unrolled: 2-line block ×4, first 2 shown]
	s_cselect_b32 vcc_lo, -1, 0
.LBB69_5:                               ; =>This Inner Loop Header: Depth=1
	v_add_co_u32 v14, s0, v2, v9
	v_add_co_ci_u32_e64 v15, null, 0, v11, s0
	v_add_co_u32 v16, s0, v2, v10
	v_add_co_ci_u32_e64 v17, null, 0, v11, s0
	global_load_dword v22, v[3:4], off
	v_add_co_u32 v18, s0, v16, 8
	v_add_co_ci_u32_e64 v19, null, 0, v17, s0
	v_add_co_u32 v20, s0, v14, 40
	v_add_co_ci_u32_e64 v21, null, 0, v15, s0
	;; [unrolled: 2-line block ×8, first 2 shown]
	v_cndmask_b32_e32 v13, v15, v17, vcc_lo
	v_cndmask_b32_e32 v12, v14, v16, vcc_lo
	;; [unrolled: 1-line block ×10, first 2 shown]
	global_load_dwordx2 v[12:13], v[12:13], off
	global_load_dwordx2 v[14:15], v[14:15], off
	global_load_dwordx2 v[16:17], v[16:17], off
	global_load_dwordx2 v[18:19], v[18:19], off
	global_load_dwordx2 v[24:25], v[20:21], off
	v_add_co_u32 v0, s0, v0, 32
	v_add_co_ci_u32_e64 v1, null, 0, v1, s0
	v_add_co_u32 v3, s0, 0x80, v3
	v_add_co_ci_u32_e64 v4, null, 0, v4, s0
	;; [unrolled: 2-line block ×3, first 2 shown]
	v_cmp_le_i64_e64 s0, s[2:3], v[0:1]
	s_waitcnt vmcnt(3)
	global_store_dwordx4 v[5:6], v[12:15], off offset:-16
	s_waitcnt vmcnt(1)
	global_store_dwordx4 v[5:6], v[16:19], off
	s_waitcnt vmcnt(0)
	global_store_dwordx2 v[5:6], v[24:25], off offset:16
	v_subrev_nc_u32_e32 v20, s7, v22
	v_add_co_u32 v5, s1, 0x500, v5
	v_add_co_ci_u32_e64 v6, null, 0, v6, s1
	v_mad_u64_u32 v[20:21], null, v20, 5, s[8:9]
	s_or_b32 s6, s0, s6
	v_add_nc_u32_e32 v21, 1, v20
	v_add_nc_u32_e32 v22, 2, v20
	;; [unrolled: 1-line block ×4, first 2 shown]
	global_store_dwordx4 v[7:8], v[20:23], off offset:-8
	global_store_dword v[7:8], v26, off offset:8
	v_add_co_u32 v7, s1, 0x280, v7
	v_add_co_ci_u32_e64 v8, null, 0, v8, s1
	s_andn2_b32 exec_lo, exec_lo, s6
	s_cbranch_execnz .LBB69_5
.LBB69_6:
	s_endpgm
	.section	.rodata,"a",@progbits
	.p2align	6, 0x0
	.amdhsa_kernel _ZN9rocsparseL32bsr2csr_block_per_row_2_7_kernelILj256ELj5ElliEEv20rocsparse_direction_T3_S2_21rocsparse_index_base_PKT1_PKT2_PKS2_S2_S3_PS4_PS7_PS2_
		.amdhsa_group_segment_fixed_size 0
		.amdhsa_private_segment_fixed_size 0
		.amdhsa_kernarg_size 72
		.amdhsa_user_sgpr_count 6
		.amdhsa_user_sgpr_private_segment_buffer 1
		.amdhsa_user_sgpr_dispatch_ptr 0
		.amdhsa_user_sgpr_queue_ptr 0
		.amdhsa_user_sgpr_kernarg_segment_ptr 1
		.amdhsa_user_sgpr_dispatch_id 0
		.amdhsa_user_sgpr_flat_scratch_init 0
		.amdhsa_user_sgpr_private_segment_size 0
		.amdhsa_wavefront_size32 1
		.amdhsa_uses_dynamic_stack 0
		.amdhsa_system_sgpr_private_segment_wavefront_offset 0
		.amdhsa_system_sgpr_workgroup_id_x 1
		.amdhsa_system_sgpr_workgroup_id_y 0
		.amdhsa_system_sgpr_workgroup_id_z 0
		.amdhsa_system_sgpr_workgroup_info 0
		.amdhsa_system_vgpr_workitem_id 0
		.amdhsa_next_free_vgpr 35
		.amdhsa_next_free_sgpr 15
		.amdhsa_reserve_vcc 1
		.amdhsa_reserve_flat_scratch 0
		.amdhsa_float_round_mode_32 0
		.amdhsa_float_round_mode_16_64 0
		.amdhsa_float_denorm_mode_32 3
		.amdhsa_float_denorm_mode_16_64 3
		.amdhsa_dx10_clamp 1
		.amdhsa_ieee_mode 1
		.amdhsa_fp16_overflow 0
		.amdhsa_workgroup_processor_mode 1
		.amdhsa_memory_ordered 1
		.amdhsa_forward_progress 1
		.amdhsa_shared_vgpr_count 0
		.amdhsa_exception_fp_ieee_invalid_op 0
		.amdhsa_exception_fp_denorm_src 0
		.amdhsa_exception_fp_ieee_div_zero 0
		.amdhsa_exception_fp_ieee_overflow 0
		.amdhsa_exception_fp_ieee_underflow 0
		.amdhsa_exception_fp_ieee_inexact 0
		.amdhsa_exception_int_div_zero 0
	.end_amdhsa_kernel
	.section	.text._ZN9rocsparseL32bsr2csr_block_per_row_2_7_kernelILj256ELj5ElliEEv20rocsparse_direction_T3_S2_21rocsparse_index_base_PKT1_PKT2_PKS2_S2_S3_PS4_PS7_PS2_,"axG",@progbits,_ZN9rocsparseL32bsr2csr_block_per_row_2_7_kernelILj256ELj5ElliEEv20rocsparse_direction_T3_S2_21rocsparse_index_base_PKT1_PKT2_PKS2_S2_S3_PS4_PS7_PS2_,comdat
.Lfunc_end69:
	.size	_ZN9rocsparseL32bsr2csr_block_per_row_2_7_kernelILj256ELj5ElliEEv20rocsparse_direction_T3_S2_21rocsparse_index_base_PKT1_PKT2_PKS2_S2_S3_PS4_PS7_PS2_, .Lfunc_end69-_ZN9rocsparseL32bsr2csr_block_per_row_2_7_kernelILj256ELj5ElliEEv20rocsparse_direction_T3_S2_21rocsparse_index_base_PKT1_PKT2_PKS2_S2_S3_PS4_PS7_PS2_
                                        ; -- End function
	.set _ZN9rocsparseL32bsr2csr_block_per_row_2_7_kernelILj256ELj5ElliEEv20rocsparse_direction_T3_S2_21rocsparse_index_base_PKT1_PKT2_PKS2_S2_S3_PS4_PS7_PS2_.num_vgpr, 35
	.set _ZN9rocsparseL32bsr2csr_block_per_row_2_7_kernelILj256ELj5ElliEEv20rocsparse_direction_T3_S2_21rocsparse_index_base_PKT1_PKT2_PKS2_S2_S3_PS4_PS7_PS2_.num_agpr, 0
	.set _ZN9rocsparseL32bsr2csr_block_per_row_2_7_kernelILj256ELj5ElliEEv20rocsparse_direction_T3_S2_21rocsparse_index_base_PKT1_PKT2_PKS2_S2_S3_PS4_PS7_PS2_.numbered_sgpr, 15
	.set _ZN9rocsparseL32bsr2csr_block_per_row_2_7_kernelILj256ELj5ElliEEv20rocsparse_direction_T3_S2_21rocsparse_index_base_PKT1_PKT2_PKS2_S2_S3_PS4_PS7_PS2_.num_named_barrier, 0
	.set _ZN9rocsparseL32bsr2csr_block_per_row_2_7_kernelILj256ELj5ElliEEv20rocsparse_direction_T3_S2_21rocsparse_index_base_PKT1_PKT2_PKS2_S2_S3_PS4_PS7_PS2_.private_seg_size, 0
	.set _ZN9rocsparseL32bsr2csr_block_per_row_2_7_kernelILj256ELj5ElliEEv20rocsparse_direction_T3_S2_21rocsparse_index_base_PKT1_PKT2_PKS2_S2_S3_PS4_PS7_PS2_.uses_vcc, 1
	.set _ZN9rocsparseL32bsr2csr_block_per_row_2_7_kernelILj256ELj5ElliEEv20rocsparse_direction_T3_S2_21rocsparse_index_base_PKT1_PKT2_PKS2_S2_S3_PS4_PS7_PS2_.uses_flat_scratch, 0
	.set _ZN9rocsparseL32bsr2csr_block_per_row_2_7_kernelILj256ELj5ElliEEv20rocsparse_direction_T3_S2_21rocsparse_index_base_PKT1_PKT2_PKS2_S2_S3_PS4_PS7_PS2_.has_dyn_sized_stack, 0
	.set _ZN9rocsparseL32bsr2csr_block_per_row_2_7_kernelILj256ELj5ElliEEv20rocsparse_direction_T3_S2_21rocsparse_index_base_PKT1_PKT2_PKS2_S2_S3_PS4_PS7_PS2_.has_recursion, 0
	.set _ZN9rocsparseL32bsr2csr_block_per_row_2_7_kernelILj256ELj5ElliEEv20rocsparse_direction_T3_S2_21rocsparse_index_base_PKT1_PKT2_PKS2_S2_S3_PS4_PS7_PS2_.has_indirect_call, 0
	.section	.AMDGPU.csdata,"",@progbits
; Kernel info:
; codeLenInByte = 1028
; TotalNumSgprs: 17
; NumVgprs: 35
; ScratchSize: 0
; MemoryBound: 0
; FloatMode: 240
; IeeeMode: 1
; LDSByteSize: 0 bytes/workgroup (compile time only)
; SGPRBlocks: 0
; VGPRBlocks: 4
; NumSGPRsForWavesPerEU: 17
; NumVGPRsForWavesPerEU: 35
; Occupancy: 16
; WaveLimiterHint : 0
; COMPUTE_PGM_RSRC2:SCRATCH_EN: 0
; COMPUTE_PGM_RSRC2:USER_SGPR: 6
; COMPUTE_PGM_RSRC2:TRAP_HANDLER: 0
; COMPUTE_PGM_RSRC2:TGID_X_EN: 1
; COMPUTE_PGM_RSRC2:TGID_Y_EN: 0
; COMPUTE_PGM_RSRC2:TGID_Z_EN: 0
; COMPUTE_PGM_RSRC2:TIDIG_COMP_CNT: 0
	.section	.text._ZN9rocsparseL32bsr2csr_block_per_row_2_7_kernelILj256ELj6ElliEEv20rocsparse_direction_T3_S2_21rocsparse_index_base_PKT1_PKT2_PKS2_S2_S3_PS4_PS7_PS2_,"axG",@progbits,_ZN9rocsparseL32bsr2csr_block_per_row_2_7_kernelILj256ELj6ElliEEv20rocsparse_direction_T3_S2_21rocsparse_index_base_PKT1_PKT2_PKS2_S2_S3_PS4_PS7_PS2_,comdat
	.globl	_ZN9rocsparseL32bsr2csr_block_per_row_2_7_kernelILj256ELj6ElliEEv20rocsparse_direction_T3_S2_21rocsparse_index_base_PKT1_PKT2_PKS2_S2_S3_PS4_PS7_PS2_ ; -- Begin function _ZN9rocsparseL32bsr2csr_block_per_row_2_7_kernelILj256ELj6ElliEEv20rocsparse_direction_T3_S2_21rocsparse_index_base_PKT1_PKT2_PKS2_S2_S3_PS4_PS7_PS2_
	.p2align	8
	.type	_ZN9rocsparseL32bsr2csr_block_per_row_2_7_kernelILj256ELj6ElliEEv20rocsparse_direction_T3_S2_21rocsparse_index_base_PKT1_PKT2_PKS2_S2_S3_PS4_PS7_PS2_,@function
_ZN9rocsparseL32bsr2csr_block_per_row_2_7_kernelILj256ELj6ElliEEv20rocsparse_direction_T3_S2_21rocsparse_index_base_PKT1_PKT2_PKS2_S2_S3_PS4_PS7_PS2_: ; @_ZN9rocsparseL32bsr2csr_block_per_row_2_7_kernelILj256ELj6ElliEEv20rocsparse_direction_T3_S2_21rocsparse_index_base_PKT1_PKT2_PKS2_S2_S3_PS4_PS7_PS2_
; %bb.0:
	s_clause 0x2
	s_load_dwordx2 s[0:1], s[4:5], 0x18
	s_load_dword s8, s[4:5], 0x2c
	s_load_dwordx2 s[10:11], s[4:5], 0x38
	s_ashr_i32 s7, s6, 31
	v_or_b32_e32 v1, s6, v0
	s_lshl_b64 s[2:3], s[6:7], 3
	s_waitcnt lgkmcnt(0)
	s_add_u32 s0, s0, s2
	s_addc_u32 s1, s1, s3
	s_mov_b32 s2, exec_lo
	v_cmpx_eq_u32_e32 0, v1
	s_cbranch_execz .LBB70_2
; %bb.1:
	v_mov_b32_e32 v1, s8
	v_mov_b32_e32 v2, 0
	global_store_dwordx2 v2, v[1:2], s[10:11]
.LBB70_2:
	s_or_b32 exec_lo, exec_lo, s2
	v_and_b32_e32 v4, 7, v0
	s_mov_b32 s2, exec_lo
	v_cmpx_gt_u32_e32 6, v4
	s_cbranch_execz .LBB70_6
; %bb.3:
	s_load_dwordx4 s[0:3], s[0:1], 0x0
	s_load_dword s7, s[4:5], 0xc
	s_mul_i32 s6, s6, 6
	v_mov_b32_e32 v2, 0
	v_add3_u32 v1, v4, s6, 1
	v_lshrrev_b32_e32 v5, 3, v0
	v_lshlrev_b64 v[6:7], 3, v[1:2]
	v_add_co_u32 v6, vcc_lo, s10, v6
	v_add_co_ci_u32_e64 v7, null, s11, v7, vcc_lo
	s_waitcnt lgkmcnt(0)
	s_sub_u32 s6, s0, s7
	s_subb_u32 s9, s1, 0
	s_mul_hi_u32 s12, s6, 36
	s_mul_i32 s13, s9, 36
	s_sub_u32 s2, s2, s7
	s_subb_u32 s3, s3, 0
	s_add_i32 s12, s12, s13
	s_sub_u32 s13, s2, s6
	s_subb_u32 s11, s3, s9
	s_mul_i32 s14, s13, 6
	s_mul_hi_u32 s13, s13, 6
	v_mad_u64_u32 v[2:3], null, s14, v4, 0
	s_mul_i32 s11, s11, 6
	s_mul_i32 s10, s6, 36
	s_add_i32 s13, s13, s11
	v_add_co_u32 v0, s6, s6, v5
	v_add_co_ci_u32_e64 v1, null, s9, 0, s6
	v_mad_u64_u32 v[8:9], null, s13, v4, v[3:4]
	s_add_u32 s6, s14, s8
	s_addc_u32 s9, s13, 0
	s_add_u32 s6, s6, s10
	s_addc_u32 s9, s9, s12
	v_add_co_u32 v9, vcc_lo, s6, v2
	v_add_co_ci_u32_e64 v10, null, s9, v8, vcc_lo
	v_cmp_gt_i64_e32 vcc_lo, s[2:3], v[0:1]
	v_mov_b32_e32 v3, v8
	s_mov_b32 s6, 0
	global_store_dwordx2 v[6:7], v[9:10], off
	s_and_b32 exec_lo, exec_lo, vcc_lo
	s_cbranch_execz .LBB70_6
; %bb.4:
	v_mad_u64_u32 v[6:7], null, s0, 36, v[2:3]
	s_clause 0x1
	s_load_dwordx2 s[10:11], s[4:5], 0x30
	s_load_dwordx2 s[12:13], s[4:5], 0x10
	v_mul_u32_u24_e32 v10, 6, v4
	v_lshlrev_b32_e32 v9, 3, v4
	v_lshlrev_b32_e32 v10, 3, v10
	v_mov_b32_e32 v2, v7
	v_mad_u64_u32 v[2:3], null, s1, 36, v[2:3]
	s_clause 0x2
	s_load_dwordx2 s[0:1], s[4:5], 0x20
	s_load_dword s9, s[4:5], 0x0
	s_load_dwordx2 s[4:5], s[4:5], 0x40
	v_mov_b32_e32 v7, v2
	s_waitcnt lgkmcnt(0)
	v_mad_u64_u32 v[2:3], null, 0x120, v0, s[12:13]
	s_mul_i32 s13, s7, 36
	s_mul_hi_u32 s12, s7, 36
	v_mad_u64_u32 v[5:6], null, v5, 6, v[6:7]
	v_lshlrev_b64 v[7:8], 2, v[0:1]
	v_mad_u64_u32 v[11:12], null, 0x120, v1, v[3:4]
	v_sub_co_u32 v5, vcc_lo, v5, s13
	v_subrev_co_ci_u32_e64 v6, null, s12, v6, vcc_lo
	v_add_co_u32 v3, vcc_lo, s0, v7
	v_add_co_ci_u32_e64 v4, null, s1, v8, vcc_lo
	v_lshlrev_b64 v[12:13], 3, v[5:6]
	v_lshlrev_b64 v[5:6], 2, v[5:6]
	s_cmp_eq_u32 s9, 0
	v_add_co_u32 v7, vcc_lo, s10, v12
	v_add_co_ci_u32_e64 v8, null, s11, v13, vcc_lo
	v_add_co_u32 v12, vcc_lo, s4, v5
	v_add_co_ci_u32_e64 v13, null, s5, v6, vcc_lo
	;; [unrolled: 2-line block ×4, first 2 shown]
	s_cselect_b32 vcc_lo, -1, 0
.LBB70_5:                               ; =>This Inner Loop Header: Depth=1
	v_add_co_u32 v14, s0, v2, v9
	v_add_co_ci_u32_e64 v15, null, 0, v11, s0
	v_add_co_u32 v16, s0, v2, v10
	v_add_co_ci_u32_e64 v17, null, 0, v11, s0
	global_load_dword v24, v[3:4], off
	v_add_co_u32 v18, s0, v16, 8
	v_add_co_ci_u32_e64 v19, null, 0, v17, s0
	v_add_co_u32 v20, s0, v14, 48
	v_add_co_ci_u32_e64 v21, null, 0, v15, s0
	;; [unrolled: 2-line block ×10, first 2 shown]
	v_cndmask_b32_e32 v13, v15, v17, vcc_lo
	v_cndmask_b32_e32 v12, v14, v16, vcc_lo
	;; [unrolled: 1-line block ×12, first 2 shown]
	global_load_dwordx2 v[12:13], v[12:13], off
	global_load_dwordx2 v[14:15], v[14:15], off
	;; [unrolled: 1-line block ×6, first 2 shown]
	v_add_co_u32 v0, s0, v0, 32
	v_add_co_ci_u32_e64 v1, null, 0, v1, s0
	v_add_co_u32 v3, s0, 0x80, v3
	v_add_co_ci_u32_e64 v4, null, 0, v4, s0
	;; [unrolled: 2-line block ×3, first 2 shown]
	v_cmp_le_i64_e64 s0, s[2:3], v[0:1]
	s_waitcnt vmcnt(4)
	global_store_dwordx4 v[5:6], v[12:15], off offset:-24
	s_waitcnt vmcnt(2)
	global_store_dwordx4 v[5:6], v[16:19], off offset:-8
	s_waitcnt vmcnt(0)
	global_store_dwordx4 v[5:6], v[20:23], off offset:8
	v_subrev_nc_u32_e32 v24, s7, v24
	v_add_co_u32 v5, s1, 0x600, v5
	v_add_co_ci_u32_e64 v6, null, 0, v6, s1
	v_mad_u64_u32 v[24:25], null, v24, 6, s[8:9]
	s_or_b32 s6, s0, s6
	v_add_nc_u32_e32 v25, 1, v24
	v_add_nc_u32_e32 v26, 2, v24
	;; [unrolled: 1-line block ×5, first 2 shown]
	global_store_dwordx4 v[7:8], v[24:27], off offset:-12
	global_store_dwordx2 v[7:8], v[28:29], off offset:4
	v_add_co_u32 v7, s1, 0x300, v7
	v_add_co_ci_u32_e64 v8, null, 0, v8, s1
	s_andn2_b32 exec_lo, exec_lo, s6
	s_cbranch_execnz .LBB70_5
.LBB70_6:
	s_endpgm
	.section	.rodata,"a",@progbits
	.p2align	6, 0x0
	.amdhsa_kernel _ZN9rocsparseL32bsr2csr_block_per_row_2_7_kernelILj256ELj6ElliEEv20rocsparse_direction_T3_S2_21rocsparse_index_base_PKT1_PKT2_PKS2_S2_S3_PS4_PS7_PS2_
		.amdhsa_group_segment_fixed_size 0
		.amdhsa_private_segment_fixed_size 0
		.amdhsa_kernarg_size 72
		.amdhsa_user_sgpr_count 6
		.amdhsa_user_sgpr_private_segment_buffer 1
		.amdhsa_user_sgpr_dispatch_ptr 0
		.amdhsa_user_sgpr_queue_ptr 0
		.amdhsa_user_sgpr_kernarg_segment_ptr 1
		.amdhsa_user_sgpr_dispatch_id 0
		.amdhsa_user_sgpr_flat_scratch_init 0
		.amdhsa_user_sgpr_private_segment_size 0
		.amdhsa_wavefront_size32 1
		.amdhsa_uses_dynamic_stack 0
		.amdhsa_system_sgpr_private_segment_wavefront_offset 0
		.amdhsa_system_sgpr_workgroup_id_x 1
		.amdhsa_system_sgpr_workgroup_id_y 0
		.amdhsa_system_sgpr_workgroup_id_z 0
		.amdhsa_system_sgpr_workgroup_info 0
		.amdhsa_system_vgpr_workitem_id 0
		.amdhsa_next_free_vgpr 39
		.amdhsa_next_free_sgpr 15
		.amdhsa_reserve_vcc 1
		.amdhsa_reserve_flat_scratch 0
		.amdhsa_float_round_mode_32 0
		.amdhsa_float_round_mode_16_64 0
		.amdhsa_float_denorm_mode_32 3
		.amdhsa_float_denorm_mode_16_64 3
		.amdhsa_dx10_clamp 1
		.amdhsa_ieee_mode 1
		.amdhsa_fp16_overflow 0
		.amdhsa_workgroup_processor_mode 1
		.amdhsa_memory_ordered 1
		.amdhsa_forward_progress 1
		.amdhsa_shared_vgpr_count 0
		.amdhsa_exception_fp_ieee_invalid_op 0
		.amdhsa_exception_fp_denorm_src 0
		.amdhsa_exception_fp_ieee_div_zero 0
		.amdhsa_exception_fp_ieee_overflow 0
		.amdhsa_exception_fp_ieee_underflow 0
		.amdhsa_exception_fp_ieee_inexact 0
		.amdhsa_exception_int_div_zero 0
	.end_amdhsa_kernel
	.section	.text._ZN9rocsparseL32bsr2csr_block_per_row_2_7_kernelILj256ELj6ElliEEv20rocsparse_direction_T3_S2_21rocsparse_index_base_PKT1_PKT2_PKS2_S2_S3_PS4_PS7_PS2_,"axG",@progbits,_ZN9rocsparseL32bsr2csr_block_per_row_2_7_kernelILj256ELj6ElliEEv20rocsparse_direction_T3_S2_21rocsparse_index_base_PKT1_PKT2_PKS2_S2_S3_PS4_PS7_PS2_,comdat
.Lfunc_end70:
	.size	_ZN9rocsparseL32bsr2csr_block_per_row_2_7_kernelILj256ELj6ElliEEv20rocsparse_direction_T3_S2_21rocsparse_index_base_PKT1_PKT2_PKS2_S2_S3_PS4_PS7_PS2_, .Lfunc_end70-_ZN9rocsparseL32bsr2csr_block_per_row_2_7_kernelILj256ELj6ElliEEv20rocsparse_direction_T3_S2_21rocsparse_index_base_PKT1_PKT2_PKS2_S2_S3_PS4_PS7_PS2_
                                        ; -- End function
	.set _ZN9rocsparseL32bsr2csr_block_per_row_2_7_kernelILj256ELj6ElliEEv20rocsparse_direction_T3_S2_21rocsparse_index_base_PKT1_PKT2_PKS2_S2_S3_PS4_PS7_PS2_.num_vgpr, 39
	.set _ZN9rocsparseL32bsr2csr_block_per_row_2_7_kernelILj256ELj6ElliEEv20rocsparse_direction_T3_S2_21rocsparse_index_base_PKT1_PKT2_PKS2_S2_S3_PS4_PS7_PS2_.num_agpr, 0
	.set _ZN9rocsparseL32bsr2csr_block_per_row_2_7_kernelILj256ELj6ElliEEv20rocsparse_direction_T3_S2_21rocsparse_index_base_PKT1_PKT2_PKS2_S2_S3_PS4_PS7_PS2_.numbered_sgpr, 15
	.set _ZN9rocsparseL32bsr2csr_block_per_row_2_7_kernelILj256ELj6ElliEEv20rocsparse_direction_T3_S2_21rocsparse_index_base_PKT1_PKT2_PKS2_S2_S3_PS4_PS7_PS2_.num_named_barrier, 0
	.set _ZN9rocsparseL32bsr2csr_block_per_row_2_7_kernelILj256ELj6ElliEEv20rocsparse_direction_T3_S2_21rocsparse_index_base_PKT1_PKT2_PKS2_S2_S3_PS4_PS7_PS2_.private_seg_size, 0
	.set _ZN9rocsparseL32bsr2csr_block_per_row_2_7_kernelILj256ELj6ElliEEv20rocsparse_direction_T3_S2_21rocsparse_index_base_PKT1_PKT2_PKS2_S2_S3_PS4_PS7_PS2_.uses_vcc, 1
	.set _ZN9rocsparseL32bsr2csr_block_per_row_2_7_kernelILj256ELj6ElliEEv20rocsparse_direction_T3_S2_21rocsparse_index_base_PKT1_PKT2_PKS2_S2_S3_PS4_PS7_PS2_.uses_flat_scratch, 0
	.set _ZN9rocsparseL32bsr2csr_block_per_row_2_7_kernelILj256ELj6ElliEEv20rocsparse_direction_T3_S2_21rocsparse_index_base_PKT1_PKT2_PKS2_S2_S3_PS4_PS7_PS2_.has_dyn_sized_stack, 0
	.set _ZN9rocsparseL32bsr2csr_block_per_row_2_7_kernelILj256ELj6ElliEEv20rocsparse_direction_T3_S2_21rocsparse_index_base_PKT1_PKT2_PKS2_S2_S3_PS4_PS7_PS2_.has_recursion, 0
	.set _ZN9rocsparseL32bsr2csr_block_per_row_2_7_kernelILj256ELj6ElliEEv20rocsparse_direction_T3_S2_21rocsparse_index_base_PKT1_PKT2_PKS2_S2_S3_PS4_PS7_PS2_.has_indirect_call, 0
	.section	.AMDGPU.csdata,"",@progbits
; Kernel info:
; codeLenInByte = 1084
; TotalNumSgprs: 17
; NumVgprs: 39
; ScratchSize: 0
; MemoryBound: 0
; FloatMode: 240
; IeeeMode: 1
; LDSByteSize: 0 bytes/workgroup (compile time only)
; SGPRBlocks: 0
; VGPRBlocks: 4
; NumSGPRsForWavesPerEU: 17
; NumVGPRsForWavesPerEU: 39
; Occupancy: 16
; WaveLimiterHint : 0
; COMPUTE_PGM_RSRC2:SCRATCH_EN: 0
; COMPUTE_PGM_RSRC2:USER_SGPR: 6
; COMPUTE_PGM_RSRC2:TRAP_HANDLER: 0
; COMPUTE_PGM_RSRC2:TGID_X_EN: 1
; COMPUTE_PGM_RSRC2:TGID_Y_EN: 0
; COMPUTE_PGM_RSRC2:TGID_Z_EN: 0
; COMPUTE_PGM_RSRC2:TIDIG_COMP_CNT: 0
	.section	.text._ZN9rocsparseL32bsr2csr_block_per_row_2_7_kernelILj256ELj7ElliEEv20rocsparse_direction_T3_S2_21rocsparse_index_base_PKT1_PKT2_PKS2_S2_S3_PS4_PS7_PS2_,"axG",@progbits,_ZN9rocsparseL32bsr2csr_block_per_row_2_7_kernelILj256ELj7ElliEEv20rocsparse_direction_T3_S2_21rocsparse_index_base_PKT1_PKT2_PKS2_S2_S3_PS4_PS7_PS2_,comdat
	.globl	_ZN9rocsparseL32bsr2csr_block_per_row_2_7_kernelILj256ELj7ElliEEv20rocsparse_direction_T3_S2_21rocsparse_index_base_PKT1_PKT2_PKS2_S2_S3_PS4_PS7_PS2_ ; -- Begin function _ZN9rocsparseL32bsr2csr_block_per_row_2_7_kernelILj256ELj7ElliEEv20rocsparse_direction_T3_S2_21rocsparse_index_base_PKT1_PKT2_PKS2_S2_S3_PS4_PS7_PS2_
	.p2align	8
	.type	_ZN9rocsparseL32bsr2csr_block_per_row_2_7_kernelILj256ELj7ElliEEv20rocsparse_direction_T3_S2_21rocsparse_index_base_PKT1_PKT2_PKS2_S2_S3_PS4_PS7_PS2_,@function
_ZN9rocsparseL32bsr2csr_block_per_row_2_7_kernelILj256ELj7ElliEEv20rocsparse_direction_T3_S2_21rocsparse_index_base_PKT1_PKT2_PKS2_S2_S3_PS4_PS7_PS2_: ; @_ZN9rocsparseL32bsr2csr_block_per_row_2_7_kernelILj256ELj7ElliEEv20rocsparse_direction_T3_S2_21rocsparse_index_base_PKT1_PKT2_PKS2_S2_S3_PS4_PS7_PS2_
; %bb.0:
	s_clause 0x2
	s_load_dwordx2 s[0:1], s[4:5], 0x18
	s_load_dword s8, s[4:5], 0x2c
	s_load_dwordx2 s[10:11], s[4:5], 0x38
	s_ashr_i32 s7, s6, 31
	v_or_b32_e32 v1, s6, v0
	s_lshl_b64 s[2:3], s[6:7], 3
	s_waitcnt lgkmcnt(0)
	s_add_u32 s0, s0, s2
	s_addc_u32 s1, s1, s3
	s_mov_b32 s2, exec_lo
	v_cmpx_eq_u32_e32 0, v1
	s_cbranch_execz .LBB71_2
; %bb.1:
	v_mov_b32_e32 v1, s8
	v_mov_b32_e32 v2, 0
	global_store_dwordx2 v2, v[1:2], s[10:11]
.LBB71_2:
	s_or_b32 exec_lo, exec_lo, s2
	v_and_b32_e32 v4, 7, v0
	s_mov_b32 s2, exec_lo
	v_cmpx_ne_u32_e32 7, v4
	s_cbranch_execz .LBB71_6
; %bb.3:
	s_load_dwordx4 s[0:3], s[0:1], 0x0
	s_load_dword s7, s[4:5], 0xc
	s_mul_i32 s6, s6, 7
	v_mov_b32_e32 v2, 0
	v_add3_u32 v1, v4, s6, 1
	v_lshrrev_b32_e32 v5, 3, v0
	v_lshlrev_b64 v[6:7], 3, v[1:2]
	v_add_co_u32 v6, vcc_lo, s10, v6
	v_add_co_ci_u32_e64 v7, null, s11, v7, vcc_lo
	s_waitcnt lgkmcnt(0)
	s_sub_u32 s6, s0, s7
	s_subb_u32 s9, s1, 0
	s_mul_hi_u32 s12, s6, 49
	s_mul_i32 s13, s9, 49
	s_sub_u32 s2, s2, s7
	s_subb_u32 s3, s3, 0
	s_add_i32 s12, s12, s13
	s_sub_u32 s13, s2, s6
	s_subb_u32 s11, s3, s9
	s_mul_i32 s14, s13, 7
	s_mul_hi_u32 s13, s13, 7
	v_mad_u64_u32 v[2:3], null, s14, v4, 0
	s_mul_i32 s11, s11, 7
	s_mul_i32 s10, s6, 49
	s_add_i32 s13, s13, s11
	v_add_co_u32 v0, s6, s6, v5
	v_add_co_ci_u32_e64 v1, null, s9, 0, s6
	v_mad_u64_u32 v[8:9], null, s13, v4, v[3:4]
	s_add_u32 s6, s14, s8
	s_addc_u32 s9, s13, 0
	s_add_u32 s6, s6, s10
	s_addc_u32 s9, s9, s12
	v_add_co_u32 v9, vcc_lo, s6, v2
	v_add_co_ci_u32_e64 v10, null, s9, v8, vcc_lo
	v_cmp_gt_i64_e32 vcc_lo, s[2:3], v[0:1]
	v_mov_b32_e32 v3, v8
	s_mov_b32 s6, 0
	global_store_dwordx2 v[6:7], v[9:10], off
	s_and_b32 exec_lo, exec_lo, vcc_lo
	s_cbranch_execz .LBB71_6
; %bb.4:
	v_mad_u64_u32 v[6:7], null, s0, 49, v[2:3]
	s_clause 0x1
	s_load_dwordx2 s[10:11], s[4:5], 0x30
	s_load_dwordx2 s[12:13], s[4:5], 0x10
	v_mul_u32_u24_e32 v10, 7, v4
	v_lshlrev_b32_e32 v9, 3, v4
	v_lshlrev_b32_e32 v10, 3, v10
	v_mov_b32_e32 v2, v7
	v_mad_u64_u32 v[2:3], null, s1, 49, v[2:3]
	s_clause 0x2
	s_load_dwordx2 s[0:1], s[4:5], 0x20
	s_load_dword s9, s[4:5], 0x0
	s_load_dwordx2 s[4:5], s[4:5], 0x40
	v_mov_b32_e32 v7, v2
	s_waitcnt lgkmcnt(0)
	v_mad_u64_u32 v[2:3], null, 0x188, v0, s[12:13]
	s_mul_i32 s13, s7, 49
	s_mul_hi_u32 s12, s7, 49
	v_mad_u64_u32 v[5:6], null, v5, 7, v[6:7]
	v_lshlrev_b64 v[7:8], 2, v[0:1]
	v_mad_u64_u32 v[11:12], null, 0x188, v1, v[3:4]
	v_sub_co_u32 v5, vcc_lo, v5, s13
	v_subrev_co_ci_u32_e64 v6, null, s12, v6, vcc_lo
	v_add_co_u32 v3, vcc_lo, s0, v7
	v_add_co_ci_u32_e64 v4, null, s1, v8, vcc_lo
	v_lshlrev_b64 v[12:13], 3, v[5:6]
	v_lshlrev_b64 v[5:6], 2, v[5:6]
	s_cmp_eq_u32 s9, 0
	v_add_co_u32 v7, vcc_lo, s10, v12
	v_add_co_ci_u32_e64 v8, null, s11, v13, vcc_lo
	v_add_co_u32 v12, vcc_lo, s4, v5
	v_add_co_ci_u32_e64 v13, null, s5, v6, vcc_lo
	v_add_co_u32 v5, vcc_lo, v7, 24
	v_add_co_ci_u32_e64 v6, null, 0, v8, vcc_lo
	v_add_co_u32 v7, vcc_lo, v12, 12
	v_add_co_ci_u32_e64 v8, null, 0, v13, vcc_lo
	s_cselect_b32 vcc_lo, -1, 0
.LBB71_5:                               ; =>This Inner Loop Header: Depth=1
	v_add_co_u32 v14, s0, v2, v9
	v_add_co_ci_u32_e64 v15, null, 0, v11, s0
	v_add_co_u32 v16, s0, v2, v10
	v_add_co_ci_u32_e64 v17, null, 0, v11, s0
	global_load_dword v26, v[3:4], off
	v_add_co_u32 v18, s0, v16, 8
	v_add_co_ci_u32_e64 v19, null, 0, v17, s0
	v_add_co_u32 v20, s0, v14, 56
	v_add_co_ci_u32_e64 v21, null, 0, v15, s0
	;; [unrolled: 2-line block ×11, first 2 shown]
	v_add_co_u32 v41, s0, 0x150, v14
	v_cndmask_b32_e32 v13, v15, v17, vcc_lo
	v_cndmask_b32_e32 v12, v14, v16, vcc_lo
	v_add_co_ci_u32_e64 v42, null, 0, v15, s0
	v_cndmask_b32_e32 v15, v21, v19, vcc_lo
	v_cndmask_b32_e32 v14, v20, v18, vcc_lo
	v_cndmask_b32_e32 v17, v25, v23, vcc_lo
	v_cndmask_b32_e32 v16, v24, v22, vcc_lo
	v_cndmask_b32_e32 v19, v30, v28, vcc_lo
	v_cndmask_b32_e32 v18, v29, v27, vcc_lo
	v_cndmask_b32_e32 v21, v34, v32, vcc_lo
	v_cndmask_b32_e32 v20, v33, v31, vcc_lo
	v_cndmask_b32_e32 v23, v38, v36, vcc_lo
	v_cndmask_b32_e32 v22, v37, v35, vcc_lo
	global_load_dwordx2 v[12:13], v[12:13], off
	v_cndmask_b32_e32 v25, v42, v40, vcc_lo
	v_cndmask_b32_e32 v24, v41, v39, vcc_lo
	global_load_dwordx2 v[14:15], v[14:15], off
	global_load_dwordx2 v[16:17], v[16:17], off
	;; [unrolled: 1-line block ×6, first 2 shown]
	v_add_co_u32 v0, s0, v0, 32
	v_add_co_ci_u32_e64 v1, null, 0, v1, s0
	v_add_co_u32 v3, s0, 0x80, v3
	v_add_co_ci_u32_e64 v4, null, 0, v4, s0
	;; [unrolled: 2-line block ×3, first 2 shown]
	v_cmp_le_i64_e64 s0, s[2:3], v[0:1]
	s_waitcnt vmcnt(5)
	global_store_dwordx4 v[5:6], v[12:15], off offset:-24
	s_waitcnt vmcnt(3)
	global_store_dwordx4 v[5:6], v[16:19], off offset:-8
	s_waitcnt vmcnt(1)
	global_store_dwordx4 v[5:6], v[20:23], off offset:8
	s_waitcnt vmcnt(0)
	global_store_dwordx2 v[5:6], v[31:32], off offset:24
	v_subrev_nc_u32_e32 v24, s7, v26
	v_add_co_u32 v5, s1, 0x700, v5
	v_add_co_ci_u32_e64 v6, null, 0, v6, s1
	v_mad_u64_u32 v[24:25], null, v24, 7, s[8:9]
	s_or_b32 s6, s0, s6
	v_add_nc_u32_e32 v25, 1, v24
	v_add_nc_u32_e32 v26, 2, v24
	;; [unrolled: 1-line block ×6, first 2 shown]
	global_store_dwordx4 v[7:8], v[24:27], off offset:-12
	global_store_dwordx3 v[7:8], v[28:30], off offset:4
	v_add_co_u32 v7, s1, 0x380, v7
	v_add_co_ci_u32_e64 v8, null, 0, v8, s1
	s_andn2_b32 exec_lo, exec_lo, s6
	s_cbranch_execnz .LBB71_5
.LBB71_6:
	s_endpgm
	.section	.rodata,"a",@progbits
	.p2align	6, 0x0
	.amdhsa_kernel _ZN9rocsparseL32bsr2csr_block_per_row_2_7_kernelILj256ELj7ElliEEv20rocsparse_direction_T3_S2_21rocsparse_index_base_PKT1_PKT2_PKS2_S2_S3_PS4_PS7_PS2_
		.amdhsa_group_segment_fixed_size 0
		.amdhsa_private_segment_fixed_size 0
		.amdhsa_kernarg_size 72
		.amdhsa_user_sgpr_count 6
		.amdhsa_user_sgpr_private_segment_buffer 1
		.amdhsa_user_sgpr_dispatch_ptr 0
		.amdhsa_user_sgpr_queue_ptr 0
		.amdhsa_user_sgpr_kernarg_segment_ptr 1
		.amdhsa_user_sgpr_dispatch_id 0
		.amdhsa_user_sgpr_flat_scratch_init 0
		.amdhsa_user_sgpr_private_segment_size 0
		.amdhsa_wavefront_size32 1
		.amdhsa_uses_dynamic_stack 0
		.amdhsa_system_sgpr_private_segment_wavefront_offset 0
		.amdhsa_system_sgpr_workgroup_id_x 1
		.amdhsa_system_sgpr_workgroup_id_y 0
		.amdhsa_system_sgpr_workgroup_id_z 0
		.amdhsa_system_sgpr_workgroup_info 0
		.amdhsa_system_vgpr_workitem_id 0
		.amdhsa_next_free_vgpr 43
		.amdhsa_next_free_sgpr 15
		.amdhsa_reserve_vcc 1
		.amdhsa_reserve_flat_scratch 0
		.amdhsa_float_round_mode_32 0
		.amdhsa_float_round_mode_16_64 0
		.amdhsa_float_denorm_mode_32 3
		.amdhsa_float_denorm_mode_16_64 3
		.amdhsa_dx10_clamp 1
		.amdhsa_ieee_mode 1
		.amdhsa_fp16_overflow 0
		.amdhsa_workgroup_processor_mode 1
		.amdhsa_memory_ordered 1
		.amdhsa_forward_progress 1
		.amdhsa_shared_vgpr_count 0
		.amdhsa_exception_fp_ieee_invalid_op 0
		.amdhsa_exception_fp_denorm_src 0
		.amdhsa_exception_fp_ieee_div_zero 0
		.amdhsa_exception_fp_ieee_overflow 0
		.amdhsa_exception_fp_ieee_underflow 0
		.amdhsa_exception_fp_ieee_inexact 0
		.amdhsa_exception_int_div_zero 0
	.end_amdhsa_kernel
	.section	.text._ZN9rocsparseL32bsr2csr_block_per_row_2_7_kernelILj256ELj7ElliEEv20rocsparse_direction_T3_S2_21rocsparse_index_base_PKT1_PKT2_PKS2_S2_S3_PS4_PS7_PS2_,"axG",@progbits,_ZN9rocsparseL32bsr2csr_block_per_row_2_7_kernelILj256ELj7ElliEEv20rocsparse_direction_T3_S2_21rocsparse_index_base_PKT1_PKT2_PKS2_S2_S3_PS4_PS7_PS2_,comdat
.Lfunc_end71:
	.size	_ZN9rocsparseL32bsr2csr_block_per_row_2_7_kernelILj256ELj7ElliEEv20rocsparse_direction_T3_S2_21rocsparse_index_base_PKT1_PKT2_PKS2_S2_S3_PS4_PS7_PS2_, .Lfunc_end71-_ZN9rocsparseL32bsr2csr_block_per_row_2_7_kernelILj256ELj7ElliEEv20rocsparse_direction_T3_S2_21rocsparse_index_base_PKT1_PKT2_PKS2_S2_S3_PS4_PS7_PS2_
                                        ; -- End function
	.set _ZN9rocsparseL32bsr2csr_block_per_row_2_7_kernelILj256ELj7ElliEEv20rocsparse_direction_T3_S2_21rocsparse_index_base_PKT1_PKT2_PKS2_S2_S3_PS4_PS7_PS2_.num_vgpr, 43
	.set _ZN9rocsparseL32bsr2csr_block_per_row_2_7_kernelILj256ELj7ElliEEv20rocsparse_direction_T3_S2_21rocsparse_index_base_PKT1_PKT2_PKS2_S2_S3_PS4_PS7_PS2_.num_agpr, 0
	.set _ZN9rocsparseL32bsr2csr_block_per_row_2_7_kernelILj256ELj7ElliEEv20rocsparse_direction_T3_S2_21rocsparse_index_base_PKT1_PKT2_PKS2_S2_S3_PS4_PS7_PS2_.numbered_sgpr, 15
	.set _ZN9rocsparseL32bsr2csr_block_per_row_2_7_kernelILj256ELj7ElliEEv20rocsparse_direction_T3_S2_21rocsparse_index_base_PKT1_PKT2_PKS2_S2_S3_PS4_PS7_PS2_.num_named_barrier, 0
	.set _ZN9rocsparseL32bsr2csr_block_per_row_2_7_kernelILj256ELj7ElliEEv20rocsparse_direction_T3_S2_21rocsparse_index_base_PKT1_PKT2_PKS2_S2_S3_PS4_PS7_PS2_.private_seg_size, 0
	.set _ZN9rocsparseL32bsr2csr_block_per_row_2_7_kernelILj256ELj7ElliEEv20rocsparse_direction_T3_S2_21rocsparse_index_base_PKT1_PKT2_PKS2_S2_S3_PS4_PS7_PS2_.uses_vcc, 1
	.set _ZN9rocsparseL32bsr2csr_block_per_row_2_7_kernelILj256ELj7ElliEEv20rocsparse_direction_T3_S2_21rocsparse_index_base_PKT1_PKT2_PKS2_S2_S3_PS4_PS7_PS2_.uses_flat_scratch, 0
	.set _ZN9rocsparseL32bsr2csr_block_per_row_2_7_kernelILj256ELj7ElliEEv20rocsparse_direction_T3_S2_21rocsparse_index_base_PKT1_PKT2_PKS2_S2_S3_PS4_PS7_PS2_.has_dyn_sized_stack, 0
	.set _ZN9rocsparseL32bsr2csr_block_per_row_2_7_kernelILj256ELj7ElliEEv20rocsparse_direction_T3_S2_21rocsparse_index_base_PKT1_PKT2_PKS2_S2_S3_PS4_PS7_PS2_.has_recursion, 0
	.set _ZN9rocsparseL32bsr2csr_block_per_row_2_7_kernelILj256ELj7ElliEEv20rocsparse_direction_T3_S2_21rocsparse_index_base_PKT1_PKT2_PKS2_S2_S3_PS4_PS7_PS2_.has_indirect_call, 0
	.section	.AMDGPU.csdata,"",@progbits
; Kernel info:
; codeLenInByte = 1152
; TotalNumSgprs: 17
; NumVgprs: 43
; ScratchSize: 0
; MemoryBound: 0
; FloatMode: 240
; IeeeMode: 1
; LDSByteSize: 0 bytes/workgroup (compile time only)
; SGPRBlocks: 0
; VGPRBlocks: 5
; NumSGPRsForWavesPerEU: 17
; NumVGPRsForWavesPerEU: 43
; Occupancy: 16
; WaveLimiterHint : 0
; COMPUTE_PGM_RSRC2:SCRATCH_EN: 0
; COMPUTE_PGM_RSRC2:USER_SGPR: 6
; COMPUTE_PGM_RSRC2:TRAP_HANDLER: 0
; COMPUTE_PGM_RSRC2:TGID_X_EN: 1
; COMPUTE_PGM_RSRC2:TGID_Y_EN: 0
; COMPUTE_PGM_RSRC2:TGID_Z_EN: 0
; COMPUTE_PGM_RSRC2:TIDIG_COMP_CNT: 0
	.section	.text._ZN9rocsparseL33bsr2csr_block_per_row_8_32_kernelILj1024ELj8ElliEEv20rocsparse_direction_T3_S2_21rocsparse_index_base_PKT1_PKT2_PKS2_S2_S3_PS4_PS7_PS2_,"axG",@progbits,_ZN9rocsparseL33bsr2csr_block_per_row_8_32_kernelILj1024ELj8ElliEEv20rocsparse_direction_T3_S2_21rocsparse_index_base_PKT1_PKT2_PKS2_S2_S3_PS4_PS7_PS2_,comdat
	.globl	_ZN9rocsparseL33bsr2csr_block_per_row_8_32_kernelILj1024ELj8ElliEEv20rocsparse_direction_T3_S2_21rocsparse_index_base_PKT1_PKT2_PKS2_S2_S3_PS4_PS7_PS2_ ; -- Begin function _ZN9rocsparseL33bsr2csr_block_per_row_8_32_kernelILj1024ELj8ElliEEv20rocsparse_direction_T3_S2_21rocsparse_index_base_PKT1_PKT2_PKS2_S2_S3_PS4_PS7_PS2_
	.p2align	8
	.type	_ZN9rocsparseL33bsr2csr_block_per_row_8_32_kernelILj1024ELj8ElliEEv20rocsparse_direction_T3_S2_21rocsparse_index_base_PKT1_PKT2_PKS2_S2_S3_PS4_PS7_PS2_,@function
_ZN9rocsparseL33bsr2csr_block_per_row_8_32_kernelILj1024ELj8ElliEEv20rocsparse_direction_T3_S2_21rocsparse_index_base_PKT1_PKT2_PKS2_S2_S3_PS4_PS7_PS2_: ; @_ZN9rocsparseL33bsr2csr_block_per_row_8_32_kernelILj1024ELj8ElliEEv20rocsparse_direction_T3_S2_21rocsparse_index_base_PKT1_PKT2_PKS2_S2_S3_PS4_PS7_PS2_
; %bb.0:
	s_clause 0x2
	s_load_dwordx2 s[8:9], s[4:5], 0x18
	s_load_dwordx2 s[2:3], s[4:5], 0x28
	;; [unrolled: 1-line block ×3, first 2 shown]
	s_ashr_i32 s7, s6, 31
	v_or_b32_e32 v1, s6, v0
	s_lshl_b64 s[10:11], s[6:7], 3
	s_mov_b32 s7, exec_lo
	s_waitcnt lgkmcnt(0)
	s_add_u32 s8, s8, s10
	s_addc_u32 s9, s9, s11
	v_cmpx_eq_u32_e32 0, v1
	s_cbranch_execz .LBB72_2
; %bb.1:
	v_mov_b32_e32 v1, s3
	v_mov_b32_e32 v2, 0
	global_store_dwordx2 v2, v[1:2], s[0:1]
.LBB72_2:
	s_or_b32 exec_lo, exec_lo, s7
	v_and_b32_e32 v5, 7, v0
	v_bfe_u32 v2, v0, 3, 3
	s_mov_b32 s7, exec_lo
	v_max_i32_e32 v1, v2, v5
	v_cmpx_gt_i32_e64 s2, v1
	s_cbranch_execz .LBB72_6
; %bb.3:
	s_load_dwordx4 s[16:19], s[8:9], 0x0
	s_load_dword s14, s[4:5], 0xc
	s_mul_i32 s8, s2, s2
	v_mad_u64_u32 v[6:7], null, s2, s6, v[2:3]
	v_lshrrev_b32_e32 v3, 6, v0
	v_mov_b32_e32 v4, 0
	v_ashrrev_i32_e32 v7, 31, v6
	v_lshlrev_b64 v[6:7], 3, v[6:7]
	s_waitcnt lgkmcnt(0)
	s_sub_u32 s9, s16, s14
	s_subb_u32 s15, s17, 0
	s_mul_hi_u32 s11, s9, s8
	s_mul_i32 s12, s15, s8
	s_sub_u32 s6, s18, s14
	s_subb_u32 s7, s19, 0
	s_add_i32 s11, s11, s12
	s_sub_u32 s13, s6, s9
	s_subb_u32 s12, s7, s15
	s_mul_hi_u32 s16, s13, s2
	s_mul_i32 s17, s12, s2
	s_mul_i32 s18, s13, s2
	s_add_i32 s19, s16, s17
	s_mul_i32 s10, s9, s8
	s_add_u32 s16, s18, s3
	s_addc_u32 s17, s19, 0
	s_add_u32 s16, s16, s10
	s_addc_u32 s17, s17, s11
	v_add_co_u32 v0, s9, s9, v3
	v_mad_u64_u32 v[8:9], null, s18, v2, s[16:17]
	v_add_co_u32 v6, vcc_lo, s0, v6
	v_add_co_ci_u32_e64 v7, null, s1, v7, vcc_lo
	v_mov_b32_e32 v1, v9
	v_mad_u64_u32 v[9:10], null, s19, v2, v[1:2]
	v_add_co_ci_u32_e64 v1, null, s15, 0, s9
	s_mov_b32 s9, 0
	v_cmp_gt_i64_e32 vcc_lo, s[6:7], v[0:1]
	global_store_dwordx2 v[6:7], v[8:9], off offset:8
	s_and_b32 exec_lo, exec_lo, vcc_lo
	s_cbranch_execz .LBB72_6
; %bb.4:
	s_clause 0x3
	s_load_dwordx2 s[0:1], s[4:5], 0x10
	s_load_dwordx2 s[16:17], s[4:5], 0x20
	;; [unrolled: 1-line block ×3, first 2 shown]
	s_load_dword s15, s[4:5], 0x0
	v_mul_lo_u32 v6, s2, v5
	v_mov_b32_e32 v7, v4
	v_mul_lo_u32 v8, s2, v2
	v_mad_u64_u32 v[10:11], null, s13, v2, v[3:4]
	v_mov_b32_e32 v9, v4
	v_lshlrev_b32_e32 v12, 3, v2
	s_mov_b32 s20, s2
	v_lshlrev_b64 v[3:4], 3, v[6:7]
	v_mad_u64_u32 v[6:7], null, v0, s8, 0
	v_lshlrev_b64 v[8:9], 3, v[8:9]
	v_lshlrev_b32_e32 v16, 3, v5
	s_load_dwordx2 s[4:5], s[4:5], 0x40
	s_mov_b32 s21, s9
	s_waitcnt lgkmcnt(0)
	v_add_co_u32 v3, vcc_lo, s0, v3
	v_add_co_ci_u32_e64 v4, null, s1, v4, vcc_lo
	s_cmp_eq_u32 s15, 0
	v_add_co_u32 v12, vcc_lo, v3, v12
	v_add_co_ci_u32_e64 v13, null, 0, v4, vcc_lo
	v_add_co_u32 v14, vcc_lo, s0, v8
	v_mad_u64_u32 v[3:4], null, v10, s20, s[10:11]
	v_add_co_ci_u32_e64 v15, null, s1, v9, vcc_lo
	v_mad_u64_u32 v[8:9], null, s12, v2, v[11:12]
	v_add_co_u32 v14, vcc_lo, v14, v16
	v_mov_b32_e32 v2, v4
	v_add_co_ci_u32_e64 v4, null, 0, v15, vcc_lo
	s_cselect_b32 vcc_lo, -1, 0
	v_mad_u64_u32 v[9:10], null, v1, s8, v[7:8]
	v_mad_u64_u32 v[10:11], null, v8, s20, v[2:3]
	v_add_co_u32 v8, s0, v3, v5
	v_cndmask_b32_e32 v11, v13, v4, vcc_lo
	v_add_nc_u32_e32 v2, s3, v5
	v_mov_b32_e32 v7, v9
	s_lshl_b64 s[10:11], s[20:21], 7
	v_add_co_ci_u32_e64 v9, null, 0, v10, s0
	s_lshl_b64 s[12:13], s[20:21], 6
	v_lshlrev_b64 v[3:4], 3, v[6:7]
	v_cndmask_b32_e32 v7, v12, v14, vcc_lo
	v_lshlrev_b64 v[5:6], 3, v[8:9]
	v_add_co_u32 v3, vcc_lo, v7, v3
	v_lshlrev_b64 v[7:8], 2, v[8:9]
	v_lshlrev_b64 v[9:10], 2, v[0:1]
	v_add_co_ci_u32_e64 v4, null, v11, v4, vcc_lo
	v_add_co_u32 v5, vcc_lo, s18, v5
	v_add_co_ci_u32_e64 v6, null, s19, v6, vcc_lo
	v_add_co_u32 v7, vcc_lo, s4, v7
	;; [unrolled: 2-line block ×3, first 2 shown]
	v_add_co_ci_u32_e64 v10, null, s17, v10, vcc_lo
	s_lshl_b64 s[4:5], s[8:9], 7
	s_inst_prefetch 0x1
	.p2align	6
.LBB72_5:                               ; =>This Inner Loop Header: Depth=1
	global_load_dword v13, v[9:10], off
	global_load_dwordx2 v[11:12], v[3:4], off
	v_add_co_u32 v0, vcc_lo, v0, 16
	v_add_co_ci_u32_e64 v1, null, 0, v1, vcc_lo
	v_add_co_u32 v3, vcc_lo, v3, s4
	v_add_co_ci_u32_e64 v4, null, s5, v4, vcc_lo
	;; [unrolled: 2-line block ×3, first 2 shown]
	v_cmp_le_i64_e32 vcc_lo, s[6:7], v[0:1]
	s_or_b32 s9, vcc_lo, s9
	s_waitcnt vmcnt(1)
	v_subrev_nc_u32_e32 v13, s14, v13
	s_waitcnt vmcnt(0)
	global_store_dwordx2 v[5:6], v[11:12], off
	v_add_co_u32 v5, s0, v5, s10
	v_add_co_ci_u32_e64 v6, null, s11, v6, s0
	v_mad_u64_u32 v[11:12], null, v13, s2, v[2:3]
	global_store_dword v[7:8], v11, off
	v_add_co_u32 v7, s0, v7, s12
	v_add_co_ci_u32_e64 v8, null, s13, v8, s0
	s_andn2_b32 exec_lo, exec_lo, s9
	s_cbranch_execnz .LBB72_5
.LBB72_6:
	s_inst_prefetch 0x2
	s_endpgm
	.section	.rodata,"a",@progbits
	.p2align	6, 0x0
	.amdhsa_kernel _ZN9rocsparseL33bsr2csr_block_per_row_8_32_kernelILj1024ELj8ElliEEv20rocsparse_direction_T3_S2_21rocsparse_index_base_PKT1_PKT2_PKS2_S2_S3_PS4_PS7_PS2_
		.amdhsa_group_segment_fixed_size 0
		.amdhsa_private_segment_fixed_size 0
		.amdhsa_kernarg_size 72
		.amdhsa_user_sgpr_count 6
		.amdhsa_user_sgpr_private_segment_buffer 1
		.amdhsa_user_sgpr_dispatch_ptr 0
		.amdhsa_user_sgpr_queue_ptr 0
		.amdhsa_user_sgpr_kernarg_segment_ptr 1
		.amdhsa_user_sgpr_dispatch_id 0
		.amdhsa_user_sgpr_flat_scratch_init 0
		.amdhsa_user_sgpr_private_segment_size 0
		.amdhsa_wavefront_size32 1
		.amdhsa_uses_dynamic_stack 0
		.amdhsa_system_sgpr_private_segment_wavefront_offset 0
		.amdhsa_system_sgpr_workgroup_id_x 1
		.amdhsa_system_sgpr_workgroup_id_y 0
		.amdhsa_system_sgpr_workgroup_id_z 0
		.amdhsa_system_sgpr_workgroup_info 0
		.amdhsa_system_vgpr_workitem_id 0
		.amdhsa_next_free_vgpr 17
		.amdhsa_next_free_sgpr 22
		.amdhsa_reserve_vcc 1
		.amdhsa_reserve_flat_scratch 0
		.amdhsa_float_round_mode_32 0
		.amdhsa_float_round_mode_16_64 0
		.amdhsa_float_denorm_mode_32 3
		.amdhsa_float_denorm_mode_16_64 3
		.amdhsa_dx10_clamp 1
		.amdhsa_ieee_mode 1
		.amdhsa_fp16_overflow 0
		.amdhsa_workgroup_processor_mode 1
		.amdhsa_memory_ordered 1
		.amdhsa_forward_progress 1
		.amdhsa_shared_vgpr_count 0
		.amdhsa_exception_fp_ieee_invalid_op 0
		.amdhsa_exception_fp_denorm_src 0
		.amdhsa_exception_fp_ieee_div_zero 0
		.amdhsa_exception_fp_ieee_overflow 0
		.amdhsa_exception_fp_ieee_underflow 0
		.amdhsa_exception_fp_ieee_inexact 0
		.amdhsa_exception_int_div_zero 0
	.end_amdhsa_kernel
	.section	.text._ZN9rocsparseL33bsr2csr_block_per_row_8_32_kernelILj1024ELj8ElliEEv20rocsparse_direction_T3_S2_21rocsparse_index_base_PKT1_PKT2_PKS2_S2_S3_PS4_PS7_PS2_,"axG",@progbits,_ZN9rocsparseL33bsr2csr_block_per_row_8_32_kernelILj1024ELj8ElliEEv20rocsparse_direction_T3_S2_21rocsparse_index_base_PKT1_PKT2_PKS2_S2_S3_PS4_PS7_PS2_,comdat
.Lfunc_end72:
	.size	_ZN9rocsparseL33bsr2csr_block_per_row_8_32_kernelILj1024ELj8ElliEEv20rocsparse_direction_T3_S2_21rocsparse_index_base_PKT1_PKT2_PKS2_S2_S3_PS4_PS7_PS2_, .Lfunc_end72-_ZN9rocsparseL33bsr2csr_block_per_row_8_32_kernelILj1024ELj8ElliEEv20rocsparse_direction_T3_S2_21rocsparse_index_base_PKT1_PKT2_PKS2_S2_S3_PS4_PS7_PS2_
                                        ; -- End function
	.set _ZN9rocsparseL33bsr2csr_block_per_row_8_32_kernelILj1024ELj8ElliEEv20rocsparse_direction_T3_S2_21rocsparse_index_base_PKT1_PKT2_PKS2_S2_S3_PS4_PS7_PS2_.num_vgpr, 17
	.set _ZN9rocsparseL33bsr2csr_block_per_row_8_32_kernelILj1024ELj8ElliEEv20rocsparse_direction_T3_S2_21rocsparse_index_base_PKT1_PKT2_PKS2_S2_S3_PS4_PS7_PS2_.num_agpr, 0
	.set _ZN9rocsparseL33bsr2csr_block_per_row_8_32_kernelILj1024ELj8ElliEEv20rocsparse_direction_T3_S2_21rocsparse_index_base_PKT1_PKT2_PKS2_S2_S3_PS4_PS7_PS2_.numbered_sgpr, 22
	.set _ZN9rocsparseL33bsr2csr_block_per_row_8_32_kernelILj1024ELj8ElliEEv20rocsparse_direction_T3_S2_21rocsparse_index_base_PKT1_PKT2_PKS2_S2_S3_PS4_PS7_PS2_.num_named_barrier, 0
	.set _ZN9rocsparseL33bsr2csr_block_per_row_8_32_kernelILj1024ELj8ElliEEv20rocsparse_direction_T3_S2_21rocsparse_index_base_PKT1_PKT2_PKS2_S2_S3_PS4_PS7_PS2_.private_seg_size, 0
	.set _ZN9rocsparseL33bsr2csr_block_per_row_8_32_kernelILj1024ELj8ElliEEv20rocsparse_direction_T3_S2_21rocsparse_index_base_PKT1_PKT2_PKS2_S2_S3_PS4_PS7_PS2_.uses_vcc, 1
	.set _ZN9rocsparseL33bsr2csr_block_per_row_8_32_kernelILj1024ELj8ElliEEv20rocsparse_direction_T3_S2_21rocsparse_index_base_PKT1_PKT2_PKS2_S2_S3_PS4_PS7_PS2_.uses_flat_scratch, 0
	.set _ZN9rocsparseL33bsr2csr_block_per_row_8_32_kernelILj1024ELj8ElliEEv20rocsparse_direction_T3_S2_21rocsparse_index_base_PKT1_PKT2_PKS2_S2_S3_PS4_PS7_PS2_.has_dyn_sized_stack, 0
	.set _ZN9rocsparseL33bsr2csr_block_per_row_8_32_kernelILj1024ELj8ElliEEv20rocsparse_direction_T3_S2_21rocsparse_index_base_PKT1_PKT2_PKS2_S2_S3_PS4_PS7_PS2_.has_recursion, 0
	.set _ZN9rocsparseL33bsr2csr_block_per_row_8_32_kernelILj1024ELj8ElliEEv20rocsparse_direction_T3_S2_21rocsparse_index_base_PKT1_PKT2_PKS2_S2_S3_PS4_PS7_PS2_.has_indirect_call, 0
	.section	.AMDGPU.csdata,"",@progbits
; Kernel info:
; codeLenInByte = 860
; TotalNumSgprs: 24
; NumVgprs: 17
; ScratchSize: 0
; MemoryBound: 0
; FloatMode: 240
; IeeeMode: 1
; LDSByteSize: 0 bytes/workgroup (compile time only)
; SGPRBlocks: 0
; VGPRBlocks: 2
; NumSGPRsForWavesPerEU: 24
; NumVGPRsForWavesPerEU: 17
; Occupancy: 16
; WaveLimiterHint : 0
; COMPUTE_PGM_RSRC2:SCRATCH_EN: 0
; COMPUTE_PGM_RSRC2:USER_SGPR: 6
; COMPUTE_PGM_RSRC2:TRAP_HANDLER: 0
; COMPUTE_PGM_RSRC2:TGID_X_EN: 1
; COMPUTE_PGM_RSRC2:TGID_Y_EN: 0
; COMPUTE_PGM_RSRC2:TGID_Z_EN: 0
; COMPUTE_PGM_RSRC2:TIDIG_COMP_CNT: 0
	.section	.text._ZN9rocsparseL33bsr2csr_block_per_row_8_32_kernelILj1024ELj16ElliEEv20rocsparse_direction_T3_S2_21rocsparse_index_base_PKT1_PKT2_PKS2_S2_S3_PS4_PS7_PS2_,"axG",@progbits,_ZN9rocsparseL33bsr2csr_block_per_row_8_32_kernelILj1024ELj16ElliEEv20rocsparse_direction_T3_S2_21rocsparse_index_base_PKT1_PKT2_PKS2_S2_S3_PS4_PS7_PS2_,comdat
	.globl	_ZN9rocsparseL33bsr2csr_block_per_row_8_32_kernelILj1024ELj16ElliEEv20rocsparse_direction_T3_S2_21rocsparse_index_base_PKT1_PKT2_PKS2_S2_S3_PS4_PS7_PS2_ ; -- Begin function _ZN9rocsparseL33bsr2csr_block_per_row_8_32_kernelILj1024ELj16ElliEEv20rocsparse_direction_T3_S2_21rocsparse_index_base_PKT1_PKT2_PKS2_S2_S3_PS4_PS7_PS2_
	.p2align	8
	.type	_ZN9rocsparseL33bsr2csr_block_per_row_8_32_kernelILj1024ELj16ElliEEv20rocsparse_direction_T3_S2_21rocsparse_index_base_PKT1_PKT2_PKS2_S2_S3_PS4_PS7_PS2_,@function
_ZN9rocsparseL33bsr2csr_block_per_row_8_32_kernelILj1024ELj16ElliEEv20rocsparse_direction_T3_S2_21rocsparse_index_base_PKT1_PKT2_PKS2_S2_S3_PS4_PS7_PS2_: ; @_ZN9rocsparseL33bsr2csr_block_per_row_8_32_kernelILj1024ELj16ElliEEv20rocsparse_direction_T3_S2_21rocsparse_index_base_PKT1_PKT2_PKS2_S2_S3_PS4_PS7_PS2_
; %bb.0:
	s_clause 0x2
	s_load_dwordx2 s[8:9], s[4:5], 0x18
	s_load_dwordx2 s[2:3], s[4:5], 0x28
	;; [unrolled: 1-line block ×3, first 2 shown]
	s_ashr_i32 s7, s6, 31
	v_or_b32_e32 v1, s6, v0
	s_lshl_b64 s[10:11], s[6:7], 3
	s_mov_b32 s7, exec_lo
	s_waitcnt lgkmcnt(0)
	s_add_u32 s8, s8, s10
	s_addc_u32 s9, s9, s11
	v_cmpx_eq_u32_e32 0, v1
	s_cbranch_execz .LBB73_2
; %bb.1:
	v_mov_b32_e32 v1, s3
	v_mov_b32_e32 v2, 0
	global_store_dwordx2 v2, v[1:2], s[0:1]
.LBB73_2:
	s_or_b32 exec_lo, exec_lo, s7
	v_and_b32_e32 v5, 15, v0
	v_bfe_u32 v2, v0, 4, 4
	s_mov_b32 s7, exec_lo
	v_max_i32_e32 v1, v2, v5
	v_cmpx_gt_i32_e64 s2, v1
	s_cbranch_execz .LBB73_6
; %bb.3:
	s_load_dwordx4 s[16:19], s[8:9], 0x0
	s_load_dword s14, s[4:5], 0xc
	s_mul_i32 s8, s2, s2
	v_mad_u64_u32 v[6:7], null, s2, s6, v[2:3]
	v_lshrrev_b32_e32 v3, 8, v0
	v_mov_b32_e32 v4, 0
	v_ashrrev_i32_e32 v7, 31, v6
	v_lshlrev_b64 v[6:7], 3, v[6:7]
	s_waitcnt lgkmcnt(0)
	s_sub_u32 s9, s16, s14
	s_subb_u32 s15, s17, 0
	s_mul_hi_u32 s11, s9, s8
	s_mul_i32 s12, s15, s8
	s_sub_u32 s6, s18, s14
	s_subb_u32 s7, s19, 0
	s_add_i32 s11, s11, s12
	s_sub_u32 s13, s6, s9
	s_subb_u32 s12, s7, s15
	s_mul_hi_u32 s16, s13, s2
	s_mul_i32 s17, s12, s2
	s_mul_i32 s18, s13, s2
	s_add_i32 s19, s16, s17
	s_mul_i32 s10, s9, s8
	s_add_u32 s16, s18, s3
	s_addc_u32 s17, s19, 0
	s_add_u32 s16, s16, s10
	s_addc_u32 s17, s17, s11
	v_add_co_u32 v0, s9, s9, v3
	v_mad_u64_u32 v[8:9], null, s18, v2, s[16:17]
	v_add_co_u32 v6, vcc_lo, s0, v6
	v_add_co_ci_u32_e64 v7, null, s1, v7, vcc_lo
	v_mov_b32_e32 v1, v9
	v_mad_u64_u32 v[9:10], null, s19, v2, v[1:2]
	v_add_co_ci_u32_e64 v1, null, s15, 0, s9
	s_mov_b32 s9, 0
	v_cmp_gt_i64_e32 vcc_lo, s[6:7], v[0:1]
	global_store_dwordx2 v[6:7], v[8:9], off offset:8
	s_and_b32 exec_lo, exec_lo, vcc_lo
	s_cbranch_execz .LBB73_6
; %bb.4:
	s_clause 0x3
	s_load_dwordx2 s[0:1], s[4:5], 0x10
	s_load_dwordx2 s[16:17], s[4:5], 0x20
	;; [unrolled: 1-line block ×3, first 2 shown]
	s_load_dword s15, s[4:5], 0x0
	v_mul_lo_u32 v6, s2, v5
	v_mov_b32_e32 v7, v4
	v_mul_lo_u32 v8, s2, v2
	v_mad_u64_u32 v[10:11], null, s13, v2, v[3:4]
	v_mov_b32_e32 v9, v4
	v_lshlrev_b32_e32 v12, 3, v2
	s_mov_b32 s20, s2
	v_lshlrev_b64 v[3:4], 3, v[6:7]
	v_mad_u64_u32 v[6:7], null, v0, s8, 0
	v_lshlrev_b64 v[8:9], 3, v[8:9]
	v_lshlrev_b32_e32 v16, 3, v5
	s_load_dwordx2 s[4:5], s[4:5], 0x40
	s_mov_b32 s21, s9
	s_waitcnt lgkmcnt(0)
	v_add_co_u32 v3, vcc_lo, s0, v3
	v_add_co_ci_u32_e64 v4, null, s1, v4, vcc_lo
	s_cmp_eq_u32 s15, 0
	v_add_co_u32 v12, vcc_lo, v3, v12
	v_add_co_ci_u32_e64 v13, null, 0, v4, vcc_lo
	v_add_co_u32 v14, vcc_lo, s0, v8
	v_mad_u64_u32 v[3:4], null, v10, s20, s[10:11]
	v_add_co_ci_u32_e64 v15, null, s1, v9, vcc_lo
	v_mad_u64_u32 v[8:9], null, s12, v2, v[11:12]
	v_add_co_u32 v14, vcc_lo, v14, v16
	v_mov_b32_e32 v2, v4
	v_add_co_ci_u32_e64 v4, null, 0, v15, vcc_lo
	s_cselect_b32 vcc_lo, -1, 0
	v_mad_u64_u32 v[9:10], null, v1, s8, v[7:8]
	v_mad_u64_u32 v[10:11], null, v8, s20, v[2:3]
	v_add_co_u32 v8, s0, v3, v5
	v_cndmask_b32_e32 v11, v13, v4, vcc_lo
	v_add_nc_u32_e32 v2, s3, v5
	v_mov_b32_e32 v7, v9
	s_lshl_b64 s[10:11], s[20:21], 5
	v_add_co_ci_u32_e64 v9, null, 0, v10, s0
	s_lshl_b64 s[12:13], s[20:21], 4
	v_lshlrev_b64 v[3:4], 3, v[6:7]
	v_cndmask_b32_e32 v7, v12, v14, vcc_lo
	v_lshlrev_b64 v[5:6], 3, v[8:9]
	v_add_co_u32 v3, vcc_lo, v7, v3
	v_lshlrev_b64 v[7:8], 2, v[8:9]
	v_lshlrev_b64 v[9:10], 2, v[0:1]
	v_add_co_ci_u32_e64 v4, null, v11, v4, vcc_lo
	v_add_co_u32 v5, vcc_lo, s18, v5
	v_add_co_ci_u32_e64 v6, null, s19, v6, vcc_lo
	v_add_co_u32 v7, vcc_lo, s4, v7
	;; [unrolled: 2-line block ×3, first 2 shown]
	v_add_co_ci_u32_e64 v10, null, s17, v10, vcc_lo
	s_lshl_b64 s[4:5], s[8:9], 5
	s_inst_prefetch 0x1
	.p2align	6
.LBB73_5:                               ; =>This Inner Loop Header: Depth=1
	global_load_dword v13, v[9:10], off
	global_load_dwordx2 v[11:12], v[3:4], off
	v_add_co_u32 v0, vcc_lo, v0, 4
	v_add_co_ci_u32_e64 v1, null, 0, v1, vcc_lo
	v_add_co_u32 v3, vcc_lo, v3, s4
	v_add_co_ci_u32_e64 v4, null, s5, v4, vcc_lo
	;; [unrolled: 2-line block ×3, first 2 shown]
	v_cmp_le_i64_e32 vcc_lo, s[6:7], v[0:1]
	s_or_b32 s9, vcc_lo, s9
	s_waitcnt vmcnt(1)
	v_subrev_nc_u32_e32 v13, s14, v13
	s_waitcnt vmcnt(0)
	global_store_dwordx2 v[5:6], v[11:12], off
	v_add_co_u32 v5, s0, v5, s10
	v_add_co_ci_u32_e64 v6, null, s11, v6, s0
	v_mad_u64_u32 v[11:12], null, v13, s2, v[2:3]
	global_store_dword v[7:8], v11, off
	v_add_co_u32 v7, s0, v7, s12
	v_add_co_ci_u32_e64 v8, null, s13, v8, s0
	s_andn2_b32 exec_lo, exec_lo, s9
	s_cbranch_execnz .LBB73_5
.LBB73_6:
	s_inst_prefetch 0x2
	s_endpgm
	.section	.rodata,"a",@progbits
	.p2align	6, 0x0
	.amdhsa_kernel _ZN9rocsparseL33bsr2csr_block_per_row_8_32_kernelILj1024ELj16ElliEEv20rocsparse_direction_T3_S2_21rocsparse_index_base_PKT1_PKT2_PKS2_S2_S3_PS4_PS7_PS2_
		.amdhsa_group_segment_fixed_size 0
		.amdhsa_private_segment_fixed_size 0
		.amdhsa_kernarg_size 72
		.amdhsa_user_sgpr_count 6
		.amdhsa_user_sgpr_private_segment_buffer 1
		.amdhsa_user_sgpr_dispatch_ptr 0
		.amdhsa_user_sgpr_queue_ptr 0
		.amdhsa_user_sgpr_kernarg_segment_ptr 1
		.amdhsa_user_sgpr_dispatch_id 0
		.amdhsa_user_sgpr_flat_scratch_init 0
		.amdhsa_user_sgpr_private_segment_size 0
		.amdhsa_wavefront_size32 1
		.amdhsa_uses_dynamic_stack 0
		.amdhsa_system_sgpr_private_segment_wavefront_offset 0
		.amdhsa_system_sgpr_workgroup_id_x 1
		.amdhsa_system_sgpr_workgroup_id_y 0
		.amdhsa_system_sgpr_workgroup_id_z 0
		.amdhsa_system_sgpr_workgroup_info 0
		.amdhsa_system_vgpr_workitem_id 0
		.amdhsa_next_free_vgpr 17
		.amdhsa_next_free_sgpr 22
		.amdhsa_reserve_vcc 1
		.amdhsa_reserve_flat_scratch 0
		.amdhsa_float_round_mode_32 0
		.amdhsa_float_round_mode_16_64 0
		.amdhsa_float_denorm_mode_32 3
		.amdhsa_float_denorm_mode_16_64 3
		.amdhsa_dx10_clamp 1
		.amdhsa_ieee_mode 1
		.amdhsa_fp16_overflow 0
		.amdhsa_workgroup_processor_mode 1
		.amdhsa_memory_ordered 1
		.amdhsa_forward_progress 1
		.amdhsa_shared_vgpr_count 0
		.amdhsa_exception_fp_ieee_invalid_op 0
		.amdhsa_exception_fp_denorm_src 0
		.amdhsa_exception_fp_ieee_div_zero 0
		.amdhsa_exception_fp_ieee_overflow 0
		.amdhsa_exception_fp_ieee_underflow 0
		.amdhsa_exception_fp_ieee_inexact 0
		.amdhsa_exception_int_div_zero 0
	.end_amdhsa_kernel
	.section	.text._ZN9rocsparseL33bsr2csr_block_per_row_8_32_kernelILj1024ELj16ElliEEv20rocsparse_direction_T3_S2_21rocsparse_index_base_PKT1_PKT2_PKS2_S2_S3_PS4_PS7_PS2_,"axG",@progbits,_ZN9rocsparseL33bsr2csr_block_per_row_8_32_kernelILj1024ELj16ElliEEv20rocsparse_direction_T3_S2_21rocsparse_index_base_PKT1_PKT2_PKS2_S2_S3_PS4_PS7_PS2_,comdat
.Lfunc_end73:
	.size	_ZN9rocsparseL33bsr2csr_block_per_row_8_32_kernelILj1024ELj16ElliEEv20rocsparse_direction_T3_S2_21rocsparse_index_base_PKT1_PKT2_PKS2_S2_S3_PS4_PS7_PS2_, .Lfunc_end73-_ZN9rocsparseL33bsr2csr_block_per_row_8_32_kernelILj1024ELj16ElliEEv20rocsparse_direction_T3_S2_21rocsparse_index_base_PKT1_PKT2_PKS2_S2_S3_PS4_PS7_PS2_
                                        ; -- End function
	.set _ZN9rocsparseL33bsr2csr_block_per_row_8_32_kernelILj1024ELj16ElliEEv20rocsparse_direction_T3_S2_21rocsparse_index_base_PKT1_PKT2_PKS2_S2_S3_PS4_PS7_PS2_.num_vgpr, 17
	.set _ZN9rocsparseL33bsr2csr_block_per_row_8_32_kernelILj1024ELj16ElliEEv20rocsparse_direction_T3_S2_21rocsparse_index_base_PKT1_PKT2_PKS2_S2_S3_PS4_PS7_PS2_.num_agpr, 0
	.set _ZN9rocsparseL33bsr2csr_block_per_row_8_32_kernelILj1024ELj16ElliEEv20rocsparse_direction_T3_S2_21rocsparse_index_base_PKT1_PKT2_PKS2_S2_S3_PS4_PS7_PS2_.numbered_sgpr, 22
	.set _ZN9rocsparseL33bsr2csr_block_per_row_8_32_kernelILj1024ELj16ElliEEv20rocsparse_direction_T3_S2_21rocsparse_index_base_PKT1_PKT2_PKS2_S2_S3_PS4_PS7_PS2_.num_named_barrier, 0
	.set _ZN9rocsparseL33bsr2csr_block_per_row_8_32_kernelILj1024ELj16ElliEEv20rocsparse_direction_T3_S2_21rocsparse_index_base_PKT1_PKT2_PKS2_S2_S3_PS4_PS7_PS2_.private_seg_size, 0
	.set _ZN9rocsparseL33bsr2csr_block_per_row_8_32_kernelILj1024ELj16ElliEEv20rocsparse_direction_T3_S2_21rocsparse_index_base_PKT1_PKT2_PKS2_S2_S3_PS4_PS7_PS2_.uses_vcc, 1
	.set _ZN9rocsparseL33bsr2csr_block_per_row_8_32_kernelILj1024ELj16ElliEEv20rocsparse_direction_T3_S2_21rocsparse_index_base_PKT1_PKT2_PKS2_S2_S3_PS4_PS7_PS2_.uses_flat_scratch, 0
	.set _ZN9rocsparseL33bsr2csr_block_per_row_8_32_kernelILj1024ELj16ElliEEv20rocsparse_direction_T3_S2_21rocsparse_index_base_PKT1_PKT2_PKS2_S2_S3_PS4_PS7_PS2_.has_dyn_sized_stack, 0
	.set _ZN9rocsparseL33bsr2csr_block_per_row_8_32_kernelILj1024ELj16ElliEEv20rocsparse_direction_T3_S2_21rocsparse_index_base_PKT1_PKT2_PKS2_S2_S3_PS4_PS7_PS2_.has_recursion, 0
	.set _ZN9rocsparseL33bsr2csr_block_per_row_8_32_kernelILj1024ELj16ElliEEv20rocsparse_direction_T3_S2_21rocsparse_index_base_PKT1_PKT2_PKS2_S2_S3_PS4_PS7_PS2_.has_indirect_call, 0
	.section	.AMDGPU.csdata,"",@progbits
; Kernel info:
; codeLenInByte = 860
; TotalNumSgprs: 24
; NumVgprs: 17
; ScratchSize: 0
; MemoryBound: 0
; FloatMode: 240
; IeeeMode: 1
; LDSByteSize: 0 bytes/workgroup (compile time only)
; SGPRBlocks: 0
; VGPRBlocks: 2
; NumSGPRsForWavesPerEU: 24
; NumVGPRsForWavesPerEU: 17
; Occupancy: 16
; WaveLimiterHint : 0
; COMPUTE_PGM_RSRC2:SCRATCH_EN: 0
; COMPUTE_PGM_RSRC2:USER_SGPR: 6
; COMPUTE_PGM_RSRC2:TRAP_HANDLER: 0
; COMPUTE_PGM_RSRC2:TGID_X_EN: 1
; COMPUTE_PGM_RSRC2:TGID_Y_EN: 0
; COMPUTE_PGM_RSRC2:TGID_Z_EN: 0
; COMPUTE_PGM_RSRC2:TIDIG_COMP_CNT: 0
	.section	.text._ZN9rocsparseL33bsr2csr_block_per_row_8_32_kernelILj1024ELj32ElliEEv20rocsparse_direction_T3_S2_21rocsparse_index_base_PKT1_PKT2_PKS2_S2_S3_PS4_PS7_PS2_,"axG",@progbits,_ZN9rocsparseL33bsr2csr_block_per_row_8_32_kernelILj1024ELj32ElliEEv20rocsparse_direction_T3_S2_21rocsparse_index_base_PKT1_PKT2_PKS2_S2_S3_PS4_PS7_PS2_,comdat
	.globl	_ZN9rocsparseL33bsr2csr_block_per_row_8_32_kernelILj1024ELj32ElliEEv20rocsparse_direction_T3_S2_21rocsparse_index_base_PKT1_PKT2_PKS2_S2_S3_PS4_PS7_PS2_ ; -- Begin function _ZN9rocsparseL33bsr2csr_block_per_row_8_32_kernelILj1024ELj32ElliEEv20rocsparse_direction_T3_S2_21rocsparse_index_base_PKT1_PKT2_PKS2_S2_S3_PS4_PS7_PS2_
	.p2align	8
	.type	_ZN9rocsparseL33bsr2csr_block_per_row_8_32_kernelILj1024ELj32ElliEEv20rocsparse_direction_T3_S2_21rocsparse_index_base_PKT1_PKT2_PKS2_S2_S3_PS4_PS7_PS2_,@function
_ZN9rocsparseL33bsr2csr_block_per_row_8_32_kernelILj1024ELj32ElliEEv20rocsparse_direction_T3_S2_21rocsparse_index_base_PKT1_PKT2_PKS2_S2_S3_PS4_PS7_PS2_: ; @_ZN9rocsparseL33bsr2csr_block_per_row_8_32_kernelILj1024ELj32ElliEEv20rocsparse_direction_T3_S2_21rocsparse_index_base_PKT1_PKT2_PKS2_S2_S3_PS4_PS7_PS2_
; %bb.0:
	s_clause 0x2
	s_load_dwordx2 s[0:1], s[4:5], 0x18
	s_load_dwordx2 s[8:9], s[4:5], 0x28
	;; [unrolled: 1-line block ×3, first 2 shown]
	s_ashr_i32 s7, s6, 31
	v_or_b32_e32 v1, s6, v0
	s_lshl_b64 s[2:3], s[6:7], 3
	s_waitcnt lgkmcnt(0)
	s_add_u32 s0, s0, s2
	s_addc_u32 s1, s1, s3
	s_mov_b32 s2, exec_lo
	v_cmpx_eq_u32_e32 0, v1
	s_cbranch_execz .LBB74_2
; %bb.1:
	v_mov_b32_e32 v1, s9
	v_mov_b32_e32 v2, 0
	global_store_dwordx2 v2, v[1:2], s[16:17]
.LBB74_2:
	s_or_b32 exec_lo, exec_lo, s2
	v_and_b32_e32 v3, 31, v0
	v_lshrrev_b32_e32 v0, 5, v0
	s_mov_b32 s2, exec_lo
	v_max_i32_e32 v1, v0, v3
	v_cmpx_gt_i32_e64 s8, v1
	s_cbranch_execz .LBB74_6
; %bb.3:
	s_load_dwordx4 s[0:3], s[0:1], 0x0
	s_load_dword s10, s[4:5], 0xc
	v_mad_u64_u32 v[4:5], null, s8, s6, v[0:1]
	s_mul_i32 s14, s8, s8
	v_ashrrev_i32_e32 v5, 31, v4
	v_lshlrev_b64 v[4:5], 3, v[4:5]
	v_add_co_u32 v4, vcc_lo, s16, v4
	s_waitcnt lgkmcnt(0)
	s_sub_u32 s6, s0, s10
	s_subb_u32 s7, s1, 0
	s_mul_hi_u32 s11, s6, s14
	s_mul_i32 s15, s7, s14
	s_sub_u32 s12, s2, s10
	s_subb_u32 s13, s3, 0
	s_add_i32 s19, s11, s15
	s_sub_u32 s11, s12, s6
	s_mul_i32 s18, s6, s14
	s_mul_i32 s15, s11, s8
	s_subb_u32 s20, s13, s7
	v_mad_u64_u32 v[1:2], null, s15, v0, s[18:19]
	s_mul_hi_u32 s11, s11, s8
	s_mul_i32 s20, s20, s8
	v_cmp_ge_i64_e64 s2, s[0:1], s[2:3]
	s_add_i32 s11, s11, s20
	s_add_u32 s3, s15, s9
	v_add_co_ci_u32_e64 v5, null, s17, v5, vcc_lo
	v_mad_u64_u32 v[6:7], null, s11, v0, v[2:3]
	s_addc_u32 s11, s11, 0
	v_add_co_u32 v7, vcc_lo, s3, v1
	v_add_co_ci_u32_e64 v8, null, s11, v6, vcc_lo
	s_mov_b32 s11, 0
	s_and_b32 vcc_lo, exec_lo, s2
	global_store_dwordx2 v[4:5], v[7:8], off offset:8
	s_cbranch_vccnz .LBB74_6
; %bb.4:
	s_clause 0x3
	s_load_dwordx2 s[16:17], s[4:5], 0x20
	s_load_dwordx2 s[20:21], s[4:5], 0x30
	s_load_dword s26, s[4:5], 0x0
	s_load_dwordx2 s[2:3], s[4:5], 0x10
	v_mul_lo_u32 v4, s8, v3
	v_mov_b32_e32 v5, 0
	v_mov_b32_e32 v2, v6
	v_lshlrev_b32_e32 v8, 3, v3
	s_load_dwordx2 s[22:23], s[4:5], 0x40
	s_mov_b32 s15, s11
	s_mov_b32 s24, s8
	;; [unrolled: 1-line block ×3, first 2 shown]
	v_lshlrev_b64 v[6:7], 3, v[4:5]
	v_mul_lo_u32 v4, s8, v0
	v_lshlrev_b32_e32 v0, 3, v0
	v_lshlrev_b64 v[4:5], 3, v[4:5]
	s_waitcnt lgkmcnt(0)
	s_cmp_eq_u32 s26, 0
	v_add_co_u32 v6, vcc_lo, s2, v6
	v_add_co_ci_u32_e64 v7, null, s3, v7, vcc_lo
	v_add_co_u32 v4, vcc_lo, s2, v4
	v_add_co_ci_u32_e64 v5, null, s3, v5, vcc_lo
	;; [unrolled: 2-line block ×5, first 2 shown]
	s_cselect_b32 vcc_lo, -1, 0
	s_lshl_b64 s[2:3], s[18:19], 3
	v_cndmask_b32_e32 v1, v0, v7, vcc_lo
	v_cndmask_b32_e32 v2, v6, v8, vcc_lo
	v_lshlrev_b64 v[6:7], 3, v[4:5]
	v_lshlrev_b64 v[8:9], 2, v[4:5]
	v_add_nc_u32_e32 v0, s9, v3
	v_add_co_u32 v1, vcc_lo, v1, s2
	v_add_co_ci_u32_e64 v2, null, s3, v2, vcc_lo
	v_add_co_u32 v3, vcc_lo, s20, v6
	v_add_co_ci_u32_e64 v4, null, s21, v7, vcc_lo
	v_add_co_u32 v5, vcc_lo, s22, v8
	s_lshl_b64 s[0:1], s[0:1], 2
	s_lshl_b64 s[18:19], s[10:11], 2
	;; [unrolled: 1-line block ×5, first 2 shown]
	v_add_co_ci_u32_e64 v6, null, s23, v9, vcc_lo
	s_sub_u32 s0, s0, s18
	s_subb_u32 s1, s1, s19
	s_add_u32 s16, s16, s0
	s_addc_u32 s17, s17, s1
	.p2align	6
.LBB74_5:                               ; =>This Inner Loop Header: Depth=1
	global_load_dwordx2 v[7:8], v[1:2], off
	s_load_dword s0, s[16:17], 0x0
	v_add_co_u32 v1, vcc_lo, v1, s2
	v_add_co_ci_u32_e64 v2, null, s3, v2, vcc_lo
	s_waitcnt lgkmcnt(0)
	s_sub_i32 s0, s0, s10
	s_add_u32 s6, s6, 1
	v_mad_u64_u32 v[9:10], null, s0, s8, v[0:1]
	s_addc_u32 s7, s7, 0
	s_add_u32 s16, s16, 4
	v_cmp_lt_i64_e64 s0, s[6:7], s[12:13]
	s_addc_u32 s17, s17, 0
	global_store_dword v[5:6], v9, off
	v_add_co_u32 v5, vcc_lo, v5, s14
	v_add_co_ci_u32_e64 v6, null, s15, v6, vcc_lo
	s_and_b32 vcc_lo, exec_lo, s0
	s_waitcnt vmcnt(0)
	global_store_dwordx2 v[3:4], v[7:8], off
	v_add_co_u32 v3, s0, v3, s4
	v_add_co_ci_u32_e64 v4, null, s5, v4, s0
	s_cbranch_vccnz .LBB74_5
.LBB74_6:
	s_endpgm
	.section	.rodata,"a",@progbits
	.p2align	6, 0x0
	.amdhsa_kernel _ZN9rocsparseL33bsr2csr_block_per_row_8_32_kernelILj1024ELj32ElliEEv20rocsparse_direction_T3_S2_21rocsparse_index_base_PKT1_PKT2_PKS2_S2_S3_PS4_PS7_PS2_
		.amdhsa_group_segment_fixed_size 0
		.amdhsa_private_segment_fixed_size 0
		.amdhsa_kernarg_size 72
		.amdhsa_user_sgpr_count 6
		.amdhsa_user_sgpr_private_segment_buffer 1
		.amdhsa_user_sgpr_dispatch_ptr 0
		.amdhsa_user_sgpr_queue_ptr 0
		.amdhsa_user_sgpr_kernarg_segment_ptr 1
		.amdhsa_user_sgpr_dispatch_id 0
		.amdhsa_user_sgpr_flat_scratch_init 0
		.amdhsa_user_sgpr_private_segment_size 0
		.amdhsa_wavefront_size32 1
		.amdhsa_uses_dynamic_stack 0
		.amdhsa_system_sgpr_private_segment_wavefront_offset 0
		.amdhsa_system_sgpr_workgroup_id_x 1
		.amdhsa_system_sgpr_workgroup_id_y 0
		.amdhsa_system_sgpr_workgroup_id_z 0
		.amdhsa_system_sgpr_workgroup_info 0
		.amdhsa_system_vgpr_workitem_id 0
		.amdhsa_next_free_vgpr 11
		.amdhsa_next_free_sgpr 27
		.amdhsa_reserve_vcc 1
		.amdhsa_reserve_flat_scratch 0
		.amdhsa_float_round_mode_32 0
		.amdhsa_float_round_mode_16_64 0
		.amdhsa_float_denorm_mode_32 3
		.amdhsa_float_denorm_mode_16_64 3
		.amdhsa_dx10_clamp 1
		.amdhsa_ieee_mode 1
		.amdhsa_fp16_overflow 0
		.amdhsa_workgroup_processor_mode 1
		.amdhsa_memory_ordered 1
		.amdhsa_forward_progress 1
		.amdhsa_shared_vgpr_count 0
		.amdhsa_exception_fp_ieee_invalid_op 0
		.amdhsa_exception_fp_denorm_src 0
		.amdhsa_exception_fp_ieee_div_zero 0
		.amdhsa_exception_fp_ieee_overflow 0
		.amdhsa_exception_fp_ieee_underflow 0
		.amdhsa_exception_fp_ieee_inexact 0
		.amdhsa_exception_int_div_zero 0
	.end_amdhsa_kernel
	.section	.text._ZN9rocsparseL33bsr2csr_block_per_row_8_32_kernelILj1024ELj32ElliEEv20rocsparse_direction_T3_S2_21rocsparse_index_base_PKT1_PKT2_PKS2_S2_S3_PS4_PS7_PS2_,"axG",@progbits,_ZN9rocsparseL33bsr2csr_block_per_row_8_32_kernelILj1024ELj32ElliEEv20rocsparse_direction_T3_S2_21rocsparse_index_base_PKT1_PKT2_PKS2_S2_S3_PS4_PS7_PS2_,comdat
.Lfunc_end74:
	.size	_ZN9rocsparseL33bsr2csr_block_per_row_8_32_kernelILj1024ELj32ElliEEv20rocsparse_direction_T3_S2_21rocsparse_index_base_PKT1_PKT2_PKS2_S2_S3_PS4_PS7_PS2_, .Lfunc_end74-_ZN9rocsparseL33bsr2csr_block_per_row_8_32_kernelILj1024ELj32ElliEEv20rocsparse_direction_T3_S2_21rocsparse_index_base_PKT1_PKT2_PKS2_S2_S3_PS4_PS7_PS2_
                                        ; -- End function
	.set _ZN9rocsparseL33bsr2csr_block_per_row_8_32_kernelILj1024ELj32ElliEEv20rocsparse_direction_T3_S2_21rocsparse_index_base_PKT1_PKT2_PKS2_S2_S3_PS4_PS7_PS2_.num_vgpr, 11
	.set _ZN9rocsparseL33bsr2csr_block_per_row_8_32_kernelILj1024ELj32ElliEEv20rocsparse_direction_T3_S2_21rocsparse_index_base_PKT1_PKT2_PKS2_S2_S3_PS4_PS7_PS2_.num_agpr, 0
	.set _ZN9rocsparseL33bsr2csr_block_per_row_8_32_kernelILj1024ELj32ElliEEv20rocsparse_direction_T3_S2_21rocsparse_index_base_PKT1_PKT2_PKS2_S2_S3_PS4_PS7_PS2_.numbered_sgpr, 27
	.set _ZN9rocsparseL33bsr2csr_block_per_row_8_32_kernelILj1024ELj32ElliEEv20rocsparse_direction_T3_S2_21rocsparse_index_base_PKT1_PKT2_PKS2_S2_S3_PS4_PS7_PS2_.num_named_barrier, 0
	.set _ZN9rocsparseL33bsr2csr_block_per_row_8_32_kernelILj1024ELj32ElliEEv20rocsparse_direction_T3_S2_21rocsparse_index_base_PKT1_PKT2_PKS2_S2_S3_PS4_PS7_PS2_.private_seg_size, 0
	.set _ZN9rocsparseL33bsr2csr_block_per_row_8_32_kernelILj1024ELj32ElliEEv20rocsparse_direction_T3_S2_21rocsparse_index_base_PKT1_PKT2_PKS2_S2_S3_PS4_PS7_PS2_.uses_vcc, 1
	.set _ZN9rocsparseL33bsr2csr_block_per_row_8_32_kernelILj1024ELj32ElliEEv20rocsparse_direction_T3_S2_21rocsparse_index_base_PKT1_PKT2_PKS2_S2_S3_PS4_PS7_PS2_.uses_flat_scratch, 0
	.set _ZN9rocsparseL33bsr2csr_block_per_row_8_32_kernelILj1024ELj32ElliEEv20rocsparse_direction_T3_S2_21rocsparse_index_base_PKT1_PKT2_PKS2_S2_S3_PS4_PS7_PS2_.has_dyn_sized_stack, 0
	.set _ZN9rocsparseL33bsr2csr_block_per_row_8_32_kernelILj1024ELj32ElliEEv20rocsparse_direction_T3_S2_21rocsparse_index_base_PKT1_PKT2_PKS2_S2_S3_PS4_PS7_PS2_.has_recursion, 0
	.set _ZN9rocsparseL33bsr2csr_block_per_row_8_32_kernelILj1024ELj32ElliEEv20rocsparse_direction_T3_S2_21rocsparse_index_base_PKT1_PKT2_PKS2_S2_S3_PS4_PS7_PS2_.has_indirect_call, 0
	.section	.AMDGPU.csdata,"",@progbits
; Kernel info:
; codeLenInByte = 776
; TotalNumSgprs: 29
; NumVgprs: 11
; ScratchSize: 0
; MemoryBound: 0
; FloatMode: 240
; IeeeMode: 1
; LDSByteSize: 0 bytes/workgroup (compile time only)
; SGPRBlocks: 0
; VGPRBlocks: 1
; NumSGPRsForWavesPerEU: 29
; NumVGPRsForWavesPerEU: 11
; Occupancy: 16
; WaveLimiterHint : 0
; COMPUTE_PGM_RSRC2:SCRATCH_EN: 0
; COMPUTE_PGM_RSRC2:USER_SGPR: 6
; COMPUTE_PGM_RSRC2:TRAP_HANDLER: 0
; COMPUTE_PGM_RSRC2:TGID_X_EN: 1
; COMPUTE_PGM_RSRC2:TGID_Y_EN: 0
; COMPUTE_PGM_RSRC2:TGID_Z_EN: 0
; COMPUTE_PGM_RSRC2:TIDIG_COMP_CNT: 0
	.section	.text._ZN9rocsparseL35bsr2csr_block_per_row_33_256_kernelILj1024ELj64ELj32ElliEEv20rocsparse_direction_T4_S2_21rocsparse_index_base_PKT2_PKT3_PKS2_S2_S3_PS4_PS7_PS2_,"axG",@progbits,_ZN9rocsparseL35bsr2csr_block_per_row_33_256_kernelILj1024ELj64ELj32ElliEEv20rocsparse_direction_T4_S2_21rocsparse_index_base_PKT2_PKT3_PKS2_S2_S3_PS4_PS7_PS2_,comdat
	.globl	_ZN9rocsparseL35bsr2csr_block_per_row_33_256_kernelILj1024ELj64ELj32ElliEEv20rocsparse_direction_T4_S2_21rocsparse_index_base_PKT2_PKT3_PKS2_S2_S3_PS4_PS7_PS2_ ; -- Begin function _ZN9rocsparseL35bsr2csr_block_per_row_33_256_kernelILj1024ELj64ELj32ElliEEv20rocsparse_direction_T4_S2_21rocsparse_index_base_PKT2_PKT3_PKS2_S2_S3_PS4_PS7_PS2_
	.p2align	8
	.type	_ZN9rocsparseL35bsr2csr_block_per_row_33_256_kernelILj1024ELj64ELj32ElliEEv20rocsparse_direction_T4_S2_21rocsparse_index_base_PKT2_PKT3_PKS2_S2_S3_PS4_PS7_PS2_,@function
_ZN9rocsparseL35bsr2csr_block_per_row_33_256_kernelILj1024ELj64ELj32ElliEEv20rocsparse_direction_T4_S2_21rocsparse_index_base_PKT2_PKT3_PKS2_S2_S3_PS4_PS7_PS2_: ; @_ZN9rocsparseL35bsr2csr_block_per_row_33_256_kernelILj1024ELj64ELj32ElliEEv20rocsparse_direction_T4_S2_21rocsparse_index_base_PKT2_PKT3_PKS2_S2_S3_PS4_PS7_PS2_
; %bb.0:
	s_load_dwordx2 s[0:1], s[4:5], 0x18
	s_ashr_i32 s7, s6, 31
	s_clause 0x1
	s_load_dwordx2 s[12:13], s[4:5], 0x28
	s_load_dwordx2 s[22:23], s[4:5], 0x38
	s_lshl_b64 s[2:3], s[6:7], 3
	v_or_b32_e32 v1, s6, v0
	s_mov_b32 s15, 0
	s_waitcnt lgkmcnt(0)
	s_add_u32 s0, s0, s2
	s_addc_u32 s1, s1, s3
	s_load_dwordx4 s[8:11], s[0:1], 0x0
	s_mov_b32 s0, exec_lo
	v_cmpx_eq_u32_e32 0, v1
	s_cbranch_execz .LBB75_2
; %bb.1:
	s_mov_b32 s14, s13
	v_mov_b32_e32 v3, 0
	v_mov_b32_e32 v1, s14
	;; [unrolled: 1-line block ×3, first 2 shown]
	global_store_dwordx2 v3, v[1:2], s[22:23]
.LBB75_2:
	s_or_b32 exec_lo, exec_lo, s0
	s_load_dword s14, s[4:5], 0xc
	s_mul_i32 s26, s12, s12
	v_lshrrev_b32_e32 v1, 5, v0
	v_cmp_gt_i32_e64 s1, s12, v1
	s_waitcnt lgkmcnt(0)
	s_sub_u32 s16, s8, s14
	s_subb_u32 s17, s9, 0
	s_mul_hi_u32 s0, s16, s26
	s_mul_i32 s2, s17, s26
	s_sub_u32 s18, s10, s14
	s_subb_u32 s19, s11, 0
	s_add_i32 s21, s0, s2
	s_sub_u32 s35, s18, s16
	s_subb_u32 s34, s19, s17
	s_mul_hi_u32 s0, s35, s12
	s_mul_i32 s2, s34, s12
	s_mul_i32 s20, s16, s26
	s_add_i32 s0, s0, s2
	s_mul_i32 s7, s35, s12
	s_add_u32 s2, s20, s13
	s_addc_u32 s3, s21, 0
	s_add_u32 s24, s2, s7
	s_addc_u32 s25, s3, s0
	s_mul_i32 s3, s12, s6
	s_and_saveexec_b32 s2, s1
	s_cbranch_execz .LBB75_4
; %bb.3:
	v_add_nc_u32_e32 v4, s3, v1
	v_mad_u64_u32 v[2:3], null, s7, v1, s[24:25]
	v_ashrrev_i32_e32 v5, 31, v4
	v_mad_u64_u32 v[6:7], null, s0, v1, v[3:4]
	v_lshlrev_b64 v[4:5], 3, v[4:5]
	v_add_co_u32 v4, vcc_lo, s22, v4
	v_mov_b32_e32 v3, v6
	v_add_co_ci_u32_e64 v5, null, s23, v5, vcc_lo
	global_store_dwordx2 v[4:5], v[2:3], off offset:8
.LBB75_4:
	s_or_b32 exec_lo, exec_lo, s2
	v_or_b32_e32 v12, 32, v1
	v_cmp_gt_i32_e64 s2, s12, v12
	s_and_saveexec_b32 s6, s2
	s_cbranch_execz .LBB75_6
; %bb.5:
	v_mad_u64_u32 v[2:3], null, s7, v12, s[24:25]
	s_ashr_i32 s7, s3, 31
	v_add_co_u32 v4, s3, v1, s3
	v_add_co_ci_u32_e64 v5, null, 0, s7, s3
	v_mad_u64_u32 v[6:7], null, s0, v12, v[3:4]
	v_lshlrev_b64 v[4:5], 3, v[4:5]
	v_add_co_u32 v4, vcc_lo, s22, v4
	v_mov_b32_e32 v3, v6
	v_add_co_ci_u32_e64 v5, null, s23, v5, vcc_lo
	global_store_dwordx2 v[4:5], v[2:3], off offset:264
.LBB75_6:
	s_or_b32 exec_lo, exec_lo, s6
	v_cmp_lt_i64_e64 s0, s[8:9], s[10:11]
	s_and_b32 vcc_lo, exec_lo, s0
	s_cbranch_vccz .LBB75_17
; %bb.7:
	s_clause 0x4
	s_load_dwordx2 s[6:7], s[4:5], 0x20
	s_load_dwordx2 s[22:23], s[4:5], 0x30
	s_load_dword s0, s[4:5], 0x0
	s_load_dwordx2 s[28:29], s[4:5], 0x10
	s_load_dwordx2 s[24:25], s[4:5], 0x40
	v_mul_lo_u32 v4, v1, s12
	v_mov_b32_e32 v5, 0
	v_and_b32_e32 v2, 31, v0
	v_mad_u64_u32 v[13:14], null, v1, s35, 0
	s_mov_b32 s10, s12
	v_mov_b32_e32 v7, v5
	v_mov_b32_e32 v11, v5
	;; [unrolled: 1-line block ×3, first 2 shown]
	v_cmp_gt_i32_e32 vcc_lo, s12, v2
	v_lshlrev_b32_e32 v22, 3, v2
	v_mul_lo_u32 v6, v2, s12
	v_mad_u64_u32 v[16:17], null, v13, s10, 0
	v_lshlrev_b32_e32 v18, 3, v1
	v_or_b32_e32 v3, 32, v2
	s_mov_b32 s27, s15
	s_waitcnt lgkmcnt(0)
	s_cmp_eq_u32 s0, 0
	s_mov_b32 s11, s15
	s_cselect_b32 s0, -1, 0
	s_lshl_b32 s4, s12, 5
	s_and_b32 s30, s1, vcc_lo
	v_add_nc_u32_e32 v8, s4, v4
	v_lshlrev_b64 v[4:5], 3, v[4:5]
	s_and_b32 s31, s2, vcc_lo
	v_add_nc_u32_e32 v10, s4, v6
	v_cmp_gt_i32_e64 s3, s12, v3
	v_lshlrev_b64 v[8:9], 3, v[8:9]
	s_lshl_b64 s[4:5], s[26:27], 3
	v_add_co_u32 v0, vcc_lo, v4, v22
	v_add_co_ci_u32_e64 v5, null, 0, v5, vcc_lo
	v_lshlrev_b64 v[10:11], 3, v[10:11]
	v_add_co_u32 v4, vcc_lo, s28, v0
	v_add_co_ci_u32_e64 v5, null, s29, v5, vcc_lo
	v_add_co_u32 v0, vcc_lo, v8, v22
	v_add_co_ci_u32_e64 v15, null, 0, v9, vcc_lo
	v_lshlrev_b64 v[8:9], 3, v[6:7]
	v_add_co_u32 v6, vcc_lo, s28, v0
	v_mov_b32_e32 v0, v14
	v_mad_u64_u32 v[13:14], null, s35, v12, 0
	v_add_co_ci_u32_e64 v7, null, s29, v15, vcc_lo
	v_mad_u64_u32 v[0:1], null, v1, s34, v[0:1]
	v_mov_b32_e32 v1, v17
	v_add_co_u32 v8, vcc_lo, v18, v8
	v_add_co_ci_u32_e64 v9, null, 0, v9, vcc_lo
	s_lshl_b64 s[8:9], s[8:9], 2
	v_mad_u64_u32 v[0:1], null, v0, s10, v[1:2]
	v_add_co_u32 v8, vcc_lo, s28, v8
	v_add_co_ci_u32_e64 v9, null, s29, v9, vcc_lo
	v_add_co_u32 v10, vcc_lo, v18, v10
	v_mov_b32_e32 v1, v14
	v_mad_u64_u32 v[18:19], null, v13, s10, 0
	v_mov_b32_e32 v17, v0
	v_add_co_ci_u32_e64 v11, null, 0, v11, vcc_lo
	v_mad_u64_u32 v[0:1], null, s34, v12, v[1:2]
	v_lshlrev_b64 v[12:13], 2, v[16:17]
	v_mov_b32_e32 v1, v19
	v_add_co_u32 v10, vcc_lo, s28, v10
	v_add_co_ci_u32_e64 v11, null, s29, v11, vcc_lo
	v_mad_u64_u32 v[0:1], null, v0, s10, v[1:2]
	v_add_co_u32 v1, vcc_lo, s24, v12
	v_add_co_ci_u32_e64 v13, null, s25, v13, vcc_lo
	v_add_co_u32 v12, vcc_lo, v18, s20
	v_add_co_ci_u32_e64 v15, null, s21, v0, vcc_lo
	s_lshl_b64 s[26:27], s[14:15], 2
	v_add_co_u32 v14, vcc_lo, v12, v2
	v_add_co_ci_u32_e64 v15, null, 0, v15, vcc_lo
	s_and_b32 s1, s1, s3
	s_and_b32 s33, s2, s3
	s_lshl_b64 s[2:3], s[20:21], 3
	s_sub_u32 s8, s8, s26
	v_lshlrev_b32_e32 v19, 2, v2
	v_lshlrev_b64 v[20:21], 3, v[14:15]
	s_subb_u32 s9, s9, s27
	s_add_u32 s6, s6, s8
	s_addc_u32 s7, s7, s9
	s_lshl_b64 s[8:9], s[20:21], 2
	v_add_co_u32 v12, vcc_lo, 0x80, v1
	v_add_co_u32 v14, s8, s8, v19
	v_mov_b32_e32 v19, v0
	v_add_co_ci_u32_e64 v13, null, 0, v13, vcc_lo
	v_add_co_u32 v0, vcc_lo, s22, v20
	v_lshlrev_b64 v[16:17], 3, v[16:17]
	v_add_co_ci_u32_e64 v1, null, s23, v21, vcc_lo
	v_lshlrev_b64 v[18:19], 2, v[18:19]
	v_add_co_u32 v0, vcc_lo, 0x100, v0
	v_add_co_ci_u32_e64 v1, null, 0, v1, vcc_lo
	v_add_co_u32 v20, vcc_lo, v16, v22
	v_add_co_ci_u32_e64 v21, null, 0, v17, vcc_lo
	;; [unrolled: 2-line block ×3, first 2 shown]
	v_add_co_u32 v18, vcc_lo, s2, v20
	v_add_co_ci_u32_e64 v15, null, s9, 0, s8
	v_add_co_ci_u32_e64 v19, null, s3, v21, vcc_lo
	s_lshl_b64 s[8:9], s[10:11], 2
	s_lshl_b64 s[10:11], s[10:11], 3
	s_add_u32 s15, s22, 0x100
	s_addc_u32 s20, s23, 0
	s_branch .LBB75_9
.LBB75_8:                               ;   in Loop: Header=BB75_9 Depth=1
	s_or_b32 exec_lo, exec_lo, s21
	v_add_co_u32 v4, vcc_lo, v4, s4
	v_add_co_ci_u32_e64 v5, null, s5, v5, vcc_lo
	v_add_co_u32 v6, vcc_lo, v6, s4
	v_add_co_ci_u32_e64 v7, null, s5, v7, vcc_lo
	v_add_co_u32 v8, vcc_lo, v8, s4
	s_add_u32 s16, s16, 1
	v_add_co_ci_u32_e64 v9, null, s5, v9, vcc_lo
	v_add_co_u32 v10, vcc_lo, v10, s4
	s_addc_u32 s17, s17, 0
	v_add_co_ci_u32_e64 v11, null, s5, v11, vcc_lo
	v_add_co_u32 v14, vcc_lo, v14, s8
	v_cmp_ge_i64_e64 s21, s[16:17], s[18:19]
	v_add_co_ci_u32_e64 v15, null, s9, v15, vcc_lo
	v_add_co_u32 v0, vcc_lo, v0, s10
	s_add_u32 s6, s6, 4
	v_add_co_ci_u32_e64 v1, null, s11, v1, vcc_lo
	s_addc_u32 s7, s7, 0
	s_add_u32 s15, s15, s10
	s_addc_u32 s20, s20, s11
	s_and_b32 vcc_lo, exec_lo, s21
	s_cbranch_vccnz .LBB75_17
.LBB75_9:                               ; =>This Inner Loop Header: Depth=1
	s_load_dword s21, s[6:7], 0x0
	s_waitcnt lgkmcnt(0)
	s_sub_i32 s21, s21, s14
	s_mul_i32 s21, s21, s12
	s_add_i32 s21, s21, s13
	v_add_nc_u32_e32 v20, s21, v2
	s_and_saveexec_b32 s22, s30
	s_cbranch_execnz .LBB75_13
; %bb.10:                               ;   in Loop: Header=BB75_9 Depth=1
	s_or_b32 exec_lo, exec_lo, s22
	v_add_nc_u32_e32 v21, s21, v3
	s_and_saveexec_b32 s21, s1
	s_cbranch_execnz .LBB75_14
.LBB75_11:                              ;   in Loop: Header=BB75_9 Depth=1
	s_or_b32 exec_lo, exec_lo, s21
	s_and_saveexec_b32 s21, s31
	s_cbranch_execnz .LBB75_15
.LBB75_12:                              ;   in Loop: Header=BB75_9 Depth=1
	s_or_b32 exec_lo, exec_lo, s21
	s_and_saveexec_b32 s21, s33
	s_cbranch_execz .LBB75_8
	s_branch .LBB75_16
.LBB75_13:                              ;   in Loop: Header=BB75_9 Depth=1
	v_add_co_u32 v21, vcc_lo, v4, s2
	v_add_co_ci_u32_e64 v22, null, s3, v5, vcc_lo
	v_add_co_u32 v23, vcc_lo, v8, s2
	v_add_co_ci_u32_e64 v24, null, s3, v9, vcc_lo
	v_cndmask_b32_e64 v21, v23, v21, s0
	v_add_co_u32 v23, vcc_lo, v12, v14
	v_cndmask_b32_e64 v22, v24, v22, s0
	v_add_co_ci_u32_e64 v24, null, v13, v15, vcc_lo
	v_add_co_u32 v25, vcc_lo, s15, v18
	global_load_dwordx2 v[21:22], v[21:22], off
	v_add_co_ci_u32_e64 v26, null, s20, v19, vcc_lo
	global_store_dword v[23:24], v20, off offset:-128
	s_waitcnt vmcnt(0)
	global_store_dwordx2 v[25:26], v[21:22], off offset:-256
	s_or_b32 exec_lo, exec_lo, s22
	v_add_nc_u32_e32 v21, s21, v3
	s_and_saveexec_b32 s21, s1
	s_cbranch_execz .LBB75_11
.LBB75_14:                              ;   in Loop: Header=BB75_9 Depth=1
	v_add_co_u32 v22, vcc_lo, v4, s2
	v_add_co_ci_u32_e64 v23, null, s3, v5, vcc_lo
	v_add_co_u32 v22, vcc_lo, 0x100, v22
	v_add_co_ci_u32_e64 v23, null, 0, v23, vcc_lo
	;; [unrolled: 2-line block ×3, first 2 shown]
	v_cndmask_b32_e64 v22, v24, v22, s0
	v_add_co_u32 v24, vcc_lo, v12, v14
	v_cndmask_b32_e64 v23, v25, v23, s0
	v_add_co_ci_u32_e64 v25, null, v13, v15, vcc_lo
	v_add_co_u32 v26, vcc_lo, s15, v18
	global_load_dwordx2 v[22:23], v[22:23], off
	v_add_co_ci_u32_e64 v27, null, s20, v19, vcc_lo
	global_store_dword v[24:25], v21, off
	s_waitcnt vmcnt(0)
	global_store_dwordx2 v[26:27], v[22:23], off
	s_or_b32 exec_lo, exec_lo, s21
	s_and_saveexec_b32 s21, s31
	s_cbranch_execz .LBB75_12
.LBB75_15:                              ;   in Loop: Header=BB75_9 Depth=1
	v_add_co_u32 v22, vcc_lo, v8, s2
	v_add_co_ci_u32_e64 v23, null, s3, v9, vcc_lo
	v_add_co_u32 v24, vcc_lo, v6, s2
	v_add_co_ci_u32_e64 v25, null, s3, v7, vcc_lo
	v_add_co_u32 v22, vcc_lo, 0x100, v22
	v_add_co_ci_u32_e64 v23, null, 0, v23, vcc_lo
	v_cndmask_b32_e64 v22, v22, v24, s0
	v_add_co_u32 v24, vcc_lo, v16, v14
	v_cndmask_b32_e64 v23, v23, v25, s0
	v_add_co_ci_u32_e64 v25, null, v17, v15, vcc_lo
	global_load_dwordx2 v[22:23], v[22:23], off
	global_store_dword v[24:25], v20, off
	s_waitcnt vmcnt(0)
	global_store_dwordx2 v[0:1], v[22:23], off offset:-256
	s_or_b32 exec_lo, exec_lo, s21
	s_and_saveexec_b32 s21, s33
	s_cbranch_execz .LBB75_8
.LBB75_16:                              ;   in Loop: Header=BB75_9 Depth=1
	v_add_co_u32 v20, vcc_lo, v6, s2
	v_add_co_ci_u32_e64 v22, null, s3, v7, vcc_lo
	v_add_co_u32 v24, vcc_lo, v10, s2
	v_add_co_ci_u32_e64 v23, null, s3, v11, vcc_lo
	v_cndmask_b32_e64 v23, v23, v22, s0
	v_cndmask_b32_e64 v22, v24, v20, s0
	v_add_co_u32 v24, vcc_lo, v16, v14
	v_add_co_ci_u32_e64 v25, null, v17, v15, vcc_lo
	global_load_dwordx2 v[22:23], v[22:23], off offset:256
	global_store_dword v[24:25], v21, off offset:128
	s_waitcnt vmcnt(0)
	global_store_dwordx2 v[0:1], v[22:23], off
	s_branch .LBB75_8
.LBB75_17:
	s_endpgm
	.section	.rodata,"a",@progbits
	.p2align	6, 0x0
	.amdhsa_kernel _ZN9rocsparseL35bsr2csr_block_per_row_33_256_kernelILj1024ELj64ELj32ElliEEv20rocsparse_direction_T4_S2_21rocsparse_index_base_PKT2_PKT3_PKS2_S2_S3_PS4_PS7_PS2_
		.amdhsa_group_segment_fixed_size 0
		.amdhsa_private_segment_fixed_size 0
		.amdhsa_kernarg_size 72
		.amdhsa_user_sgpr_count 6
		.amdhsa_user_sgpr_private_segment_buffer 1
		.amdhsa_user_sgpr_dispatch_ptr 0
		.amdhsa_user_sgpr_queue_ptr 0
		.amdhsa_user_sgpr_kernarg_segment_ptr 1
		.amdhsa_user_sgpr_dispatch_id 0
		.amdhsa_user_sgpr_flat_scratch_init 0
		.amdhsa_user_sgpr_private_segment_size 0
		.amdhsa_wavefront_size32 1
		.amdhsa_uses_dynamic_stack 0
		.amdhsa_system_sgpr_private_segment_wavefront_offset 0
		.amdhsa_system_sgpr_workgroup_id_x 1
		.amdhsa_system_sgpr_workgroup_id_y 0
		.amdhsa_system_sgpr_workgroup_id_z 0
		.amdhsa_system_sgpr_workgroup_info 0
		.amdhsa_system_vgpr_workitem_id 0
		.amdhsa_next_free_vgpr 28
		.amdhsa_next_free_sgpr 36
		.amdhsa_reserve_vcc 1
		.amdhsa_reserve_flat_scratch 0
		.amdhsa_float_round_mode_32 0
		.amdhsa_float_round_mode_16_64 0
		.amdhsa_float_denorm_mode_32 3
		.amdhsa_float_denorm_mode_16_64 3
		.amdhsa_dx10_clamp 1
		.amdhsa_ieee_mode 1
		.amdhsa_fp16_overflow 0
		.amdhsa_workgroup_processor_mode 1
		.amdhsa_memory_ordered 1
		.amdhsa_forward_progress 1
		.amdhsa_shared_vgpr_count 0
		.amdhsa_exception_fp_ieee_invalid_op 0
		.amdhsa_exception_fp_denorm_src 0
		.amdhsa_exception_fp_ieee_div_zero 0
		.amdhsa_exception_fp_ieee_overflow 0
		.amdhsa_exception_fp_ieee_underflow 0
		.amdhsa_exception_fp_ieee_inexact 0
		.amdhsa_exception_int_div_zero 0
	.end_amdhsa_kernel
	.section	.text._ZN9rocsparseL35bsr2csr_block_per_row_33_256_kernelILj1024ELj64ELj32ElliEEv20rocsparse_direction_T4_S2_21rocsparse_index_base_PKT2_PKT3_PKS2_S2_S3_PS4_PS7_PS2_,"axG",@progbits,_ZN9rocsparseL35bsr2csr_block_per_row_33_256_kernelILj1024ELj64ELj32ElliEEv20rocsparse_direction_T4_S2_21rocsparse_index_base_PKT2_PKT3_PKS2_S2_S3_PS4_PS7_PS2_,comdat
.Lfunc_end75:
	.size	_ZN9rocsparseL35bsr2csr_block_per_row_33_256_kernelILj1024ELj64ELj32ElliEEv20rocsparse_direction_T4_S2_21rocsparse_index_base_PKT2_PKT3_PKS2_S2_S3_PS4_PS7_PS2_, .Lfunc_end75-_ZN9rocsparseL35bsr2csr_block_per_row_33_256_kernelILj1024ELj64ELj32ElliEEv20rocsparse_direction_T4_S2_21rocsparse_index_base_PKT2_PKT3_PKS2_S2_S3_PS4_PS7_PS2_
                                        ; -- End function
	.set _ZN9rocsparseL35bsr2csr_block_per_row_33_256_kernelILj1024ELj64ELj32ElliEEv20rocsparse_direction_T4_S2_21rocsparse_index_base_PKT2_PKT3_PKS2_S2_S3_PS4_PS7_PS2_.num_vgpr, 28
	.set _ZN9rocsparseL35bsr2csr_block_per_row_33_256_kernelILj1024ELj64ELj32ElliEEv20rocsparse_direction_T4_S2_21rocsparse_index_base_PKT2_PKT3_PKS2_S2_S3_PS4_PS7_PS2_.num_agpr, 0
	.set _ZN9rocsparseL35bsr2csr_block_per_row_33_256_kernelILj1024ELj64ELj32ElliEEv20rocsparse_direction_T4_S2_21rocsparse_index_base_PKT2_PKT3_PKS2_S2_S3_PS4_PS7_PS2_.numbered_sgpr, 36
	.set _ZN9rocsparseL35bsr2csr_block_per_row_33_256_kernelILj1024ELj64ELj32ElliEEv20rocsparse_direction_T4_S2_21rocsparse_index_base_PKT2_PKT3_PKS2_S2_S3_PS4_PS7_PS2_.num_named_barrier, 0
	.set _ZN9rocsparseL35bsr2csr_block_per_row_33_256_kernelILj1024ELj64ELj32ElliEEv20rocsparse_direction_T4_S2_21rocsparse_index_base_PKT2_PKT3_PKS2_S2_S3_PS4_PS7_PS2_.private_seg_size, 0
	.set _ZN9rocsparseL35bsr2csr_block_per_row_33_256_kernelILj1024ELj64ELj32ElliEEv20rocsparse_direction_T4_S2_21rocsparse_index_base_PKT2_PKT3_PKS2_S2_S3_PS4_PS7_PS2_.uses_vcc, 1
	.set _ZN9rocsparseL35bsr2csr_block_per_row_33_256_kernelILj1024ELj64ELj32ElliEEv20rocsparse_direction_T4_S2_21rocsparse_index_base_PKT2_PKT3_PKS2_S2_S3_PS4_PS7_PS2_.uses_flat_scratch, 0
	.set _ZN9rocsparseL35bsr2csr_block_per_row_33_256_kernelILj1024ELj64ELj32ElliEEv20rocsparse_direction_T4_S2_21rocsparse_index_base_PKT2_PKT3_PKS2_S2_S3_PS4_PS7_PS2_.has_dyn_sized_stack, 0
	.set _ZN9rocsparseL35bsr2csr_block_per_row_33_256_kernelILj1024ELj64ELj32ElliEEv20rocsparse_direction_T4_S2_21rocsparse_index_base_PKT2_PKT3_PKS2_S2_S3_PS4_PS7_PS2_.has_recursion, 0
	.set _ZN9rocsparseL35bsr2csr_block_per_row_33_256_kernelILj1024ELj64ELj32ElliEEv20rocsparse_direction_T4_S2_21rocsparse_index_base_PKT2_PKT3_PKS2_S2_S3_PS4_PS7_PS2_.has_indirect_call, 0
	.section	.AMDGPU.csdata,"",@progbits
; Kernel info:
; codeLenInByte = 1768
; TotalNumSgprs: 38
; NumVgprs: 28
; ScratchSize: 0
; MemoryBound: 0
; FloatMode: 240
; IeeeMode: 1
; LDSByteSize: 0 bytes/workgroup (compile time only)
; SGPRBlocks: 0
; VGPRBlocks: 3
; NumSGPRsForWavesPerEU: 38
; NumVGPRsForWavesPerEU: 28
; Occupancy: 16
; WaveLimiterHint : 1
; COMPUTE_PGM_RSRC2:SCRATCH_EN: 0
; COMPUTE_PGM_RSRC2:USER_SGPR: 6
; COMPUTE_PGM_RSRC2:TRAP_HANDLER: 0
; COMPUTE_PGM_RSRC2:TGID_X_EN: 1
; COMPUTE_PGM_RSRC2:TGID_Y_EN: 0
; COMPUTE_PGM_RSRC2:TGID_Z_EN: 0
; COMPUTE_PGM_RSRC2:TIDIG_COMP_CNT: 0
	.section	.text._ZN9rocsparseL35bsr2csr_block_per_row_33_256_kernelILj1024ELj128ELj32ElliEEv20rocsparse_direction_T4_S2_21rocsparse_index_base_PKT2_PKT3_PKS2_S2_S3_PS4_PS7_PS2_,"axG",@progbits,_ZN9rocsparseL35bsr2csr_block_per_row_33_256_kernelILj1024ELj128ELj32ElliEEv20rocsparse_direction_T4_S2_21rocsparse_index_base_PKT2_PKT3_PKS2_S2_S3_PS4_PS7_PS2_,comdat
	.globl	_ZN9rocsparseL35bsr2csr_block_per_row_33_256_kernelILj1024ELj128ELj32ElliEEv20rocsparse_direction_T4_S2_21rocsparse_index_base_PKT2_PKT3_PKS2_S2_S3_PS4_PS7_PS2_ ; -- Begin function _ZN9rocsparseL35bsr2csr_block_per_row_33_256_kernelILj1024ELj128ELj32ElliEEv20rocsparse_direction_T4_S2_21rocsparse_index_base_PKT2_PKT3_PKS2_S2_S3_PS4_PS7_PS2_
	.p2align	8
	.type	_ZN9rocsparseL35bsr2csr_block_per_row_33_256_kernelILj1024ELj128ELj32ElliEEv20rocsparse_direction_T4_S2_21rocsparse_index_base_PKT2_PKT3_PKS2_S2_S3_PS4_PS7_PS2_,@function
_ZN9rocsparseL35bsr2csr_block_per_row_33_256_kernelILj1024ELj128ELj32ElliEEv20rocsparse_direction_T4_S2_21rocsparse_index_base_PKT2_PKT3_PKS2_S2_S3_PS4_PS7_PS2_: ; @_ZN9rocsparseL35bsr2csr_block_per_row_33_256_kernelILj1024ELj128ELj32ElliEEv20rocsparse_direction_T4_S2_21rocsparse_index_base_PKT2_PKT3_PKS2_S2_S3_PS4_PS7_PS2_
; %bb.0:
	s_load_dwordx2 s[0:1], s[4:5], 0x18
	s_ashr_i32 s7, s6, 31
	s_clause 0x1
	s_load_dwordx2 s[12:13], s[4:5], 0x28
	s_load_dwordx2 s[20:21], s[4:5], 0x38
	s_lshl_b64 s[2:3], s[6:7], 3
	v_or_b32_e32 v1, s6, v0
	s_mov_b32 s15, 0
	s_waitcnt lgkmcnt(0)
	s_add_u32 s0, s0, s2
	s_addc_u32 s1, s1, s3
	s_load_dwordx4 s[8:11], s[0:1], 0x0
	s_mov_b32 s0, exec_lo
	v_cmpx_eq_u32_e32 0, v1
	s_cbranch_execz .LBB76_2
; %bb.1:
	s_mov_b32 s14, s13
	v_mov_b32_e32 v3, 0
	v_mov_b32_e32 v1, s14
	;; [unrolled: 1-line block ×3, first 2 shown]
	global_store_dwordx2 v3, v[1:2], s[20:21]
.LBB76_2:
	s_or_b32 exec_lo, exec_lo, s0
	s_load_dword s14, s[4:5], 0xc
	s_mul_i32 s24, s12, s12
	v_lshrrev_b32_e32 v1, 5, v0
	s_mul_i32 s7, s12, s6
	v_cmp_gt_i32_e64 s1, s12, v1
	s_waitcnt lgkmcnt(0)
	s_sub_u32 s16, s8, s14
	s_subb_u32 s17, s9, 0
	s_mul_hi_u32 s0, s16, s24
	s_mul_i32 s2, s17, s24
	s_sub_u32 s18, s10, s14
	s_subb_u32 s19, s11, 0
	s_add_i32 s23, s0, s2
	s_sub_u32 s49, s18, s16
	s_subb_u32 s48, s19, s17
	s_mul_hi_u32 s0, s49, s12
	s_mul_i32 s2, s48, s12
	s_mul_i32 s22, s16, s24
	s_add_i32 s0, s0, s2
	s_mul_i32 s25, s49, s12
	s_add_u32 s2, s22, s13
	s_addc_u32 s3, s23, 0
	s_add_u32 s26, s2, s25
	s_addc_u32 s27, s3, s0
	s_and_saveexec_b32 s2, s1
	s_cbranch_execz .LBB76_4
; %bb.3:
	v_add_nc_u32_e32 v4, s7, v1
	v_mad_u64_u32 v[2:3], null, s25, v1, s[26:27]
	v_ashrrev_i32_e32 v5, 31, v4
	v_mad_u64_u32 v[6:7], null, s0, v1, v[3:4]
	v_lshlrev_b64 v[4:5], 3, v[4:5]
	v_add_co_u32 v4, vcc_lo, s20, v4
	v_mov_b32_e32 v3, v6
	v_add_co_ci_u32_e64 v5, null, s21, v5, vcc_lo
	global_store_dwordx2 v[4:5], v[2:3], off offset:8
.LBB76_4:
	s_or_b32 exec_lo, exec_lo, s2
	v_or_b32_e32 v4, 32, v1
	v_cmp_gt_i32_e64 s2, s12, v4
	s_and_saveexec_b32 s3, s2
	s_cbranch_execz .LBB76_6
; %bb.5:
	v_mad_u64_u32 v[2:3], null, s25, v4, s[26:27]
	s_ashr_i32 s6, s7, 31
	v_add_co_u32 v5, s28, v1, s7
	v_add_co_ci_u32_e64 v6, null, 0, s6, s28
	v_mad_u64_u32 v[7:8], null, s0, v4, v[3:4]
	v_lshlrev_b64 v[5:6], 3, v[5:6]
	v_add_co_u32 v5, vcc_lo, s20, v5
	v_mov_b32_e32 v3, v7
	v_add_co_ci_u32_e64 v6, null, s21, v6, vcc_lo
	global_store_dwordx2 v[5:6], v[2:3], off offset:264
.LBB76_6:
	s_or_b32 exec_lo, exec_lo, s3
	v_or_b32_e32 v5, 64, v1
	v_cmp_gt_i32_e64 s3, s12, v5
	s_and_saveexec_b32 s6, s3
	s_cbranch_execz .LBB76_8
; %bb.7:
	v_mad_u64_u32 v[2:3], null, s25, v5, s[26:27]
	s_ashr_i32 s28, s7, 31
	v_add_co_u32 v6, s29, v1, s7
	v_add_co_ci_u32_e64 v7, null, 0, s28, s29
	v_mad_u64_u32 v[8:9], null, s0, v5, v[3:4]
	v_lshlrev_b64 v[6:7], 3, v[6:7]
	v_add_co_u32 v6, vcc_lo, s20, v6
	v_mov_b32_e32 v3, v8
	v_add_co_ci_u32_e64 v7, null, s21, v7, vcc_lo
	global_store_dwordx2 v[6:7], v[2:3], off offset:520
.LBB76_8:
	s_or_b32 exec_lo, exec_lo, s6
	v_or_b32_e32 v6, 0x60, v1
	v_cmp_gt_i32_e64 s6, s12, v6
	s_and_saveexec_b32 s28, s6
	s_cbranch_execz .LBB76_10
; %bb.9:
	v_mad_u64_u32 v[2:3], null, s25, v6, s[26:27]
	s_ashr_i32 s25, s7, 31
	v_add_co_u32 v7, s7, v1, s7
	v_add_co_ci_u32_e64 v8, null, 0, s25, s7
	v_mad_u64_u32 v[9:10], null, s0, v6, v[3:4]
	v_lshlrev_b64 v[7:8], 3, v[7:8]
	v_add_co_u32 v7, vcc_lo, s20, v7
	v_mov_b32_e32 v3, v9
	v_add_co_ci_u32_e64 v8, null, s21, v8, vcc_lo
	global_store_dwordx2 v[7:8], v[2:3], off offset:776
.LBB76_10:
	s_or_b32 exec_lo, exec_lo, s28
	v_cmp_lt_i64_e64 s0, s[8:9], s[10:11]
	s_and_b32 vcc_lo, exec_lo, s0
	s_cbranch_vccz .LBB76_45
; %bb.11:
	s_clause 0x4
	s_load_dwordx2 s[26:27], s[4:5], 0x20
	s_load_dwordx2 s[10:11], s[4:5], 0x30
	s_load_dword s0, s[4:5], 0x0
	s_load_dwordx2 s[46:47], s[4:5], 0x10
	s_load_dwordx2 s[20:21], s[4:5], 0x40
	v_and_b32_e32 v16, 31, v0
	v_mul_lo_u32 v2, v1, s12
	v_mov_b32_e32 v3, 0
	v_lshlrev_b32_e32 v15, 3, v1
	s_mov_b32 s28, s12
	v_mul_lo_u32 v7, v16, s12
	v_cmp_gt_i32_e32 vcc_lo, s12, v16
	v_mov_b32_e32 v8, v3
	v_mov_b32_e32 v10, v3
	;; [unrolled: 1-line block ×7, first 2 shown]
	v_lshlrev_b32_e32 v0, 3, v16
	v_or_b32_e32 v17, 32, v16
	v_or_b32_e32 v18, 64, v16
	s_waitcnt lgkmcnt(0)
	s_cmp_eq_u32 s0, 0
	v_or_b32_e32 v19, 0x60, v16
	s_cselect_b32 s0, -1, 0
	s_lshl_b32 s42, s12, 5
	s_and_b32 s30, s1, vcc_lo
	v_add_nc_u32_e32 v9, s42, v7
	v_add_nc_u32_e32 v22, s42, v2
	v_lshlrev_b64 v[2:3], 3, v[2:3]
	s_and_b32 s34, s2, vcc_lo
	s_and_b32 s38, s3, vcc_lo
	v_add_nc_u32_e32 v11, s42, v9
	v_add_nc_u32_e32 v24, s42, v22
	v_cmp_gt_i32_e64 s4, s12, v17
	v_cmp_gt_i32_e64 s5, s12, v18
	;; [unrolled: 1-line block ×3, first 2 shown]
	v_add_nc_u32_e32 v13, s42, v11
	v_add_nc_u32_e32 v26, s42, v24
	s_and_b32 s42, s6, vcc_lo
	v_add_co_u32 v20, vcc_lo, v2, v0
	v_add_co_ci_u32_e64 v21, null, 0, v3, vcc_lo
	v_lshlrev_b64 v[2:3], 3, v[22:23]
	v_lshlrev_b64 v[24:25], 3, v[24:25]
	s_and_b32 s35, s2, s4
	s_and_b32 s36, s2, s5
	;; [unrolled: 1-line block ×4, first 2 shown]
	v_add_co_u32 v22, vcc_lo, v2, v0
	v_add_co_ci_u32_e64 v23, null, 0, v3, vcc_lo
	v_lshlrev_b64 v[2:3], 3, v[26:27]
	v_add_co_u32 v24, vcc_lo, v24, v0
	v_add_co_ci_u32_e64 v25, null, 0, v25, vcc_lo
	s_and_b32 s40, s3, s5
	v_add_co_u32 v26, vcc_lo, v2, v0
	v_add_co_ci_u32_e64 v27, null, 0, v3, vcc_lo
	v_lshlrev_b64 v[2:3], 3, v[7:8]
	v_lshlrev_b64 v[7:8], 3, v[9:10]
	v_mad_u64_u32 v[9:10], null, v1, s49, 0
	s_and_b32 s41, s3, s7
	s_lshl_b64 s[2:3], s[22:23], 3
	v_add_co_u32 v28, vcc_lo, v15, v2
	v_add_co_ci_u32_e64 v29, null, 0, v3, vcc_lo
	v_add_co_u32 v30, vcc_lo, v15, v7
	v_add_co_ci_u32_e64 v31, null, 0, v8, vcc_lo
	v_lshlrev_b64 v[2:3], 3, v[11:12]
	v_mad_u64_u32 v[7:8], null, v9, s28, s[22:23]
	v_mov_b32_e32 v0, v10
	v_lshlrev_b64 v[9:10], 3, v[13:14]
	v_mad_u64_u32 v[12:13], null, s49, v5, 0
	v_add_co_u32 v32, vcc_lo, v15, v2
	v_mad_u64_u32 v[0:1], null, v1, s48, v[0:1]
	v_add_co_ci_u32_e64 v33, null, 0, v3, vcc_lo
	v_mov_b32_e32 v1, v8
	v_add_co_u32 v34, vcc_lo, v15, v9
	v_mad_u64_u32 v[8:9], null, s49, v6, 0
	v_add_co_ci_u32_e64 v35, null, 0, v10, vcc_lo
	v_mad_u64_u32 v[0:1], null, v0, s28, v[1:2]
	v_add_co_u32 v2, vcc_lo, v7, v16
	v_mov_b32_e32 v7, v9
	v_mad_u64_u32 v[8:9], null, v8, s28, s[22:23]
	v_mad_u64_u32 v[10:11], null, s49, v4, 0
	v_add_co_ci_u32_e64 v3, null, 0, v0, vcc_lo
	s_and_b32 s31, s1, s4
	s_and_b32 s33, s1, s5
	v_mad_u64_u32 v[6:7], null, s48, v6, v[7:8]
	v_mad_u64_u32 v[14:15], null, v10, s28, s[22:23]
	v_mov_b32_e32 v7, v9
	v_mad_u64_u32 v[9:10], null, s48, v4, v[11:12]
	v_mov_b32_e32 v4, v13
	v_mad_u64_u32 v[10:11], null, v12, s28, s[22:23]
	v_mad_u64_u32 v[6:7], null, v6, s28, v[7:8]
	;; [unrolled: 1-line block ×3, first 2 shown]
	v_mov_b32_e32 v12, v15
	v_add_co_u32 v7, vcc_lo, v8, v16
	v_mov_b32_e32 v5, v11
	v_add_co_ci_u32_e64 v8, null, 0, v6, vcc_lo
	v_mad_u64_u32 v[12:13], null, v9, s28, v[12:13]
	v_mad_u64_u32 v[4:5], null, v4, s28, v[5:6]
	v_add_co_u32 v11, vcc_lo, v14, v16
	s_and_b32 s1, s1, s7
	s_and_b32 s43, s6, s4
	v_add_co_ci_u32_e64 v12, null, 0, v12, vcc_lo
	v_add_co_u32 v14, vcc_lo, v10, v16
	v_add_co_ci_u32_e64 v15, null, 0, v4, vcc_lo
	s_and_b32 s44, s6, s5
	s_and_b32 s45, s6, s7
	s_mov_b32 s25, s15
	s_add_u32 s46, s46, s2
	s_addc_u32 s47, s47, s3
	s_lshl_b64 s[4:5], s[8:9], 2
	s_lshl_b64 s[6:7], s[14:15], 2
	;; [unrolled: 1-line block ×3, first 2 shown]
	v_lshlrev_b64 v[0:1], 2, v[2:3]
	v_lshlrev_b64 v[2:3], 3, v[2:3]
	;; [unrolled: 1-line block ×8, first 2 shown]
	s_sub_u32 s4, s4, s6
	s_mov_b32 s29, s15
	s_subb_u32 s5, s5, s7
	s_add_u32 s4, s26, s4
	s_addc_u32 s5, s27, s5
	s_lshl_b64 s[6:7], s[28:29], 2
	s_lshl_b64 s[8:9], s[28:29], 3
	s_branch .LBB76_13
.LBB76_12:                              ;   in Loop: Header=BB76_13 Depth=1
	s_or_b32 exec_lo, exec_lo, s15
	s_add_u32 s16, s16, 1
	s_addc_u32 s17, s17, 0
	s_add_u32 s46, s46, s2
	s_addc_u32 s47, s47, s3
	v_cmp_ge_i64_e64 s15, s[16:17], s[18:19]
	s_add_u32 s4, s4, 4
	s_addc_u32 s5, s5, 0
	s_add_u32 s20, s20, s6
	s_addc_u32 s21, s21, s7
	;; [unrolled: 2-line block ×3, first 2 shown]
	s_and_b32 vcc_lo, exec_lo, s15
	s_cbranch_vccnz .LBB76_45
.LBB76_13:                              ; =>This Inner Loop Header: Depth=1
	s_load_dword s15, s[4:5], 0x0
	s_waitcnt lgkmcnt(0)
	s_sub_i32 s15, s15, s14
	s_mul_i32 s15, s15, s12
	s_add_i32 s15, s15, s13
	v_add_nc_u32_e32 v39, s15, v16
	s_and_saveexec_b32 s22, s30
	s_cbranch_execnz .LBB76_29
; %bb.14:                               ;   in Loop: Header=BB76_13 Depth=1
	s_or_b32 exec_lo, exec_lo, s22
	v_add_nc_u32_e32 v38, s15, v17
	s_and_saveexec_b32 s22, s31
	s_cbranch_execnz .LBB76_30
.LBB76_15:                              ;   in Loop: Header=BB76_13 Depth=1
	s_or_b32 exec_lo, exec_lo, s22
	v_add_nc_u32_e32 v36, s15, v18
	s_and_saveexec_b32 s22, s33
	s_cbranch_execnz .LBB76_31
.LBB76_16:                              ;   in Loop: Header=BB76_13 Depth=1
	s_or_b32 exec_lo, exec_lo, s22
	v_add_nc_u32_e32 v37, s15, v19
	s_and_saveexec_b32 s15, s1
	s_cbranch_execnz .LBB76_32
.LBB76_17:                              ;   in Loop: Header=BB76_13 Depth=1
	s_or_b32 exec_lo, exec_lo, s15
	s_and_saveexec_b32 s15, s34
	s_cbranch_execnz .LBB76_33
.LBB76_18:                              ;   in Loop: Header=BB76_13 Depth=1
	s_or_b32 exec_lo, exec_lo, s15
	s_and_saveexec_b32 s15, s35
	s_cbranch_execnz .LBB76_34
.LBB76_19:                              ;   in Loop: Header=BB76_13 Depth=1
	s_or_b32 exec_lo, exec_lo, s15
	s_and_saveexec_b32 s15, s36
	s_cbranch_execnz .LBB76_35
.LBB76_20:                              ;   in Loop: Header=BB76_13 Depth=1
	s_or_b32 exec_lo, exec_lo, s15
	s_and_saveexec_b32 s15, s37
	s_cbranch_execnz .LBB76_36
.LBB76_21:                              ;   in Loop: Header=BB76_13 Depth=1
	s_or_b32 exec_lo, exec_lo, s15
	s_and_saveexec_b32 s15, s38
	s_cbranch_execnz .LBB76_37
.LBB76_22:                              ;   in Loop: Header=BB76_13 Depth=1
	s_or_b32 exec_lo, exec_lo, s15
	s_and_saveexec_b32 s15, s39
	s_cbranch_execnz .LBB76_38
.LBB76_23:                              ;   in Loop: Header=BB76_13 Depth=1
	s_or_b32 exec_lo, exec_lo, s15
	s_and_saveexec_b32 s15, s40
	s_cbranch_execnz .LBB76_39
.LBB76_24:                              ;   in Loop: Header=BB76_13 Depth=1
	s_or_b32 exec_lo, exec_lo, s15
	s_and_saveexec_b32 s15, s41
	s_cbranch_execnz .LBB76_40
.LBB76_25:                              ;   in Loop: Header=BB76_13 Depth=1
	s_or_b32 exec_lo, exec_lo, s15
	s_and_saveexec_b32 s15, s42
	s_cbranch_execnz .LBB76_41
.LBB76_26:                              ;   in Loop: Header=BB76_13 Depth=1
	s_or_b32 exec_lo, exec_lo, s15
	s_and_saveexec_b32 s15, s43
	s_cbranch_execnz .LBB76_42
.LBB76_27:                              ;   in Loop: Header=BB76_13 Depth=1
	s_or_b32 exec_lo, exec_lo, s15
	s_and_saveexec_b32 s15, s44
	s_cbranch_execnz .LBB76_43
.LBB76_28:                              ;   in Loop: Header=BB76_13 Depth=1
	s_or_b32 exec_lo, exec_lo, s15
	s_and_saveexec_b32 s15, s45
	s_cbranch_execz .LBB76_12
	s_branch .LBB76_44
.LBB76_29:                              ;   in Loop: Header=BB76_13 Depth=1
	v_add_co_u32 v36, vcc_lo, s46, v20
	v_add_co_ci_u32_e64 v37, null, s47, v21, vcc_lo
	v_add_co_u32 v38, vcc_lo, s46, v28
	v_add_co_ci_u32_e64 v40, null, s47, v29, vcc_lo
	v_cndmask_b32_e64 v36, v38, v36, s0
	v_cndmask_b32_e64 v37, v40, v37, s0
	v_add_co_u32 v40, vcc_lo, s20, v0
	v_add_co_ci_u32_e64 v41, null, s21, v1, vcc_lo
	global_load_dwordx2 v[36:37], v[36:37], off
	v_add_co_u32 v42, vcc_lo, s10, v2
	v_add_co_ci_u32_e64 v43, null, s11, v3, vcc_lo
	global_store_dword v[40:41], v39, off
	s_waitcnt vmcnt(0)
	global_store_dwordx2 v[42:43], v[36:37], off
	s_or_b32 exec_lo, exec_lo, s22
	v_add_nc_u32_e32 v38, s15, v17
	s_and_saveexec_b32 s22, s31
	s_cbranch_execz .LBB76_15
.LBB76_30:                              ;   in Loop: Header=BB76_13 Depth=1
	v_add_co_u32 v36, vcc_lo, s46, v20
	v_add_co_ci_u32_e64 v37, null, s47, v21, vcc_lo
	v_add_co_u32 v36, vcc_lo, 0x100, v36
	v_add_co_ci_u32_e64 v37, null, 0, v37, vcc_lo
	;; [unrolled: 2-line block ×3, first 2 shown]
	v_cndmask_b32_e64 v36, v40, v36, s0
	v_add_co_u32 v40, vcc_lo, s20, v0
	v_cndmask_b32_e64 v37, v41, v37, s0
	v_add_co_ci_u32_e64 v41, null, s21, v1, vcc_lo
	v_add_co_u32 v42, vcc_lo, s10, v2
	global_load_dwordx2 v[36:37], v[36:37], off
	v_add_co_ci_u32_e64 v43, null, s11, v3, vcc_lo
	global_store_dword v[40:41], v38, off offset:128
	s_waitcnt vmcnt(0)
	global_store_dwordx2 v[42:43], v[36:37], off offset:256
	s_or_b32 exec_lo, exec_lo, s22
	v_add_nc_u32_e32 v36, s15, v18
	s_and_saveexec_b32 s22, s33
	s_cbranch_execz .LBB76_16
.LBB76_31:                              ;   in Loop: Header=BB76_13 Depth=1
	v_add_co_u32 v37, vcc_lo, s46, v20
	v_add_co_ci_u32_e64 v40, null, s47, v21, vcc_lo
	v_add_co_u32 v37, vcc_lo, 0x200, v37
	v_add_co_ci_u32_e64 v40, null, 0, v40, vcc_lo
	v_add_co_u32 v42, vcc_lo, s46, v32
	v_add_co_ci_u32_e64 v41, null, s47, v33, vcc_lo
	v_cndmask_b32_e64 v41, v41, v40, s0
	v_cndmask_b32_e64 v40, v42, v37, s0
	v_add_co_u32 v42, vcc_lo, s20, v0
	v_add_co_ci_u32_e64 v43, null, s21, v1, vcc_lo
	global_load_dwordx2 v[40:41], v[40:41], off
	v_add_co_u32 v44, vcc_lo, s10, v2
	v_add_co_ci_u32_e64 v45, null, s11, v3, vcc_lo
	global_store_dword v[42:43], v36, off offset:256
	s_waitcnt vmcnt(0)
	global_store_dwordx2 v[44:45], v[40:41], off offset:512
	s_or_b32 exec_lo, exec_lo, s22
	v_add_nc_u32_e32 v37, s15, v19
	s_and_saveexec_b32 s15, s1
	s_cbranch_execz .LBB76_17
.LBB76_32:                              ;   in Loop: Header=BB76_13 Depth=1
	v_add_co_u32 v40, vcc_lo, s46, v20
	v_add_co_ci_u32_e64 v41, null, s47, v21, vcc_lo
	v_add_co_u32 v40, vcc_lo, 0x300, v40
	v_add_co_ci_u32_e64 v41, null, 0, v41, vcc_lo
	v_add_co_u32 v42, vcc_lo, s46, v34
	v_add_co_ci_u32_e64 v43, null, s47, v35, vcc_lo
	v_cndmask_b32_e64 v40, v42, v40, s0
	v_add_co_u32 v42, vcc_lo, s20, v0
	v_cndmask_b32_e64 v41, v43, v41, s0
	v_add_co_ci_u32_e64 v43, null, s21, v1, vcc_lo
	v_add_co_u32 v44, vcc_lo, s10, v2
	global_load_dwordx2 v[40:41], v[40:41], off
	v_add_co_ci_u32_e64 v45, null, s11, v3, vcc_lo
	global_store_dword v[42:43], v37, off offset:384
	s_waitcnt vmcnt(0)
	global_store_dwordx2 v[44:45], v[40:41], off offset:768
	s_or_b32 exec_lo, exec_lo, s15
	s_and_saveexec_b32 s15, s34
	s_cbranch_execz .LBB76_18
.LBB76_33:                              ;   in Loop: Header=BB76_13 Depth=1
	v_add_co_u32 v40, vcc_lo, s46, v28
	v_add_co_ci_u32_e64 v41, null, s47, v29, vcc_lo
	v_add_co_u32 v42, vcc_lo, s46, v22
	v_add_co_ci_u32_e64 v43, null, s47, v23, vcc_lo
	;; [unrolled: 2-line block ×3, first 2 shown]
	v_cndmask_b32_e64 v40, v40, v42, s0
	v_add_co_u32 v42, vcc_lo, s20, v8
	v_cndmask_b32_e64 v41, v41, v43, s0
	v_add_co_ci_u32_e64 v43, null, s21, v9, vcc_lo
	v_add_co_u32 v44, vcc_lo, s10, v10
	global_load_dwordx2 v[40:41], v[40:41], off
	v_add_co_ci_u32_e64 v45, null, s11, v11, vcc_lo
	global_store_dword v[42:43], v39, off
	s_waitcnt vmcnt(0)
	global_store_dwordx2 v[44:45], v[40:41], off
	s_or_b32 exec_lo, exec_lo, s15
	s_and_saveexec_b32 s15, s35
	s_cbranch_execz .LBB76_19
.LBB76_34:                              ;   in Loop: Header=BB76_13 Depth=1
	v_add_co_u32 v40, vcc_lo, s46, v22
	v_add_co_ci_u32_e64 v41, null, s47, v23, vcc_lo
	v_add_co_u32 v42, vcc_lo, s46, v30
	v_add_co_ci_u32_e64 v43, null, s47, v31, vcc_lo
	v_cndmask_b32_e64 v40, v42, v40, s0
	v_add_co_u32 v42, vcc_lo, s20, v8
	v_cndmask_b32_e64 v41, v43, v41, s0
	v_add_co_ci_u32_e64 v43, null, s21, v9, vcc_lo
	v_add_co_u32 v44, vcc_lo, s10, v10
	global_load_dwordx2 v[40:41], v[40:41], off offset:256
	v_add_co_ci_u32_e64 v45, null, s11, v11, vcc_lo
	global_store_dword v[42:43], v38, off offset:128
	s_waitcnt vmcnt(0)
	global_store_dwordx2 v[44:45], v[40:41], off offset:256
	s_or_b32 exec_lo, exec_lo, s15
	s_and_saveexec_b32 s15, s36
	s_cbranch_execz .LBB76_20
.LBB76_35:                              ;   in Loop: Header=BB76_13 Depth=1
	v_add_co_u32 v40, vcc_lo, s46, v22
	v_add_co_ci_u32_e64 v41, null, s47, v23, vcc_lo
	v_add_co_u32 v42, vcc_lo, s46, v32
	v_add_co_ci_u32_e64 v43, null, s47, v33, vcc_lo
	v_add_co_u32 v40, vcc_lo, 0x200, v40
	v_add_co_ci_u32_e64 v41, null, 0, v41, vcc_lo
	v_add_co_u32 v42, vcc_lo, 0x100, v42
	v_add_co_ci_u32_e64 v43, null, 0, v43, vcc_lo
	v_cndmask_b32_e64 v40, v42, v40, s0
	v_add_co_u32 v42, vcc_lo, s20, v8
	v_cndmask_b32_e64 v41, v43, v41, s0
	v_add_co_ci_u32_e64 v43, null, s21, v9, vcc_lo
	v_add_co_u32 v44, vcc_lo, s10, v10
	global_load_dwordx2 v[40:41], v[40:41], off
	v_add_co_ci_u32_e64 v45, null, s11, v11, vcc_lo
	global_store_dword v[42:43], v36, off offset:256
	s_waitcnt vmcnt(0)
	global_store_dwordx2 v[44:45], v[40:41], off offset:512
	s_or_b32 exec_lo, exec_lo, s15
	s_and_saveexec_b32 s15, s37
	s_cbranch_execz .LBB76_21
.LBB76_36:                              ;   in Loop: Header=BB76_13 Depth=1
	v_add_co_u32 v40, vcc_lo, s46, v22
	v_add_co_ci_u32_e64 v41, null, s47, v23, vcc_lo
	v_add_co_u32 v42, vcc_lo, s46, v34
	v_add_co_ci_u32_e64 v43, null, s47, v35, vcc_lo
	;; [unrolled: 2-line block ×4, first 2 shown]
	v_cndmask_b32_e64 v40, v42, v40, s0
	v_add_co_u32 v42, vcc_lo, s20, v8
	v_cndmask_b32_e64 v41, v43, v41, s0
	v_add_co_ci_u32_e64 v43, null, s21, v9, vcc_lo
	v_add_co_u32 v44, vcc_lo, s10, v10
	global_load_dwordx2 v[40:41], v[40:41], off
	v_add_co_ci_u32_e64 v45, null, s11, v11, vcc_lo
	global_store_dword v[42:43], v37, off offset:384
	s_waitcnt vmcnt(0)
	global_store_dwordx2 v[44:45], v[40:41], off offset:768
	s_or_b32 exec_lo, exec_lo, s15
	s_and_saveexec_b32 s15, s38
	s_cbranch_execz .LBB76_22
.LBB76_37:                              ;   in Loop: Header=BB76_13 Depth=1
	v_add_co_u32 v40, vcc_lo, s46, v28
	v_add_co_ci_u32_e64 v41, null, s47, v29, vcc_lo
	v_add_co_u32 v42, vcc_lo, s46, v24
	v_add_co_ci_u32_e64 v43, null, s47, v25, vcc_lo
	;; [unrolled: 2-line block ×3, first 2 shown]
	v_cndmask_b32_e64 v40, v40, v42, s0
	v_add_co_u32 v42, vcc_lo, s20, v14
	v_cndmask_b32_e64 v41, v41, v43, s0
	v_add_co_ci_u32_e64 v43, null, s21, v15, vcc_lo
	v_add_co_u32 v44, vcc_lo, s10, v12
	global_load_dwordx2 v[40:41], v[40:41], off
	v_add_co_ci_u32_e64 v45, null, s11, v13, vcc_lo
	global_store_dword v[42:43], v39, off
	s_waitcnt vmcnt(0)
	global_store_dwordx2 v[44:45], v[40:41], off
	s_or_b32 exec_lo, exec_lo, s15
	s_and_saveexec_b32 s15, s39
	s_cbranch_execz .LBB76_23
.LBB76_38:                              ;   in Loop: Header=BB76_13 Depth=1
	v_add_co_u32 v40, vcc_lo, s46, v24
	v_add_co_ci_u32_e64 v41, null, s47, v25, vcc_lo
	v_add_co_u32 v42, vcc_lo, s46, v30
	v_add_co_ci_u32_e64 v43, null, s47, v31, vcc_lo
	;; [unrolled: 2-line block ×4, first 2 shown]
	v_cndmask_b32_e64 v40, v42, v40, s0
	v_add_co_u32 v42, vcc_lo, s20, v14
	v_cndmask_b32_e64 v41, v43, v41, s0
	v_add_co_ci_u32_e64 v43, null, s21, v15, vcc_lo
	v_add_co_u32 v44, vcc_lo, s10, v12
	global_load_dwordx2 v[40:41], v[40:41], off
	v_add_co_ci_u32_e64 v45, null, s11, v13, vcc_lo
	global_store_dword v[42:43], v38, off offset:128
	s_waitcnt vmcnt(0)
	global_store_dwordx2 v[44:45], v[40:41], off offset:256
	s_or_b32 exec_lo, exec_lo, s15
	s_and_saveexec_b32 s15, s40
	s_cbranch_execz .LBB76_24
.LBB76_39:                              ;   in Loop: Header=BB76_13 Depth=1
	v_add_co_u32 v40, vcc_lo, s46, v24
	v_add_co_ci_u32_e64 v41, null, s47, v25, vcc_lo
	v_add_co_u32 v42, vcc_lo, s46, v32
	v_add_co_ci_u32_e64 v43, null, s47, v33, vcc_lo
	v_cndmask_b32_e64 v40, v42, v40, s0
	v_add_co_u32 v42, vcc_lo, s20, v14
	v_cndmask_b32_e64 v41, v43, v41, s0
	v_add_co_ci_u32_e64 v43, null, s21, v15, vcc_lo
	v_add_co_u32 v44, vcc_lo, s10, v12
	global_load_dwordx2 v[40:41], v[40:41], off offset:512
	v_add_co_ci_u32_e64 v45, null, s11, v13, vcc_lo
	global_store_dword v[42:43], v36, off offset:256
	s_waitcnt vmcnt(0)
	global_store_dwordx2 v[44:45], v[40:41], off offset:512
	s_or_b32 exec_lo, exec_lo, s15
	s_and_saveexec_b32 s15, s41
	s_cbranch_execz .LBB76_25
.LBB76_40:                              ;   in Loop: Header=BB76_13 Depth=1
	v_add_co_u32 v40, vcc_lo, s46, v24
	v_add_co_ci_u32_e64 v41, null, s47, v25, vcc_lo
	v_add_co_u32 v42, vcc_lo, s46, v34
	v_add_co_ci_u32_e64 v43, null, s47, v35, vcc_lo
	v_add_co_u32 v40, vcc_lo, 0x300, v40
	v_add_co_ci_u32_e64 v41, null, 0, v41, vcc_lo
	v_add_co_u32 v42, vcc_lo, 0x200, v42
	v_add_co_ci_u32_e64 v43, null, 0, v43, vcc_lo
	v_cndmask_b32_e64 v40, v42, v40, s0
	v_add_co_u32 v42, vcc_lo, s20, v14
	v_cndmask_b32_e64 v41, v43, v41, s0
	v_add_co_ci_u32_e64 v43, null, s21, v15, vcc_lo
	v_add_co_u32 v44, vcc_lo, s10, v12
	global_load_dwordx2 v[40:41], v[40:41], off
	v_add_co_ci_u32_e64 v45, null, s11, v13, vcc_lo
	global_store_dword v[42:43], v37, off offset:384
	s_waitcnt vmcnt(0)
	global_store_dwordx2 v[44:45], v[40:41], off offset:768
	s_or_b32 exec_lo, exec_lo, s15
	s_and_saveexec_b32 s15, s42
	s_cbranch_execz .LBB76_26
.LBB76_41:                              ;   in Loop: Header=BB76_13 Depth=1
	v_add_co_u32 v40, vcc_lo, s46, v28
	v_add_co_ci_u32_e64 v41, null, s47, v29, vcc_lo
	v_add_co_u32 v42, vcc_lo, s46, v26
	v_add_co_ci_u32_e64 v43, null, s47, v27, vcc_lo
	;; [unrolled: 2-line block ×3, first 2 shown]
	v_cndmask_b32_e64 v40, v40, v42, s0
	v_add_co_u32 v42, vcc_lo, s20, v6
	v_cndmask_b32_e64 v41, v41, v43, s0
	v_add_co_ci_u32_e64 v43, null, s21, v7, vcc_lo
	v_add_co_u32 v44, vcc_lo, s10, v4
	global_load_dwordx2 v[40:41], v[40:41], off
	v_add_co_ci_u32_e64 v45, null, s11, v5, vcc_lo
	global_store_dword v[42:43], v39, off
	s_waitcnt vmcnt(0)
	global_store_dwordx2 v[44:45], v[40:41], off
	s_or_b32 exec_lo, exec_lo, s15
	s_and_saveexec_b32 s15, s43
	s_cbranch_execz .LBB76_27
.LBB76_42:                              ;   in Loop: Header=BB76_13 Depth=1
	v_add_co_u32 v39, vcc_lo, s46, v26
	v_add_co_ci_u32_e64 v40, null, s47, v27, vcc_lo
	v_add_co_u32 v41, vcc_lo, s46, v30
	v_add_co_ci_u32_e64 v42, null, s47, v31, vcc_lo
	;; [unrolled: 2-line block ×4, first 2 shown]
	v_cndmask_b32_e64 v39, v41, v39, s0
	v_add_co_u32 v41, vcc_lo, s20, v6
	v_cndmask_b32_e64 v40, v42, v40, s0
	v_add_co_ci_u32_e64 v42, null, s21, v7, vcc_lo
	v_add_co_u32 v43, vcc_lo, s10, v4
	global_load_dwordx2 v[39:40], v[39:40], off
	v_add_co_ci_u32_e64 v44, null, s11, v5, vcc_lo
	global_store_dword v[41:42], v38, off offset:128
	s_waitcnt vmcnt(0)
	global_store_dwordx2 v[43:44], v[39:40], off offset:256
	s_or_b32 exec_lo, exec_lo, s15
	s_and_saveexec_b32 s15, s44
	s_cbranch_execz .LBB76_28
.LBB76_43:                              ;   in Loop: Header=BB76_13 Depth=1
	v_add_co_u32 v38, vcc_lo, s46, v26
	v_add_co_ci_u32_e64 v39, null, s47, v27, vcc_lo
	v_add_co_u32 v40, vcc_lo, s46, v32
	v_add_co_ci_u32_e64 v41, null, s47, v33, vcc_lo
	v_add_co_u32 v38, vcc_lo, 0x200, v38
	v_add_co_ci_u32_e64 v39, null, 0, v39, vcc_lo
	v_add_co_u32 v40, vcc_lo, 0x300, v40
	v_add_co_ci_u32_e64 v41, null, 0, v41, vcc_lo
	v_cndmask_b32_e64 v38, v40, v38, s0
	v_add_co_u32 v40, vcc_lo, s20, v6
	v_cndmask_b32_e64 v39, v41, v39, s0
	v_add_co_ci_u32_e64 v41, null, s21, v7, vcc_lo
	v_add_co_u32 v42, vcc_lo, s10, v4
	global_load_dwordx2 v[38:39], v[38:39], off
	v_add_co_ci_u32_e64 v43, null, s11, v5, vcc_lo
	global_store_dword v[40:41], v36, off offset:256
	s_waitcnt vmcnt(0)
	global_store_dwordx2 v[42:43], v[38:39], off offset:512
	s_or_b32 exec_lo, exec_lo, s15
	s_and_saveexec_b32 s15, s45
	s_cbranch_execz .LBB76_12
.LBB76_44:                              ;   in Loop: Header=BB76_13 Depth=1
	v_add_co_u32 v36, vcc_lo, s46, v26
	v_add_co_ci_u32_e64 v38, null, s47, v27, vcc_lo
	v_add_co_u32 v40, vcc_lo, s46, v34
	v_add_co_ci_u32_e64 v39, null, s47, v35, vcc_lo
	v_cndmask_b32_e64 v39, v39, v38, s0
	v_cndmask_b32_e64 v38, v40, v36, s0
	v_add_co_u32 v40, vcc_lo, s20, v6
	v_add_co_ci_u32_e64 v41, null, s21, v7, vcc_lo
	global_load_dwordx2 v[38:39], v[38:39], off offset:768
	v_add_co_u32 v42, vcc_lo, s10, v4
	v_add_co_ci_u32_e64 v43, null, s11, v5, vcc_lo
	global_store_dword v[40:41], v37, off offset:384
	s_waitcnt vmcnt(0)
	global_store_dwordx2 v[42:43], v[38:39], off offset:768
	s_branch .LBB76_12
.LBB76_45:
	s_endpgm
	.section	.rodata,"a",@progbits
	.p2align	6, 0x0
	.amdhsa_kernel _ZN9rocsparseL35bsr2csr_block_per_row_33_256_kernelILj1024ELj128ELj32ElliEEv20rocsparse_direction_T4_S2_21rocsparse_index_base_PKT2_PKT3_PKS2_S2_S3_PS4_PS7_PS2_
		.amdhsa_group_segment_fixed_size 0
		.amdhsa_private_segment_fixed_size 0
		.amdhsa_kernarg_size 72
		.amdhsa_user_sgpr_count 6
		.amdhsa_user_sgpr_private_segment_buffer 1
		.amdhsa_user_sgpr_dispatch_ptr 0
		.amdhsa_user_sgpr_queue_ptr 0
		.amdhsa_user_sgpr_kernarg_segment_ptr 1
		.amdhsa_user_sgpr_dispatch_id 0
		.amdhsa_user_sgpr_flat_scratch_init 0
		.amdhsa_user_sgpr_private_segment_size 0
		.amdhsa_wavefront_size32 1
		.amdhsa_uses_dynamic_stack 0
		.amdhsa_system_sgpr_private_segment_wavefront_offset 0
		.amdhsa_system_sgpr_workgroup_id_x 1
		.amdhsa_system_sgpr_workgroup_id_y 0
		.amdhsa_system_sgpr_workgroup_id_z 0
		.amdhsa_system_sgpr_workgroup_info 0
		.amdhsa_system_vgpr_workitem_id 0
		.amdhsa_next_free_vgpr 46
		.amdhsa_next_free_sgpr 50
		.amdhsa_reserve_vcc 1
		.amdhsa_reserve_flat_scratch 0
		.amdhsa_float_round_mode_32 0
		.amdhsa_float_round_mode_16_64 0
		.amdhsa_float_denorm_mode_32 3
		.amdhsa_float_denorm_mode_16_64 3
		.amdhsa_dx10_clamp 1
		.amdhsa_ieee_mode 1
		.amdhsa_fp16_overflow 0
		.amdhsa_workgroup_processor_mode 1
		.amdhsa_memory_ordered 1
		.amdhsa_forward_progress 1
		.amdhsa_shared_vgpr_count 0
		.amdhsa_exception_fp_ieee_invalid_op 0
		.amdhsa_exception_fp_denorm_src 0
		.amdhsa_exception_fp_ieee_div_zero 0
		.amdhsa_exception_fp_ieee_overflow 0
		.amdhsa_exception_fp_ieee_underflow 0
		.amdhsa_exception_fp_ieee_inexact 0
		.amdhsa_exception_int_div_zero 0
	.end_amdhsa_kernel
	.section	.text._ZN9rocsparseL35bsr2csr_block_per_row_33_256_kernelILj1024ELj128ELj32ElliEEv20rocsparse_direction_T4_S2_21rocsparse_index_base_PKT2_PKT3_PKS2_S2_S3_PS4_PS7_PS2_,"axG",@progbits,_ZN9rocsparseL35bsr2csr_block_per_row_33_256_kernelILj1024ELj128ELj32ElliEEv20rocsparse_direction_T4_S2_21rocsparse_index_base_PKT2_PKT3_PKS2_S2_S3_PS4_PS7_PS2_,comdat
.Lfunc_end76:
	.size	_ZN9rocsparseL35bsr2csr_block_per_row_33_256_kernelILj1024ELj128ELj32ElliEEv20rocsparse_direction_T4_S2_21rocsparse_index_base_PKT2_PKT3_PKS2_S2_S3_PS4_PS7_PS2_, .Lfunc_end76-_ZN9rocsparseL35bsr2csr_block_per_row_33_256_kernelILj1024ELj128ELj32ElliEEv20rocsparse_direction_T4_S2_21rocsparse_index_base_PKT2_PKT3_PKS2_S2_S3_PS4_PS7_PS2_
                                        ; -- End function
	.set _ZN9rocsparseL35bsr2csr_block_per_row_33_256_kernelILj1024ELj128ELj32ElliEEv20rocsparse_direction_T4_S2_21rocsparse_index_base_PKT2_PKT3_PKS2_S2_S3_PS4_PS7_PS2_.num_vgpr, 46
	.set _ZN9rocsparseL35bsr2csr_block_per_row_33_256_kernelILj1024ELj128ELj32ElliEEv20rocsparse_direction_T4_S2_21rocsparse_index_base_PKT2_PKT3_PKS2_S2_S3_PS4_PS7_PS2_.num_agpr, 0
	.set _ZN9rocsparseL35bsr2csr_block_per_row_33_256_kernelILj1024ELj128ELj32ElliEEv20rocsparse_direction_T4_S2_21rocsparse_index_base_PKT2_PKT3_PKS2_S2_S3_PS4_PS7_PS2_.numbered_sgpr, 50
	.set _ZN9rocsparseL35bsr2csr_block_per_row_33_256_kernelILj1024ELj128ELj32ElliEEv20rocsparse_direction_T4_S2_21rocsparse_index_base_PKT2_PKT3_PKS2_S2_S3_PS4_PS7_PS2_.num_named_barrier, 0
	.set _ZN9rocsparseL35bsr2csr_block_per_row_33_256_kernelILj1024ELj128ELj32ElliEEv20rocsparse_direction_T4_S2_21rocsparse_index_base_PKT2_PKT3_PKS2_S2_S3_PS4_PS7_PS2_.private_seg_size, 0
	.set _ZN9rocsparseL35bsr2csr_block_per_row_33_256_kernelILj1024ELj128ELj32ElliEEv20rocsparse_direction_T4_S2_21rocsparse_index_base_PKT2_PKT3_PKS2_S2_S3_PS4_PS7_PS2_.uses_vcc, 1
	.set _ZN9rocsparseL35bsr2csr_block_per_row_33_256_kernelILj1024ELj128ELj32ElliEEv20rocsparse_direction_T4_S2_21rocsparse_index_base_PKT2_PKT3_PKS2_S2_S3_PS4_PS7_PS2_.uses_flat_scratch, 0
	.set _ZN9rocsparseL35bsr2csr_block_per_row_33_256_kernelILj1024ELj128ELj32ElliEEv20rocsparse_direction_T4_S2_21rocsparse_index_base_PKT2_PKT3_PKS2_S2_S3_PS4_PS7_PS2_.has_dyn_sized_stack, 0
	.set _ZN9rocsparseL35bsr2csr_block_per_row_33_256_kernelILj1024ELj128ELj32ElliEEv20rocsparse_direction_T4_S2_21rocsparse_index_base_PKT2_PKT3_PKS2_S2_S3_PS4_PS7_PS2_.has_recursion, 0
	.set _ZN9rocsparseL35bsr2csr_block_per_row_33_256_kernelILj1024ELj128ELj32ElliEEv20rocsparse_direction_T4_S2_21rocsparse_index_base_PKT2_PKT3_PKS2_S2_S3_PS4_PS7_PS2_.has_indirect_call, 0
	.section	.AMDGPU.csdata,"",@progbits
; Kernel info:
; codeLenInByte = 3960
; TotalNumSgprs: 52
; NumVgprs: 46
; ScratchSize: 0
; MemoryBound: 0
; FloatMode: 240
; IeeeMode: 1
; LDSByteSize: 0 bytes/workgroup (compile time only)
; SGPRBlocks: 0
; VGPRBlocks: 5
; NumSGPRsForWavesPerEU: 52
; NumVGPRsForWavesPerEU: 46
; Occupancy: 16
; WaveLimiterHint : 1
; COMPUTE_PGM_RSRC2:SCRATCH_EN: 0
; COMPUTE_PGM_RSRC2:USER_SGPR: 6
; COMPUTE_PGM_RSRC2:TRAP_HANDLER: 0
; COMPUTE_PGM_RSRC2:TGID_X_EN: 1
; COMPUTE_PGM_RSRC2:TGID_Y_EN: 0
; COMPUTE_PGM_RSRC2:TGID_Z_EN: 0
; COMPUTE_PGM_RSRC2:TIDIG_COMP_CNT: 0
	.section	.text._ZN9rocsparseL35bsr2csr_block_per_row_33_256_kernelILj1024ELj256ELj32ElliEEv20rocsparse_direction_T4_S2_21rocsparse_index_base_PKT2_PKT3_PKS2_S2_S3_PS4_PS7_PS2_,"axG",@progbits,_ZN9rocsparseL35bsr2csr_block_per_row_33_256_kernelILj1024ELj256ELj32ElliEEv20rocsparse_direction_T4_S2_21rocsparse_index_base_PKT2_PKT3_PKS2_S2_S3_PS4_PS7_PS2_,comdat
	.globl	_ZN9rocsparseL35bsr2csr_block_per_row_33_256_kernelILj1024ELj256ELj32ElliEEv20rocsparse_direction_T4_S2_21rocsparse_index_base_PKT2_PKT3_PKS2_S2_S3_PS4_PS7_PS2_ ; -- Begin function _ZN9rocsparseL35bsr2csr_block_per_row_33_256_kernelILj1024ELj256ELj32ElliEEv20rocsparse_direction_T4_S2_21rocsparse_index_base_PKT2_PKT3_PKS2_S2_S3_PS4_PS7_PS2_
	.p2align	8
	.type	_ZN9rocsparseL35bsr2csr_block_per_row_33_256_kernelILj1024ELj256ELj32ElliEEv20rocsparse_direction_T4_S2_21rocsparse_index_base_PKT2_PKT3_PKS2_S2_S3_PS4_PS7_PS2_,@function
_ZN9rocsparseL35bsr2csr_block_per_row_33_256_kernelILj1024ELj256ELj32ElliEEv20rocsparse_direction_T4_S2_21rocsparse_index_base_PKT2_PKT3_PKS2_S2_S3_PS4_PS7_PS2_: ; @_ZN9rocsparseL35bsr2csr_block_per_row_33_256_kernelILj1024ELj256ELj32ElliEEv20rocsparse_direction_T4_S2_21rocsparse_index_base_PKT2_PKT3_PKS2_S2_S3_PS4_PS7_PS2_
; %bb.0:
	s_load_dwordx2 s[0:1], s[4:5], 0x18
	s_ashr_i32 s7, s6, 31
	s_clause 0x1
	s_load_dwordx2 s[16:17], s[4:5], 0x28
	s_load_dwordx2 s[24:25], s[4:5], 0x38
	s_lshl_b64 s[2:3], s[6:7], 3
	v_or_b32_e32 v1, s6, v0
	s_waitcnt lgkmcnt(0)
	s_add_u32 s0, s0, s2
	s_addc_u32 s1, s1, s3
	s_mov_b32 s2, exec_lo
	s_load_dwordx4 s[12:15], s[0:1], 0x0
	s_mov_b32 s1, 0
	v_cmpx_eq_u32_e32 0, v1
	s_cbranch_execz .LBB77_2
; %bb.1:
	s_mov_b32 s0, s17
	v_mov_b32_e32 v2, s1
	v_mov_b32_e32 v3, 0
	v_mov_b32_e32 v1, s0
	global_store_dwordx2 v3, v[1:2], s[24:25]
.LBB77_2:
	s_or_b32 exec_lo, exec_lo, s2
	s_load_dword s33, s[4:5], 0xc
	s_mul_i32 s34, s16, s16
	v_lshrrev_b32_e32 v43, 5, v0
	s_mul_i32 s11, s16, s6
	v_cmp_gt_i32_e64 s2, s16, v43
	s_waitcnt lgkmcnt(0)
	s_sub_u32 s18, s12, s33
	s_subb_u32 s19, s13, 0
	s_mul_hi_u32 s0, s18, s34
	s_mul_i32 s1, s19, s34
	s_sub_u32 s20, s14, s33
	s_subb_u32 s21, s15, 0
	s_add_i32 s23, s0, s1
	s_sub_u32 s58, s20, s18
	s_subb_u32 s64, s21, s19
	s_mul_hi_u32 s0, s58, s16
	s_mul_i32 s1, s64, s16
	s_mul_i32 s22, s18, s34
	s_add_i32 s0, s0, s1
	s_mul_i32 s28, s58, s16
	s_add_u32 s1, s22, s17
	s_addc_u32 s3, s23, 0
	s_add_u32 s26, s1, s28
	s_addc_u32 s27, s3, s0
	s_and_saveexec_b32 s1, s2
	s_cbranch_execz .LBB77_4
; %bb.3:
	v_add_nc_u32_e32 v3, s11, v43
	v_mad_u64_u32 v[1:2], null, s28, v43, s[26:27]
	v_ashrrev_i32_e32 v4, 31, v3
	v_mad_u64_u32 v[5:6], null, s0, v43, v[2:3]
	v_lshlrev_b64 v[3:4], 3, v[3:4]
	v_add_co_u32 v3, vcc_lo, s24, v3
	v_mov_b32_e32 v2, v5
	v_add_co_ci_u32_e64 v4, null, s25, v4, vcc_lo
	global_store_dwordx2 v[3:4], v[1:2], off offset:8
.LBB77_4:
	s_or_b32 exec_lo, exec_lo, s1
	v_or_b32_e32 v4, 32, v43
	v_cmp_gt_i32_e64 s8, s16, v4
	s_and_saveexec_b32 s1, s8
	s_cbranch_execz .LBB77_6
; %bb.5:
	s_ashr_i32 s3, s11, 31
	v_add_co_u32 v5, s6, v43, s11
	v_add_co_ci_u32_e64 v6, null, 0, s3, s6
	v_mad_u64_u32 v[1:2], null, s28, v4, s[26:27]
	v_lshlrev_b64 v[5:6], 3, v[5:6]
	v_mad_u64_u32 v[2:3], null, s0, v4, v[2:3]
	v_add_co_u32 v5, vcc_lo, s24, v5
	v_add_co_ci_u32_e64 v6, null, s25, v6, vcc_lo
	global_store_dwordx2 v[5:6], v[1:2], off offset:264
.LBB77_6:
	s_or_b32 exec_lo, exec_lo, s1
	v_or_b32_e32 v5, 64, v43
	v_cmp_gt_i32_e64 s6, s16, v5
	s_and_saveexec_b32 s1, s6
	s_cbranch_execz .LBB77_8
; %bb.7:
	s_ashr_i32 s3, s11, 31
	v_add_co_u32 v6, s7, v43, s11
	v_add_co_ci_u32_e64 v7, null, 0, s3, s7
	v_mad_u64_u32 v[1:2], null, s28, v5, s[26:27]
	v_lshlrev_b64 v[6:7], 3, v[6:7]
	v_mad_u64_u32 v[2:3], null, s0, v5, v[2:3]
	v_add_co_u32 v6, vcc_lo, s24, v6
	v_add_co_ci_u32_e64 v7, null, s25, v7, vcc_lo
	global_store_dwordx2 v[6:7], v[1:2], off offset:520
.LBB77_8:
	;; [unrolled: 16-line block ×6, first 2 shown]
	s_or_b32 exec_lo, exec_lo, s9
	v_or_b32_e32 v14, 0xe0, v43
	v_cmp_gt_i32_e64 s9, s16, v14
	s_and_saveexec_b32 s29, s9
	s_cbranch_execz .LBB77_18
; %bb.17:
	v_mad_u64_u32 v[1:2], null, s28, v14, s[26:27]
	s_ashr_i32 s26, s11, 31
	v_add_co_u32 v7, s11, v43, s11
	v_add_co_ci_u32_e64 v8, null, 0, s26, s11
	v_mad_u64_u32 v[2:3], null, s0, v14, v[2:3]
	v_lshlrev_b64 v[7:8], 3, v[7:8]
	v_add_co_u32 v7, vcc_lo, s24, v7
	v_add_co_ci_u32_e64 v8, null, s25, v8, vcc_lo
	global_store_dwordx2 v[7:8], v[1:2], off offset:1800
.LBB77_18:
	s_or_b32 exec_lo, exec_lo, s29
	v_cmp_lt_i64_e64 s0, s[12:13], s[14:15]
	s_and_b32 vcc_lo, exec_lo, s0
	s_cbranch_vccz .LBB77_149
; %bb.19:
	v_and_b32_e32 v46, 31, v0
	v_mad_u64_u32 v[0:1], null, s58, v43, 0
	v_mad_u64_u32 v[2:3], null, s58, v4, 0
	s_clause 0x4
	s_load_dword s0, s[4:5], 0x0
	s_load_dwordx2 s[24:25], s[4:5], 0x20
	s_load_dwordx2 s[26:27], s[4:5], 0x30
	;; [unrolled: 1-line block ×4, first 2 shown]
	v_mul_lo_u32 v15, v43, s16
	v_mul_lo_u32 v27, v46, s16
	v_mad_u64_u32 v[9:10], null, s58, v13, 0
	v_mov_b32_e32 v28, 0
	v_mad_u64_u32 v[7:8], null, s64, v43, v[1:2]
	v_or_b32_e32 v47, 32, v46
	v_or_b32_e32 v48, 64, v46
	v_or_b32_e32 v49, 0x60, v46
	v_or_b32_e32 v50, 0x80, v46
	v_or_b32_e32 v51, 0xa0, v46
	v_or_b32_e32 v52, 0xc0, v46
	v_mov_b32_e32 v1, v7
	v_mad_u64_u32 v[7:8], null, s64, v4, v[3:4]
	v_mad_u64_u32 v[3:4], null, s58, v5, 0
	s_waitcnt lgkmcnt(0)
	s_cmp_eq_u32 s0, 0
	v_or_b32_e32 v53, 0xe0, v46
	s_cselect_b32 s0, -1, 0
	s_lshl_b32 s86, s16, 5
	v_mov_b32_e32 v54, v7
	v_add_nc_u32_e32 v29, s86, v27
	v_mad_u64_u32 v[7:8], null, s64, v5, v[4:5]
	v_mad_u64_u32 v[4:5], null, s58, v6, 0
	v_add_nc_u32_e32 v17, s86, v15
	v_add_nc_u32_e32 v31, s86, v29
	v_mov_b32_e32 v30, v28
	v_mov_b32_e32 v32, v28
	;; [unrolled: 1-line block ×3, first 2 shown]
	v_mad_u64_u32 v[7:8], null, s58, v12, 0
	v_mad_u64_u32 v[21:22], null, s64, v6, v[5:6]
	;; [unrolled: 1-line block ×3, first 2 shown]
	v_add_nc_u32_e32 v19, s86, v17
	v_add_nc_u32_e32 v33, s86, v31
	v_mov_b32_e32 v34, v28
	v_mov_b32_e32 v36, v28
	;; [unrolled: 1-line block ×3, first 2 shown]
	v_add_nc_u32_e32 v21, s86, v19
	v_mad_u64_u32 v[23:24], null, s64, v11, v[6:7]
	v_mov_b32_e32 v6, v10
	v_add_nc_u32_e32 v35, s86, v33
	v_mad_u64_u32 v[24:25], null, s64, v12, v[8:9]
	v_mad_u64_u32 v[10:11], null, s58, v14, 0
	;; [unrolled: 1-line block ×3, first 2 shown]
	v_mov_b32_e32 v6, v23
	v_add_nc_u32_e32 v23, s86, v21
	v_add_nc_u32_e32 v37, s86, v35
	v_mov_b32_e32 v38, v28
	v_mov_b32_e32 v40, v28
	;; [unrolled: 1-line block ×3, first 2 shown]
	v_add_nc_u32_e32 v25, s86, v23
	v_add_nc_u32_e32 v39, s86, v37
	v_mov_b32_e32 v57, v12
	v_mad_u64_u32 v[11:12], null, s64, v14, v[11:12]
	v_add_nc_u32_e32 v44, s86, v25
	v_mov_b32_e32 v16, v28
	v_add_nc_u32_e32 v41, s86, v39
	v_mov_b32_e32 v18, v28
	v_mov_b32_e32 v20, v28
	;; [unrolled: 1-line block ×7, first 2 shown]
	v_add_nc_u32_e32 v59, s86, v44
	v_mov_b32_e32 v60, v28
	v_cmp_gt_i32_e32 vcc_lo, s16, v46
	v_cmp_gt_i32_e64 s11, s16, v47
	v_cmp_gt_i32_e64 s12, s16, v48
	;; [unrolled: 1-line block ×7, first 2 shown]
	v_mov_b32_e32 v58, v11
	v_lshlrev_b64 v[11:12], 3, v[15:16]
	v_lshlrev_b64 v[13:14], 3, v[17:18]
	;; [unrolled: 1-line block ×16, first 2 shown]
	v_lshlrev_b32_e32 v59, 3, v43
	s_and_b32 s35, s2, vcc_lo
	s_and_b32 s36, s2, s11
	s_and_b32 s37, s2, s12
	s_and_b32 s38, s2, s13
	s_and_b32 s39, s2, s14
	s_and_b32 s40, s2, s15
	s_and_b32 s41, s2, s4
	s_and_b32 s42, s2, s5
	s_and_b32 s43, s8, vcc_lo
	s_and_b32 s44, s8, s11
	s_and_b32 s45, s8, s12
	s_and_b32 s46, s8, s13
	s_and_b32 s47, s8, s14
	s_and_b32 s48, s8, s15
	s_and_b32 s49, s8, s4
	s_and_b32 s8, s8, s5
	;; [unrolled: 8-line block ×8, first 2 shown]
	s_mov_b64 s[2:3], s[18:19]
	s_branch .LBB77_21
.LBB77_20:                              ;   in Loop: Header=BB77_21 Depth=1
	s_or_b32 exec_lo, exec_lo, s9
	s_add_u32 s2, s2, 1
	s_addc_u32 s3, s3, 0
	v_cmp_ge_i64_e64 s9, s[2:3], s[20:21]
	s_and_b32 vcc_lo, exec_lo, s9
	s_cbranch_vccnz .LBB77_149
.LBB77_21:                              ; =>This Inner Loop Header: Depth=1
	s_lshl_b64 s[88:89], s[2:3], 2
	s_mul_hi_u32 s90, s2, s34
	s_add_u32 s88, s24, s88
	s_addc_u32 s89, s25, s89
	v_lshlrev_b32_e32 v62, 3, v46
	s_load_dword s9, s[88:89], 0x0
	s_mul_i32 s89, s3, s34
	s_mul_i32 s88, s2, s34
	s_waitcnt lgkmcnt(0)
	s_sub_i32 s91, s9, s33
	s_sub_u32 s9, s2, s18
	s_subb_u32 s87, s3, s19
	v_add_co_u32 v43, vcc_lo, v0, s9
	s_add_i32 s89, s90, s89
	v_add_co_ci_u32_e64 v45, null, s87, v1, vcc_lo
	v_mad_u64_u32 v[43:44], null, v43, s16, s[22:23]
	s_mul_i32 s90, s91, s16
	s_lshl_b64 s[88:89], s[88:89], 3
	s_add_i32 s90, s90, s17
	s_add_u32 s88, s28, s88
	s_addc_u32 s89, s29, s89
	v_add_co_u32 v60, s91, s88, v59
	v_mad_u64_u32 v[44:45], null, v45, s16, v[44:45]
	v_add_co_u32 v45, vcc_lo, s88, v11
	v_add_nc_u32_e32 v68, s90, v46
	v_add_co_ci_u32_e64 v61, null, s89, 0, s91
	v_add_co_ci_u32_e64 v71, null, s89, v12, vcc_lo
	s_and_saveexec_b32 s91, s35
	s_cbranch_execnz .LBB77_92
; %bb.22:                               ;   in Loop: Header=BB77_21 Depth=1
	s_or_b32 exec_lo, exec_lo, s91
	v_add_nc_u32_e32 v70, s90, v47
	s_and_saveexec_b32 s91, s36
	s_cbranch_execnz .LBB77_93
.LBB77_23:                              ;   in Loop: Header=BB77_21 Depth=1
	s_or_b32 exec_lo, exec_lo, s91
	v_add_nc_u32_e32 v69, s90, v48
	s_and_saveexec_b32 s91, s37
	s_cbranch_execnz .LBB77_94
.LBB77_24:                              ;   in Loop: Header=BB77_21 Depth=1
	s_or_b32 exec_lo, exec_lo, s91
	v_add_nc_u32_e32 v67, s90, v49
	s_and_saveexec_b32 s91, s38
	s_cbranch_execnz .LBB77_95
.LBB77_25:                              ;   in Loop: Header=BB77_21 Depth=1
	s_or_b32 exec_lo, exec_lo, s91
	v_add_nc_u32_e32 v66, s90, v50
	s_and_saveexec_b32 s91, s39
	s_cbranch_execnz .LBB77_96
.LBB77_26:                              ;   in Loop: Header=BB77_21 Depth=1
	s_or_b32 exec_lo, exec_lo, s91
	v_add_nc_u32_e32 v64, s90, v51
	s_and_saveexec_b32 s91, s40
	s_cbranch_execnz .LBB77_97
.LBB77_27:                              ;   in Loop: Header=BB77_21 Depth=1
	s_or_b32 exec_lo, exec_lo, s91
	v_add_nc_u32_e32 v63, s90, v52
	s_and_saveexec_b32 s91, s41
	s_cbranch_execnz .LBB77_98
.LBB77_28:                              ;   in Loop: Header=BB77_21 Depth=1
	s_or_b32 exec_lo, exec_lo, s91
	v_add_nc_u32_e32 v65, s90, v53
	s_and_saveexec_b32 s90, s42
	s_cbranch_execz .LBB77_30
.LBB77_29:                              ;   in Loop: Header=BB77_21 Depth=1
	v_add_co_u32 v45, vcc_lo, v45, v62
	v_add_co_ci_u32_e64 v71, null, 0, v71, vcc_lo
	v_add_co_u32 v45, vcc_lo, 0x700, v45
	v_add_co_ci_u32_e64 v71, null, 0, v71, vcc_lo
	;; [unrolled: 2-line block ×4, first 2 shown]
	v_cndmask_b32_e64 v72, v72, v71, s0
	v_cndmask_b32_e64 v71, v73, v45, s0
	v_lshlrev_b64 v[73:74], 2, v[43:44]
	v_lshlrev_b64 v[43:44], 3, v[43:44]
	global_load_dwordx2 v[71:72], v[71:72], off
	v_add_co_u32 v73, vcc_lo, s30, v73
	v_add_co_ci_u32_e64 v74, null, s31, v74, vcc_lo
	v_add_co_u32 v43, vcc_lo, s26, v43
	v_add_co_ci_u32_e64 v44, null, s27, v44, vcc_lo
	global_store_dword v[73:74], v65, off offset:896
	s_waitcnt vmcnt(0)
	global_store_dwordx2 v[43:44], v[71:72], off offset:1792
.LBB77_30:                              ;   in Loop: Header=BB77_21 Depth=1
	s_or_b32 exec_lo, exec_lo, s90
	v_add_co_u32 v43, vcc_lo, v2, s9
	v_add_co_ci_u32_e64 v45, null, s87, v54, vcc_lo
	v_mad_u64_u32 v[43:44], null, v43, s16, s[22:23]
	v_mad_u64_u32 v[44:45], null, v45, s16, v[44:45]
	v_add_co_u32 v45, vcc_lo, s88, v13
	v_add_co_ci_u32_e64 v71, null, s89, v14, vcc_lo
	s_and_saveexec_b32 s90, s43
	s_cbranch_execnz .LBB77_99
; %bb.31:                               ;   in Loop: Header=BB77_21 Depth=1
	s_or_b32 exec_lo, exec_lo, s90
	s_and_saveexec_b32 s90, s44
	s_cbranch_execnz .LBB77_100
.LBB77_32:                              ;   in Loop: Header=BB77_21 Depth=1
	s_or_b32 exec_lo, exec_lo, s90
	s_and_saveexec_b32 s90, s45
	s_cbranch_execnz .LBB77_101
.LBB77_33:                              ;   in Loop: Header=BB77_21 Depth=1
	s_or_b32 exec_lo, exec_lo, s90
	s_and_saveexec_b32 s90, s46
	s_cbranch_execnz .LBB77_102
.LBB77_34:                              ;   in Loop: Header=BB77_21 Depth=1
	s_or_b32 exec_lo, exec_lo, s90
	s_and_saveexec_b32 s90, s47
	s_cbranch_execnz .LBB77_103
.LBB77_35:                              ;   in Loop: Header=BB77_21 Depth=1
	s_or_b32 exec_lo, exec_lo, s90
	s_and_saveexec_b32 s90, s48
	s_cbranch_execnz .LBB77_104
.LBB77_36:                              ;   in Loop: Header=BB77_21 Depth=1
	s_or_b32 exec_lo, exec_lo, s90
	s_and_saveexec_b32 s90, s49
	s_cbranch_execnz .LBB77_105
.LBB77_37:                              ;   in Loop: Header=BB77_21 Depth=1
	s_or_b32 exec_lo, exec_lo, s90
	s_and_saveexec_b32 s90, s8
	s_cbranch_execz .LBB77_39
.LBB77_38:                              ;   in Loop: Header=BB77_21 Depth=1
	v_add_co_u32 v45, vcc_lo, v45, v62
	v_add_co_ci_u32_e64 v71, null, 0, v71, vcc_lo
	v_add_co_u32 v72, vcc_lo, v60, v41
	v_add_co_ci_u32_e64 v73, null, v61, v42, vcc_lo
	;; [unrolled: 2-line block ×5, first 2 shown]
	v_cndmask_b32_e64 v72, v72, v71, s0
	v_cndmask_b32_e64 v71, v74, v45, s0
	v_lshlrev_b64 v[73:74], 2, v[43:44]
	v_lshlrev_b64 v[43:44], 3, v[43:44]
	global_load_dwordx2 v[71:72], v[71:72], off
	v_add_co_u32 v73, vcc_lo, s30, v73
	v_add_co_ci_u32_e64 v74, null, s31, v74, vcc_lo
	v_add_co_u32 v43, vcc_lo, s26, v43
	v_add_co_ci_u32_e64 v44, null, s27, v44, vcc_lo
	global_store_dword v[73:74], v65, off offset:896
	s_waitcnt vmcnt(0)
	global_store_dwordx2 v[43:44], v[71:72], off offset:1792
.LBB77_39:                              ;   in Loop: Header=BB77_21 Depth=1
	s_or_b32 exec_lo, exec_lo, s90
	v_add_co_u32 v43, vcc_lo, v3, s9
	v_add_co_ci_u32_e64 v45, null, s87, v55, vcc_lo
	v_mad_u64_u32 v[43:44], null, v43, s16, s[22:23]
	v_mad_u64_u32 v[44:45], null, v45, s16, v[44:45]
	v_add_co_u32 v45, vcc_lo, s88, v15
	v_add_co_ci_u32_e64 v71, null, s89, v16, vcc_lo
	s_and_saveexec_b32 s90, s50
	s_cbranch_execnz .LBB77_106
; %bb.40:                               ;   in Loop: Header=BB77_21 Depth=1
	s_or_b32 exec_lo, exec_lo, s90
	s_and_saveexec_b32 s90, s51
	s_cbranch_execnz .LBB77_107
.LBB77_41:                              ;   in Loop: Header=BB77_21 Depth=1
	s_or_b32 exec_lo, exec_lo, s90
	s_and_saveexec_b32 s90, s52
	s_cbranch_execnz .LBB77_108
.LBB77_42:                              ;   in Loop: Header=BB77_21 Depth=1
	s_or_b32 exec_lo, exec_lo, s90
	s_and_saveexec_b32 s90, s53
	s_cbranch_execnz .LBB77_109
.LBB77_43:                              ;   in Loop: Header=BB77_21 Depth=1
	s_or_b32 exec_lo, exec_lo, s90
	s_and_saveexec_b32 s90, s54
	s_cbranch_execnz .LBB77_110
.LBB77_44:                              ;   in Loop: Header=BB77_21 Depth=1
	s_or_b32 exec_lo, exec_lo, s90
	s_and_saveexec_b32 s90, s55
	s_cbranch_execnz .LBB77_111
.LBB77_45:                              ;   in Loop: Header=BB77_21 Depth=1
	s_or_b32 exec_lo, exec_lo, s90
	s_and_saveexec_b32 s90, s56
	s_cbranch_execnz .LBB77_112
.LBB77_46:                              ;   in Loop: Header=BB77_21 Depth=1
	s_or_b32 exec_lo, exec_lo, s90
	s_and_saveexec_b32 s90, s6
	s_cbranch_execz .LBB77_48
.LBB77_47:                              ;   in Loop: Header=BB77_21 Depth=1
	v_add_co_u32 v45, vcc_lo, v45, v62
	v_add_co_ci_u32_e64 v71, null, 0, v71, vcc_lo
	v_add_co_u32 v72, vcc_lo, v60, v41
	v_add_co_ci_u32_e64 v73, null, v61, v42, vcc_lo
	;; [unrolled: 2-line block ×5, first 2 shown]
	v_cndmask_b32_e64 v72, v72, v71, s0
	v_cndmask_b32_e64 v71, v74, v45, s0
	v_lshlrev_b64 v[73:74], 2, v[43:44]
	v_lshlrev_b64 v[43:44], 3, v[43:44]
	global_load_dwordx2 v[71:72], v[71:72], off
	v_add_co_u32 v73, vcc_lo, s30, v73
	v_add_co_ci_u32_e64 v74, null, s31, v74, vcc_lo
	v_add_co_u32 v43, vcc_lo, s26, v43
	v_add_co_ci_u32_e64 v44, null, s27, v44, vcc_lo
	global_store_dword v[73:74], v65, off offset:896
	s_waitcnt vmcnt(0)
	global_store_dwordx2 v[43:44], v[71:72], off offset:1792
.LBB77_48:                              ;   in Loop: Header=BB77_21 Depth=1
	s_or_b32 exec_lo, exec_lo, s90
	v_add_co_u32 v43, vcc_lo, v4, s9
	v_add_co_ci_u32_e64 v45, null, s87, v56, vcc_lo
	v_mad_u64_u32 v[43:44], null, v43, s16, s[22:23]
	v_mad_u64_u32 v[44:45], null, v45, s16, v[44:45]
	v_add_co_u32 v45, vcc_lo, s88, v17
	v_add_co_ci_u32_e64 v71, null, s89, v18, vcc_lo
	s_and_saveexec_b32 s90, s57
	s_cbranch_execnz .LBB77_113
; %bb.49:                               ;   in Loop: Header=BB77_21 Depth=1
	s_or_b32 exec_lo, exec_lo, s90
	s_and_saveexec_b32 s90, s58
	s_cbranch_execnz .LBB77_114
.LBB77_50:                              ;   in Loop: Header=BB77_21 Depth=1
	s_or_b32 exec_lo, exec_lo, s90
	s_and_saveexec_b32 s90, s59
	s_cbranch_execnz .LBB77_115
.LBB77_51:                              ;   in Loop: Header=BB77_21 Depth=1
	s_or_b32 exec_lo, exec_lo, s90
	s_and_saveexec_b32 s90, s60
	s_cbranch_execnz .LBB77_116
.LBB77_52:                              ;   in Loop: Header=BB77_21 Depth=1
	s_or_b32 exec_lo, exec_lo, s90
	s_and_saveexec_b32 s90, s61
	s_cbranch_execnz .LBB77_117
.LBB77_53:                              ;   in Loop: Header=BB77_21 Depth=1
	s_or_b32 exec_lo, exec_lo, s90
	s_and_saveexec_b32 s90, s62
	s_cbranch_execnz .LBB77_118
.LBB77_54:                              ;   in Loop: Header=BB77_21 Depth=1
	s_or_b32 exec_lo, exec_lo, s90
	s_and_saveexec_b32 s90, s63
	s_cbranch_execnz .LBB77_119
.LBB77_55:                              ;   in Loop: Header=BB77_21 Depth=1
	s_or_b32 exec_lo, exec_lo, s90
	s_and_saveexec_b32 s90, s1
	s_cbranch_execz .LBB77_57
.LBB77_56:                              ;   in Loop: Header=BB77_21 Depth=1
	v_add_co_u32 v45, vcc_lo, v45, v62
	v_add_co_ci_u32_e64 v71, null, 0, v71, vcc_lo
	v_add_co_u32 v72, vcc_lo, v60, v41
	v_add_co_ci_u32_e64 v73, null, v61, v42, vcc_lo
	;; [unrolled: 2-line block ×5, first 2 shown]
	v_cndmask_b32_e64 v72, v72, v71, s0
	v_cndmask_b32_e64 v71, v74, v45, s0
	v_lshlrev_b64 v[73:74], 2, v[43:44]
	v_lshlrev_b64 v[43:44], 3, v[43:44]
	global_load_dwordx2 v[71:72], v[71:72], off
	v_add_co_u32 v73, vcc_lo, s30, v73
	v_add_co_ci_u32_e64 v74, null, s31, v74, vcc_lo
	v_add_co_u32 v43, vcc_lo, s26, v43
	v_add_co_ci_u32_e64 v44, null, s27, v44, vcc_lo
	global_store_dword v[73:74], v65, off offset:896
	s_waitcnt vmcnt(0)
	global_store_dwordx2 v[43:44], v[71:72], off offset:1792
.LBB77_57:                              ;   in Loop: Header=BB77_21 Depth=1
	s_or_b32 exec_lo, exec_lo, s90
	v_add_co_u32 v43, vcc_lo, v5, s9
	v_add_co_ci_u32_e64 v45, null, s87, v6, vcc_lo
	v_mad_u64_u32 v[43:44], null, v43, s16, s[22:23]
	v_mad_u64_u32 v[44:45], null, v45, s16, v[44:45]
	v_add_co_u32 v45, vcc_lo, s88, v19
	v_add_co_ci_u32_e64 v71, null, s89, v20, vcc_lo
	s_and_saveexec_b32 s90, s64
	s_cbranch_execnz .LBB77_120
; %bb.58:                               ;   in Loop: Header=BB77_21 Depth=1
	s_or_b32 exec_lo, exec_lo, s90
	s_and_saveexec_b32 s90, s65
	s_cbranch_execnz .LBB77_121
.LBB77_59:                              ;   in Loop: Header=BB77_21 Depth=1
	s_or_b32 exec_lo, exec_lo, s90
	s_and_saveexec_b32 s90, s66
	s_cbranch_execnz .LBB77_122
.LBB77_60:                              ;   in Loop: Header=BB77_21 Depth=1
	s_or_b32 exec_lo, exec_lo, s90
	s_and_saveexec_b32 s90, s67
	s_cbranch_execnz .LBB77_123
.LBB77_61:                              ;   in Loop: Header=BB77_21 Depth=1
	s_or_b32 exec_lo, exec_lo, s90
	s_and_saveexec_b32 s90, s68
	s_cbranch_execnz .LBB77_124
.LBB77_62:                              ;   in Loop: Header=BB77_21 Depth=1
	s_or_b32 exec_lo, exec_lo, s90
	s_and_saveexec_b32 s90, s69
	s_cbranch_execnz .LBB77_125
.LBB77_63:                              ;   in Loop: Header=BB77_21 Depth=1
	s_or_b32 exec_lo, exec_lo, s90
	s_and_saveexec_b32 s90, s70
	s_cbranch_execnz .LBB77_126
.LBB77_64:                              ;   in Loop: Header=BB77_21 Depth=1
	s_or_b32 exec_lo, exec_lo, s90
	s_and_saveexec_b32 s90, s71
	s_cbranch_execz .LBB77_66
.LBB77_65:                              ;   in Loop: Header=BB77_21 Depth=1
	v_add_co_u32 v45, vcc_lo, v45, v62
	v_add_co_ci_u32_e64 v71, null, 0, v71, vcc_lo
	v_add_co_u32 v72, vcc_lo, v60, v41
	v_add_co_ci_u32_e64 v73, null, v61, v42, vcc_lo
	;; [unrolled: 2-line block ×5, first 2 shown]
	v_cndmask_b32_e64 v72, v72, v71, s0
	v_cndmask_b32_e64 v71, v74, v45, s0
	v_lshlrev_b64 v[73:74], 2, v[43:44]
	v_lshlrev_b64 v[43:44], 3, v[43:44]
	global_load_dwordx2 v[71:72], v[71:72], off
	v_add_co_u32 v73, vcc_lo, s30, v73
	v_add_co_ci_u32_e64 v74, null, s31, v74, vcc_lo
	v_add_co_u32 v43, vcc_lo, s26, v43
	v_add_co_ci_u32_e64 v44, null, s27, v44, vcc_lo
	global_store_dword v[73:74], v65, off offset:896
	s_waitcnt vmcnt(0)
	global_store_dwordx2 v[43:44], v[71:72], off offset:1792
.LBB77_66:                              ;   in Loop: Header=BB77_21 Depth=1
	s_or_b32 exec_lo, exec_lo, s90
	v_add_co_u32 v43, vcc_lo, v7, s9
	v_add_co_ci_u32_e64 v45, null, s87, v8, vcc_lo
	v_mad_u64_u32 v[43:44], null, v43, s16, s[22:23]
	v_mad_u64_u32 v[44:45], null, v45, s16, v[44:45]
	v_add_co_u32 v45, vcc_lo, s88, v21
	v_add_co_ci_u32_e64 v71, null, s89, v22, vcc_lo
	s_and_saveexec_b32 s90, s72
	s_cbranch_execnz .LBB77_127
; %bb.67:                               ;   in Loop: Header=BB77_21 Depth=1
	s_or_b32 exec_lo, exec_lo, s90
	s_and_saveexec_b32 s90, s73
	s_cbranch_execnz .LBB77_128
.LBB77_68:                              ;   in Loop: Header=BB77_21 Depth=1
	s_or_b32 exec_lo, exec_lo, s90
	s_and_saveexec_b32 s90, s74
	s_cbranch_execnz .LBB77_129
.LBB77_69:                              ;   in Loop: Header=BB77_21 Depth=1
	s_or_b32 exec_lo, exec_lo, s90
	s_and_saveexec_b32 s90, s75
	s_cbranch_execnz .LBB77_130
.LBB77_70:                              ;   in Loop: Header=BB77_21 Depth=1
	s_or_b32 exec_lo, exec_lo, s90
	s_and_saveexec_b32 s90, s76
	s_cbranch_execnz .LBB77_131
.LBB77_71:                              ;   in Loop: Header=BB77_21 Depth=1
	s_or_b32 exec_lo, exec_lo, s90
	s_and_saveexec_b32 s90, s77
	s_cbranch_execnz .LBB77_132
.LBB77_72:                              ;   in Loop: Header=BB77_21 Depth=1
	s_or_b32 exec_lo, exec_lo, s90
	s_and_saveexec_b32 s90, s78
	s_cbranch_execnz .LBB77_133
.LBB77_73:                              ;   in Loop: Header=BB77_21 Depth=1
	s_or_b32 exec_lo, exec_lo, s90
	s_and_saveexec_b32 s90, s7
	s_cbranch_execz .LBB77_75
.LBB77_74:                              ;   in Loop: Header=BB77_21 Depth=1
	v_add_co_u32 v45, vcc_lo, v45, v62
	v_add_co_ci_u32_e64 v71, null, 0, v71, vcc_lo
	v_add_co_u32 v72, vcc_lo, v60, v41
	v_add_co_ci_u32_e64 v73, null, v61, v42, vcc_lo
	;; [unrolled: 2-line block ×5, first 2 shown]
	v_cndmask_b32_e64 v72, v72, v71, s0
	v_cndmask_b32_e64 v71, v74, v45, s0
	v_lshlrev_b64 v[73:74], 2, v[43:44]
	v_lshlrev_b64 v[43:44], 3, v[43:44]
	global_load_dwordx2 v[71:72], v[71:72], off
	v_add_co_u32 v73, vcc_lo, s30, v73
	v_add_co_ci_u32_e64 v74, null, s31, v74, vcc_lo
	v_add_co_u32 v43, vcc_lo, s26, v43
	v_add_co_ci_u32_e64 v44, null, s27, v44, vcc_lo
	global_store_dword v[73:74], v65, off offset:896
	s_waitcnt vmcnt(0)
	global_store_dwordx2 v[43:44], v[71:72], off offset:1792
.LBB77_75:                              ;   in Loop: Header=BB77_21 Depth=1
	s_or_b32 exec_lo, exec_lo, s90
	v_add_co_u32 v43, vcc_lo, v9, s9
	v_add_co_ci_u32_e64 v45, null, s87, v57, vcc_lo
	v_mad_u64_u32 v[43:44], null, v43, s16, s[22:23]
	v_mad_u64_u32 v[44:45], null, v45, s16, v[44:45]
	v_add_co_u32 v45, vcc_lo, s88, v23
	v_add_co_ci_u32_e64 v71, null, s89, v24, vcc_lo
	s_and_saveexec_b32 s90, s79
	s_cbranch_execnz .LBB77_134
; %bb.76:                               ;   in Loop: Header=BB77_21 Depth=1
	s_or_b32 exec_lo, exec_lo, s90
	s_and_saveexec_b32 s90, s80
	s_cbranch_execnz .LBB77_135
.LBB77_77:                              ;   in Loop: Header=BB77_21 Depth=1
	s_or_b32 exec_lo, exec_lo, s90
	s_and_saveexec_b32 s90, s81
	s_cbranch_execnz .LBB77_136
.LBB77_78:                              ;   in Loop: Header=BB77_21 Depth=1
	s_or_b32 exec_lo, exec_lo, s90
	s_and_saveexec_b32 s90, s82
	s_cbranch_execnz .LBB77_137
.LBB77_79:                              ;   in Loop: Header=BB77_21 Depth=1
	s_or_b32 exec_lo, exec_lo, s90
	s_and_saveexec_b32 s90, s83
	s_cbranch_execnz .LBB77_138
.LBB77_80:                              ;   in Loop: Header=BB77_21 Depth=1
	s_or_b32 exec_lo, exec_lo, s90
	s_and_saveexec_b32 s90, s84
	s_cbranch_execnz .LBB77_139
.LBB77_81:                              ;   in Loop: Header=BB77_21 Depth=1
	s_or_b32 exec_lo, exec_lo, s90
	s_and_saveexec_b32 s90, s85
	s_cbranch_execnz .LBB77_140
.LBB77_82:                              ;   in Loop: Header=BB77_21 Depth=1
	s_or_b32 exec_lo, exec_lo, s90
	s_and_saveexec_b32 s90, s10
	s_cbranch_execz .LBB77_84
.LBB77_83:                              ;   in Loop: Header=BB77_21 Depth=1
	v_add_co_u32 v45, vcc_lo, v45, v62
	v_add_co_ci_u32_e64 v71, null, 0, v71, vcc_lo
	v_add_co_u32 v72, vcc_lo, v60, v41
	v_add_co_ci_u32_e64 v73, null, v61, v42, vcc_lo
	v_add_co_u32 v45, vcc_lo, 0x700, v45
	v_add_co_ci_u32_e64 v71, null, 0, v71, vcc_lo
	v_add_co_u32 v74, vcc_lo, 0x600, v72
	v_add_co_ci_u32_e64 v72, null, 0, v73, vcc_lo
	v_add_co_u32 v43, vcc_lo, v43, v46
	v_add_co_ci_u32_e64 v44, null, 0, v44, vcc_lo
	v_cndmask_b32_e64 v72, v72, v71, s0
	v_cndmask_b32_e64 v71, v74, v45, s0
	v_lshlrev_b64 v[73:74], 2, v[43:44]
	v_lshlrev_b64 v[43:44], 3, v[43:44]
	global_load_dwordx2 v[71:72], v[71:72], off
	v_add_co_u32 v73, vcc_lo, s30, v73
	v_add_co_ci_u32_e64 v74, null, s31, v74, vcc_lo
	v_add_co_u32 v43, vcc_lo, s26, v43
	v_add_co_ci_u32_e64 v44, null, s27, v44, vcc_lo
	global_store_dword v[73:74], v65, off offset:896
	s_waitcnt vmcnt(0)
	global_store_dwordx2 v[43:44], v[71:72], off offset:1792
.LBB77_84:                              ;   in Loop: Header=BB77_21 Depth=1
	s_or_b32 exec_lo, exec_lo, s90
	v_add_co_u32 v43, vcc_lo, v10, s9
	v_add_co_ci_u32_e64 v45, null, s87, v58, vcc_lo
	v_mad_u64_u32 v[43:44], null, v43, s16, s[22:23]
	v_mad_u64_u32 v[44:45], null, v45, s16, v[44:45]
	v_add_co_u32 v45, vcc_lo, s88, v25
	v_add_co_ci_u32_e64 v71, null, s89, v26, vcc_lo
	s_and_saveexec_b32 s9, s86
	s_cbranch_execnz .LBB77_141
; %bb.85:                               ;   in Loop: Header=BB77_21 Depth=1
	s_or_b32 exec_lo, exec_lo, s9
	s_and_saveexec_b32 s9, s11
	s_cbranch_execnz .LBB77_142
.LBB77_86:                              ;   in Loop: Header=BB77_21 Depth=1
	s_or_b32 exec_lo, exec_lo, s9
	s_and_saveexec_b32 s9, s12
	s_cbranch_execnz .LBB77_143
.LBB77_87:                              ;   in Loop: Header=BB77_21 Depth=1
	s_or_b32 exec_lo, exec_lo, s9
	s_and_saveexec_b32 s9, s13
	s_cbranch_execnz .LBB77_144
.LBB77_88:                              ;   in Loop: Header=BB77_21 Depth=1
	s_or_b32 exec_lo, exec_lo, s9
	s_and_saveexec_b32 s9, s14
	s_cbranch_execnz .LBB77_145
.LBB77_89:                              ;   in Loop: Header=BB77_21 Depth=1
	s_or_b32 exec_lo, exec_lo, s9
	s_and_saveexec_b32 s9, s15
	s_cbranch_execnz .LBB77_146
.LBB77_90:                              ;   in Loop: Header=BB77_21 Depth=1
	s_or_b32 exec_lo, exec_lo, s9
	s_and_saveexec_b32 s9, s4
	s_cbranch_execnz .LBB77_147
.LBB77_91:                              ;   in Loop: Header=BB77_21 Depth=1
	s_or_b32 exec_lo, exec_lo, s9
	s_and_saveexec_b32 s9, s5
	s_cbranch_execz .LBB77_20
	s_branch .LBB77_148
.LBB77_92:                              ;   in Loop: Header=BB77_21 Depth=1
	v_add_co_u32 v63, vcc_lo, v45, v62
	v_add_co_ci_u32_e64 v64, null, 0, v71, vcc_lo
	v_add_co_u32 v65, vcc_lo, v60, v27
	v_add_co_ci_u32_e64 v66, null, v61, v28, vcc_lo
	v_cndmask_b32_e64 v63, v65, v63, s0
	v_add_co_u32 v65, vcc_lo, v43, v46
	v_cndmask_b32_e64 v64, v66, v64, s0
	v_add_co_ci_u32_e64 v66, null, 0, v44, vcc_lo
	global_load_dwordx2 v[63:64], v[63:64], off
	v_lshlrev_b64 v[69:70], 2, v[65:66]
	v_lshlrev_b64 v[65:66], 3, v[65:66]
	v_add_co_u32 v69, vcc_lo, s30, v69
	v_add_co_ci_u32_e64 v70, null, s31, v70, vcc_lo
	v_add_co_u32 v65, vcc_lo, s26, v65
	v_add_co_ci_u32_e64 v66, null, s27, v66, vcc_lo
	global_store_dword v[69:70], v68, off
	s_waitcnt vmcnt(0)
	global_store_dwordx2 v[65:66], v[63:64], off
	s_or_b32 exec_lo, exec_lo, s91
	v_add_nc_u32_e32 v70, s90, v47
	s_and_saveexec_b32 s91, s36
	s_cbranch_execz .LBB77_23
.LBB77_93:                              ;   in Loop: Header=BB77_21 Depth=1
	v_add_co_u32 v63, vcc_lo, v45, v62
	v_add_co_ci_u32_e64 v64, null, 0, v71, vcc_lo
	v_add_co_u32 v63, vcc_lo, 0x100, v63
	v_add_co_ci_u32_e64 v64, null, 0, v64, vcc_lo
	;; [unrolled: 2-line block ×3, first 2 shown]
	v_cndmask_b32_e64 v63, v65, v63, s0
	v_add_co_u32 v65, vcc_lo, v43, v46
	v_cndmask_b32_e64 v64, v66, v64, s0
	v_add_co_ci_u32_e64 v66, null, 0, v44, vcc_lo
	global_load_dwordx2 v[63:64], v[63:64], off
	v_lshlrev_b64 v[72:73], 2, v[65:66]
	v_lshlrev_b64 v[65:66], 3, v[65:66]
	v_add_co_u32 v72, vcc_lo, s30, v72
	v_add_co_ci_u32_e64 v73, null, s31, v73, vcc_lo
	v_add_co_u32 v65, vcc_lo, s26, v65
	v_add_co_ci_u32_e64 v66, null, s27, v66, vcc_lo
	global_store_dword v[72:73], v70, off offset:128
	s_waitcnt vmcnt(0)
	global_store_dwordx2 v[65:66], v[63:64], off offset:256
	s_or_b32 exec_lo, exec_lo, s91
	v_add_nc_u32_e32 v69, s90, v48
	s_and_saveexec_b32 s91, s37
	s_cbranch_execz .LBB77_24
.LBB77_94:                              ;   in Loop: Header=BB77_21 Depth=1
	v_add_co_u32 v63, vcc_lo, v45, v62
	v_add_co_ci_u32_e64 v64, null, 0, v71, vcc_lo
	v_add_co_u32 v63, vcc_lo, 0x200, v63
	v_add_co_ci_u32_e64 v64, null, 0, v64, vcc_lo
	;; [unrolled: 2-line block ×3, first 2 shown]
	v_cndmask_b32_e64 v63, v65, v63, s0
	v_add_co_u32 v65, vcc_lo, v43, v46
	v_cndmask_b32_e64 v64, v66, v64, s0
	v_add_co_ci_u32_e64 v66, null, 0, v44, vcc_lo
	global_load_dwordx2 v[63:64], v[63:64], off
	v_lshlrev_b64 v[72:73], 2, v[65:66]
	v_lshlrev_b64 v[65:66], 3, v[65:66]
	v_add_co_u32 v72, vcc_lo, s30, v72
	v_add_co_ci_u32_e64 v73, null, s31, v73, vcc_lo
	v_add_co_u32 v65, vcc_lo, s26, v65
	v_add_co_ci_u32_e64 v66, null, s27, v66, vcc_lo
	global_store_dword v[72:73], v69, off offset:256
	s_waitcnt vmcnt(0)
	global_store_dwordx2 v[65:66], v[63:64], off offset:512
	s_or_b32 exec_lo, exec_lo, s91
	v_add_nc_u32_e32 v67, s90, v49
	s_and_saveexec_b32 s91, s38
	s_cbranch_execz .LBB77_25
.LBB77_95:                              ;   in Loop: Header=BB77_21 Depth=1
	v_add_co_u32 v63, vcc_lo, v45, v62
	v_add_co_ci_u32_e64 v64, null, 0, v71, vcc_lo
	v_add_co_u32 v63, vcc_lo, 0x300, v63
	v_add_co_ci_u32_e64 v64, null, 0, v64, vcc_lo
	;; [unrolled: 2-line block ×3, first 2 shown]
	v_cndmask_b32_e64 v63, v65, v63, s0
	v_add_co_u32 v65, vcc_lo, v43, v46
	v_cndmask_b32_e64 v64, v66, v64, s0
	v_add_co_ci_u32_e64 v66, null, 0, v44, vcc_lo
	global_load_dwordx2 v[63:64], v[63:64], off
	v_lshlrev_b64 v[72:73], 2, v[65:66]
	v_lshlrev_b64 v[65:66], 3, v[65:66]
	v_add_co_u32 v72, vcc_lo, s30, v72
	v_add_co_ci_u32_e64 v73, null, s31, v73, vcc_lo
	v_add_co_u32 v65, vcc_lo, s26, v65
	v_add_co_ci_u32_e64 v66, null, s27, v66, vcc_lo
	global_store_dword v[72:73], v67, off offset:384
	s_waitcnt vmcnt(0)
	global_store_dwordx2 v[65:66], v[63:64], off offset:768
	s_or_b32 exec_lo, exec_lo, s91
	v_add_nc_u32_e32 v66, s90, v50
	s_and_saveexec_b32 s91, s39
	s_cbranch_execz .LBB77_26
.LBB77_96:                              ;   in Loop: Header=BB77_21 Depth=1
	v_add_co_u32 v63, vcc_lo, v45, v62
	v_add_co_ci_u32_e64 v64, null, 0, v71, vcc_lo
	v_add_co_u32 v63, vcc_lo, 0x400, v63
	v_add_co_ci_u32_e64 v64, null, 0, v64, vcc_lo
	;; [unrolled: 2-line block ×3, first 2 shown]
	v_cndmask_b32_e64 v63, v65, v63, s0
	v_cndmask_b32_e64 v64, v72, v64, s0
	v_add_co_u32 v72, vcc_lo, v43, v46
	v_add_co_ci_u32_e64 v73, null, 0, v44, vcc_lo
	global_load_dwordx2 v[63:64], v[63:64], off
	v_lshlrev_b64 v[74:75], 2, v[72:73]
	v_lshlrev_b64 v[72:73], 3, v[72:73]
	v_add_co_u32 v74, vcc_lo, s30, v74
	v_add_co_ci_u32_e64 v75, null, s31, v75, vcc_lo
	v_add_co_u32 v72, vcc_lo, s26, v72
	v_add_co_ci_u32_e64 v73, null, s27, v73, vcc_lo
	global_store_dword v[74:75], v66, off offset:512
	s_waitcnt vmcnt(0)
	global_store_dwordx2 v[72:73], v[63:64], off offset:1024
	s_or_b32 exec_lo, exec_lo, s91
	v_add_nc_u32_e32 v64, s90, v51
	s_and_saveexec_b32 s91, s40
	s_cbranch_execz .LBB77_27
.LBB77_97:                              ;   in Loop: Header=BB77_21 Depth=1
	v_add_co_u32 v63, vcc_lo, v45, v62
	v_add_co_ci_u32_e64 v65, null, 0, v71, vcc_lo
	v_add_co_u32 v63, vcc_lo, 0x500, v63
	v_add_co_ci_u32_e64 v65, null, 0, v65, vcc_lo
	;; [unrolled: 2-line block ×3, first 2 shown]
	v_add_co_u32 v74, vcc_lo, v43, v46
	v_cndmask_b32_e64 v72, v72, v63, s0
	v_cndmask_b32_e64 v73, v73, v65, s0
	v_add_co_ci_u32_e64 v75, null, 0, v44, vcc_lo
	global_load_dwordx2 v[72:73], v[72:73], off
	v_lshlrev_b64 v[76:77], 2, v[74:75]
	v_lshlrev_b64 v[74:75], 3, v[74:75]
	v_add_co_u32 v76, vcc_lo, s30, v76
	v_add_co_ci_u32_e64 v77, null, s31, v77, vcc_lo
	v_add_co_u32 v74, vcc_lo, s26, v74
	v_add_co_ci_u32_e64 v75, null, s27, v75, vcc_lo
	global_store_dword v[76:77], v64, off offset:640
	s_waitcnt vmcnt(0)
	global_store_dwordx2 v[74:75], v[72:73], off offset:1280
	s_or_b32 exec_lo, exec_lo, s91
	v_add_nc_u32_e32 v63, s90, v52
	s_and_saveexec_b32 s91, s41
	s_cbranch_execz .LBB77_28
.LBB77_98:                              ;   in Loop: Header=BB77_21 Depth=1
	v_add_co_u32 v65, vcc_lo, v45, v62
	v_add_co_ci_u32_e64 v72, null, 0, v71, vcc_lo
	v_add_co_u32 v65, vcc_lo, 0x600, v65
	v_add_co_ci_u32_e64 v72, null, 0, v72, vcc_lo
	;; [unrolled: 2-line block ×3, first 2 shown]
	v_cndmask_b32_e64 v73, v73, v72, s0
	v_cndmask_b32_e64 v72, v74, v65, s0
	v_add_co_u32 v74, vcc_lo, v43, v46
	v_add_co_ci_u32_e64 v75, null, 0, v44, vcc_lo
	global_load_dwordx2 v[72:73], v[72:73], off
	v_lshlrev_b64 v[76:77], 2, v[74:75]
	v_lshlrev_b64 v[74:75], 3, v[74:75]
	v_add_co_u32 v76, vcc_lo, s30, v76
	v_add_co_ci_u32_e64 v77, null, s31, v77, vcc_lo
	v_add_co_u32 v74, vcc_lo, s26, v74
	v_add_co_ci_u32_e64 v75, null, s27, v75, vcc_lo
	global_store_dword v[76:77], v63, off offset:768
	s_waitcnt vmcnt(0)
	global_store_dwordx2 v[74:75], v[72:73], off offset:1536
	s_or_b32 exec_lo, exec_lo, s91
	v_add_nc_u32_e32 v65, s90, v53
	s_and_saveexec_b32 s90, s42
	s_cbranch_execnz .LBB77_29
	s_branch .LBB77_30
.LBB77_99:                              ;   in Loop: Header=BB77_21 Depth=1
	v_add_co_u32 v72, vcc_lo, v60, v27
	v_add_co_ci_u32_e64 v73, null, v61, v28, vcc_lo
	v_add_co_u32 v74, vcc_lo, v45, v62
	v_add_co_ci_u32_e64 v75, null, 0, v71, vcc_lo
	;; [unrolled: 2-line block ×3, first 2 shown]
	v_cndmask_b32_e64 v72, v72, v74, s0
	v_add_co_u32 v74, vcc_lo, v43, v46
	v_cndmask_b32_e64 v73, v73, v75, s0
	v_add_co_ci_u32_e64 v75, null, 0, v44, vcc_lo
	global_load_dwordx2 v[72:73], v[72:73], off
	v_lshlrev_b64 v[76:77], 2, v[74:75]
	v_lshlrev_b64 v[74:75], 3, v[74:75]
	v_add_co_u32 v76, vcc_lo, s30, v76
	v_add_co_ci_u32_e64 v77, null, s31, v77, vcc_lo
	v_add_co_u32 v74, vcc_lo, s26, v74
	v_add_co_ci_u32_e64 v75, null, s27, v75, vcc_lo
	global_store_dword v[76:77], v68, off
	s_waitcnt vmcnt(0)
	global_store_dwordx2 v[74:75], v[72:73], off
	s_or_b32 exec_lo, exec_lo, s90
	s_and_saveexec_b32 s90, s44
	s_cbranch_execz .LBB77_32
.LBB77_100:                             ;   in Loop: Header=BB77_21 Depth=1
	v_add_co_u32 v72, vcc_lo, v45, v62
	v_add_co_ci_u32_e64 v73, null, 0, v71, vcc_lo
	v_add_co_u32 v74, vcc_lo, v60, v29
	v_add_co_ci_u32_e64 v75, null, v61, v30, vcc_lo
	v_cndmask_b32_e64 v72, v74, v72, s0
	v_add_co_u32 v74, vcc_lo, v43, v46
	v_cndmask_b32_e64 v73, v75, v73, s0
	v_add_co_ci_u32_e64 v75, null, 0, v44, vcc_lo
	global_load_dwordx2 v[72:73], v[72:73], off offset:256
	v_lshlrev_b64 v[76:77], 2, v[74:75]
	v_lshlrev_b64 v[74:75], 3, v[74:75]
	v_add_co_u32 v76, vcc_lo, s30, v76
	v_add_co_ci_u32_e64 v77, null, s31, v77, vcc_lo
	v_add_co_u32 v74, vcc_lo, s26, v74
	v_add_co_ci_u32_e64 v75, null, s27, v75, vcc_lo
	global_store_dword v[76:77], v70, off offset:128
	s_waitcnt vmcnt(0)
	global_store_dwordx2 v[74:75], v[72:73], off offset:256
	s_or_b32 exec_lo, exec_lo, s90
	s_and_saveexec_b32 s90, s45
	s_cbranch_execz .LBB77_33
.LBB77_101:                             ;   in Loop: Header=BB77_21 Depth=1
	v_add_co_u32 v72, vcc_lo, v45, v62
	v_add_co_ci_u32_e64 v73, null, 0, v71, vcc_lo
	v_add_co_u32 v74, vcc_lo, v60, v31
	v_add_co_ci_u32_e64 v75, null, v61, v32, vcc_lo
	v_add_co_u32 v72, vcc_lo, 0x200, v72
	v_add_co_ci_u32_e64 v73, null, 0, v73, vcc_lo
	v_add_co_u32 v74, vcc_lo, 0x100, v74
	v_add_co_ci_u32_e64 v75, null, 0, v75, vcc_lo
	v_cndmask_b32_e64 v72, v74, v72, s0
	v_add_co_u32 v74, vcc_lo, v43, v46
	v_cndmask_b32_e64 v73, v75, v73, s0
	v_add_co_ci_u32_e64 v75, null, 0, v44, vcc_lo
	global_load_dwordx2 v[72:73], v[72:73], off
	v_lshlrev_b64 v[76:77], 2, v[74:75]
	v_lshlrev_b64 v[74:75], 3, v[74:75]
	v_add_co_u32 v76, vcc_lo, s30, v76
	v_add_co_ci_u32_e64 v77, null, s31, v77, vcc_lo
	v_add_co_u32 v74, vcc_lo, s26, v74
	v_add_co_ci_u32_e64 v75, null, s27, v75, vcc_lo
	global_store_dword v[76:77], v69, off offset:256
	s_waitcnt vmcnt(0)
	global_store_dwordx2 v[74:75], v[72:73], off offset:512
	s_or_b32 exec_lo, exec_lo, s90
	s_and_saveexec_b32 s90, s46
	s_cbranch_execz .LBB77_34
.LBB77_102:                             ;   in Loop: Header=BB77_21 Depth=1
	v_add_co_u32 v72, vcc_lo, v45, v62
	v_add_co_ci_u32_e64 v73, null, 0, v71, vcc_lo
	v_add_co_u32 v74, vcc_lo, v60, v33
	v_add_co_ci_u32_e64 v75, null, v61, v34, vcc_lo
	;; [unrolled: 2-line block ×4, first 2 shown]
	v_cndmask_b32_e64 v72, v74, v72, s0
	v_add_co_u32 v74, vcc_lo, v43, v46
	v_cndmask_b32_e64 v73, v75, v73, s0
	v_add_co_ci_u32_e64 v75, null, 0, v44, vcc_lo
	global_load_dwordx2 v[72:73], v[72:73], off
	v_lshlrev_b64 v[76:77], 2, v[74:75]
	v_lshlrev_b64 v[74:75], 3, v[74:75]
	v_add_co_u32 v76, vcc_lo, s30, v76
	v_add_co_ci_u32_e64 v77, null, s31, v77, vcc_lo
	v_add_co_u32 v74, vcc_lo, s26, v74
	v_add_co_ci_u32_e64 v75, null, s27, v75, vcc_lo
	global_store_dword v[76:77], v67, off offset:384
	s_waitcnt vmcnt(0)
	global_store_dwordx2 v[74:75], v[72:73], off offset:768
	s_or_b32 exec_lo, exec_lo, s90
	s_and_saveexec_b32 s90, s47
	s_cbranch_execz .LBB77_35
.LBB77_103:                             ;   in Loop: Header=BB77_21 Depth=1
	v_add_co_u32 v72, vcc_lo, v45, v62
	v_add_co_ci_u32_e64 v73, null, 0, v71, vcc_lo
	v_add_co_u32 v74, vcc_lo, v60, v35
	v_add_co_ci_u32_e64 v75, null, v61, v36, vcc_lo
	;; [unrolled: 2-line block ×4, first 2 shown]
	v_cndmask_b32_e64 v72, v74, v72, s0
	v_add_co_u32 v74, vcc_lo, v43, v46
	v_cndmask_b32_e64 v73, v75, v73, s0
	v_add_co_ci_u32_e64 v75, null, 0, v44, vcc_lo
	global_load_dwordx2 v[72:73], v[72:73], off
	v_lshlrev_b64 v[76:77], 2, v[74:75]
	v_lshlrev_b64 v[74:75], 3, v[74:75]
	v_add_co_u32 v76, vcc_lo, s30, v76
	v_add_co_ci_u32_e64 v77, null, s31, v77, vcc_lo
	v_add_co_u32 v74, vcc_lo, s26, v74
	v_add_co_ci_u32_e64 v75, null, s27, v75, vcc_lo
	global_store_dword v[76:77], v66, off offset:512
	s_waitcnt vmcnt(0)
	global_store_dwordx2 v[74:75], v[72:73], off offset:1024
	s_or_b32 exec_lo, exec_lo, s90
	s_and_saveexec_b32 s90, s48
	s_cbranch_execz .LBB77_36
.LBB77_104:                             ;   in Loop: Header=BB77_21 Depth=1
	v_add_co_u32 v72, vcc_lo, v45, v62
	v_add_co_ci_u32_e64 v73, null, 0, v71, vcc_lo
	v_add_co_u32 v74, vcc_lo, v60, v37
	v_add_co_ci_u32_e64 v75, null, v61, v38, vcc_lo
	;; [unrolled: 2-line block ×4, first 2 shown]
	v_cndmask_b32_e64 v72, v74, v72, s0
	v_add_co_u32 v74, vcc_lo, v43, v46
	v_cndmask_b32_e64 v73, v75, v73, s0
	v_add_co_ci_u32_e64 v75, null, 0, v44, vcc_lo
	global_load_dwordx2 v[72:73], v[72:73], off
	v_lshlrev_b64 v[76:77], 2, v[74:75]
	v_lshlrev_b64 v[74:75], 3, v[74:75]
	v_add_co_u32 v76, vcc_lo, s30, v76
	v_add_co_ci_u32_e64 v77, null, s31, v77, vcc_lo
	v_add_co_u32 v74, vcc_lo, s26, v74
	v_add_co_ci_u32_e64 v75, null, s27, v75, vcc_lo
	global_store_dword v[76:77], v64, off offset:640
	s_waitcnt vmcnt(0)
	global_store_dwordx2 v[74:75], v[72:73], off offset:1280
	s_or_b32 exec_lo, exec_lo, s90
	s_and_saveexec_b32 s90, s49
	s_cbranch_execz .LBB77_37
.LBB77_105:                             ;   in Loop: Header=BB77_21 Depth=1
	v_add_co_u32 v72, vcc_lo, v45, v62
	v_add_co_ci_u32_e64 v73, null, 0, v71, vcc_lo
	v_add_co_u32 v74, vcc_lo, v60, v39
	v_add_co_ci_u32_e64 v75, null, v61, v40, vcc_lo
	;; [unrolled: 2-line block ×4, first 2 shown]
	v_cndmask_b32_e64 v72, v74, v72, s0
	v_add_co_u32 v74, vcc_lo, v43, v46
	v_cndmask_b32_e64 v73, v75, v73, s0
	v_add_co_ci_u32_e64 v75, null, 0, v44, vcc_lo
	global_load_dwordx2 v[72:73], v[72:73], off
	v_lshlrev_b64 v[76:77], 2, v[74:75]
	v_lshlrev_b64 v[74:75], 3, v[74:75]
	v_add_co_u32 v76, vcc_lo, s30, v76
	v_add_co_ci_u32_e64 v77, null, s31, v77, vcc_lo
	v_add_co_u32 v74, vcc_lo, s26, v74
	v_add_co_ci_u32_e64 v75, null, s27, v75, vcc_lo
	global_store_dword v[76:77], v63, off offset:768
	s_waitcnt vmcnt(0)
	global_store_dwordx2 v[74:75], v[72:73], off offset:1536
	s_or_b32 exec_lo, exec_lo, s90
	s_and_saveexec_b32 s90, s8
	s_cbranch_execnz .LBB77_38
	s_branch .LBB77_39
.LBB77_106:                             ;   in Loop: Header=BB77_21 Depth=1
	v_add_co_u32 v72, vcc_lo, v60, v27
	v_add_co_ci_u32_e64 v73, null, v61, v28, vcc_lo
	v_add_co_u32 v74, vcc_lo, v45, v62
	v_add_co_ci_u32_e64 v75, null, 0, v71, vcc_lo
	;; [unrolled: 2-line block ×3, first 2 shown]
	v_cndmask_b32_e64 v72, v72, v74, s0
	v_add_co_u32 v74, vcc_lo, v43, v46
	v_cndmask_b32_e64 v73, v73, v75, s0
	v_add_co_ci_u32_e64 v75, null, 0, v44, vcc_lo
	global_load_dwordx2 v[72:73], v[72:73], off
	v_lshlrev_b64 v[76:77], 2, v[74:75]
	v_lshlrev_b64 v[74:75], 3, v[74:75]
	v_add_co_u32 v76, vcc_lo, s30, v76
	v_add_co_ci_u32_e64 v77, null, s31, v77, vcc_lo
	v_add_co_u32 v74, vcc_lo, s26, v74
	v_add_co_ci_u32_e64 v75, null, s27, v75, vcc_lo
	global_store_dword v[76:77], v68, off
	s_waitcnt vmcnt(0)
	global_store_dwordx2 v[74:75], v[72:73], off
	s_or_b32 exec_lo, exec_lo, s90
	s_and_saveexec_b32 s90, s51
	s_cbranch_execz .LBB77_41
.LBB77_107:                             ;   in Loop: Header=BB77_21 Depth=1
	v_add_co_u32 v72, vcc_lo, v45, v62
	v_add_co_ci_u32_e64 v73, null, 0, v71, vcc_lo
	v_add_co_u32 v74, vcc_lo, v60, v29
	v_add_co_ci_u32_e64 v75, null, v61, v30, vcc_lo
	;; [unrolled: 2-line block ×4, first 2 shown]
	v_cndmask_b32_e64 v72, v74, v72, s0
	v_add_co_u32 v74, vcc_lo, v43, v46
	v_cndmask_b32_e64 v73, v75, v73, s0
	v_add_co_ci_u32_e64 v75, null, 0, v44, vcc_lo
	global_load_dwordx2 v[72:73], v[72:73], off
	v_lshlrev_b64 v[76:77], 2, v[74:75]
	v_lshlrev_b64 v[74:75], 3, v[74:75]
	v_add_co_u32 v76, vcc_lo, s30, v76
	v_add_co_ci_u32_e64 v77, null, s31, v77, vcc_lo
	v_add_co_u32 v74, vcc_lo, s26, v74
	v_add_co_ci_u32_e64 v75, null, s27, v75, vcc_lo
	global_store_dword v[76:77], v70, off offset:128
	s_waitcnt vmcnt(0)
	global_store_dwordx2 v[74:75], v[72:73], off offset:256
	s_or_b32 exec_lo, exec_lo, s90
	s_and_saveexec_b32 s90, s52
	s_cbranch_execz .LBB77_42
.LBB77_108:                             ;   in Loop: Header=BB77_21 Depth=1
	v_add_co_u32 v72, vcc_lo, v45, v62
	v_add_co_ci_u32_e64 v73, null, 0, v71, vcc_lo
	v_add_co_u32 v74, vcc_lo, v60, v31
	v_add_co_ci_u32_e64 v75, null, v61, v32, vcc_lo
	v_cndmask_b32_e64 v72, v74, v72, s0
	v_add_co_u32 v74, vcc_lo, v43, v46
	v_cndmask_b32_e64 v73, v75, v73, s0
	v_add_co_ci_u32_e64 v75, null, 0, v44, vcc_lo
	global_load_dwordx2 v[72:73], v[72:73], off offset:512
	v_lshlrev_b64 v[76:77], 2, v[74:75]
	v_lshlrev_b64 v[74:75], 3, v[74:75]
	v_add_co_u32 v76, vcc_lo, s30, v76
	v_add_co_ci_u32_e64 v77, null, s31, v77, vcc_lo
	v_add_co_u32 v74, vcc_lo, s26, v74
	v_add_co_ci_u32_e64 v75, null, s27, v75, vcc_lo
	global_store_dword v[76:77], v69, off offset:256
	s_waitcnt vmcnt(0)
	global_store_dwordx2 v[74:75], v[72:73], off offset:512
	s_or_b32 exec_lo, exec_lo, s90
	s_and_saveexec_b32 s90, s53
	s_cbranch_execz .LBB77_43
.LBB77_109:                             ;   in Loop: Header=BB77_21 Depth=1
	v_add_co_u32 v72, vcc_lo, v45, v62
	v_add_co_ci_u32_e64 v73, null, 0, v71, vcc_lo
	v_add_co_u32 v74, vcc_lo, v60, v33
	v_add_co_ci_u32_e64 v75, null, v61, v34, vcc_lo
	;; [unrolled: 2-line block ×4, first 2 shown]
	v_cndmask_b32_e64 v72, v74, v72, s0
	v_add_co_u32 v74, vcc_lo, v43, v46
	v_cndmask_b32_e64 v73, v75, v73, s0
	v_add_co_ci_u32_e64 v75, null, 0, v44, vcc_lo
	global_load_dwordx2 v[72:73], v[72:73], off
	v_lshlrev_b64 v[76:77], 2, v[74:75]
	v_lshlrev_b64 v[74:75], 3, v[74:75]
	v_add_co_u32 v76, vcc_lo, s30, v76
	v_add_co_ci_u32_e64 v77, null, s31, v77, vcc_lo
	v_add_co_u32 v74, vcc_lo, s26, v74
	v_add_co_ci_u32_e64 v75, null, s27, v75, vcc_lo
	global_store_dword v[76:77], v67, off offset:384
	s_waitcnt vmcnt(0)
	global_store_dwordx2 v[74:75], v[72:73], off offset:768
	s_or_b32 exec_lo, exec_lo, s90
	s_and_saveexec_b32 s90, s54
	s_cbranch_execz .LBB77_44
.LBB77_110:                             ;   in Loop: Header=BB77_21 Depth=1
	v_add_co_u32 v72, vcc_lo, v45, v62
	v_add_co_ci_u32_e64 v73, null, 0, v71, vcc_lo
	v_add_co_u32 v74, vcc_lo, v60, v35
	v_add_co_ci_u32_e64 v75, null, v61, v36, vcc_lo
	v_add_co_u32 v72, vcc_lo, 0x400, v72
	v_add_co_ci_u32_e64 v73, null, 0, v73, vcc_lo
	v_add_co_u32 v74, vcc_lo, 0x200, v74
	v_add_co_ci_u32_e64 v75, null, 0, v75, vcc_lo
	v_cndmask_b32_e64 v72, v74, v72, s0
	v_add_co_u32 v74, vcc_lo, v43, v46
	v_cndmask_b32_e64 v73, v75, v73, s0
	v_add_co_ci_u32_e64 v75, null, 0, v44, vcc_lo
	global_load_dwordx2 v[72:73], v[72:73], off
	v_lshlrev_b64 v[76:77], 2, v[74:75]
	v_lshlrev_b64 v[74:75], 3, v[74:75]
	v_add_co_u32 v76, vcc_lo, s30, v76
	v_add_co_ci_u32_e64 v77, null, s31, v77, vcc_lo
	v_add_co_u32 v74, vcc_lo, s26, v74
	v_add_co_ci_u32_e64 v75, null, s27, v75, vcc_lo
	global_store_dword v[76:77], v66, off offset:512
	s_waitcnt vmcnt(0)
	global_store_dwordx2 v[74:75], v[72:73], off offset:1024
	s_or_b32 exec_lo, exec_lo, s90
	s_and_saveexec_b32 s90, s55
	s_cbranch_execz .LBB77_45
.LBB77_111:                             ;   in Loop: Header=BB77_21 Depth=1
	v_add_co_u32 v72, vcc_lo, v45, v62
	v_add_co_ci_u32_e64 v73, null, 0, v71, vcc_lo
	v_add_co_u32 v74, vcc_lo, v60, v37
	v_add_co_ci_u32_e64 v75, null, v61, v38, vcc_lo
	;; [unrolled: 2-line block ×4, first 2 shown]
	v_cndmask_b32_e64 v72, v74, v72, s0
	v_add_co_u32 v74, vcc_lo, v43, v46
	v_cndmask_b32_e64 v73, v75, v73, s0
	v_add_co_ci_u32_e64 v75, null, 0, v44, vcc_lo
	global_load_dwordx2 v[72:73], v[72:73], off
	v_lshlrev_b64 v[76:77], 2, v[74:75]
	v_lshlrev_b64 v[74:75], 3, v[74:75]
	v_add_co_u32 v76, vcc_lo, s30, v76
	v_add_co_ci_u32_e64 v77, null, s31, v77, vcc_lo
	v_add_co_u32 v74, vcc_lo, s26, v74
	v_add_co_ci_u32_e64 v75, null, s27, v75, vcc_lo
	global_store_dword v[76:77], v64, off offset:640
	s_waitcnt vmcnt(0)
	global_store_dwordx2 v[74:75], v[72:73], off offset:1280
	s_or_b32 exec_lo, exec_lo, s90
	s_and_saveexec_b32 s90, s56
	s_cbranch_execz .LBB77_46
.LBB77_112:                             ;   in Loop: Header=BB77_21 Depth=1
	v_add_co_u32 v72, vcc_lo, v45, v62
	v_add_co_ci_u32_e64 v73, null, 0, v71, vcc_lo
	v_add_co_u32 v74, vcc_lo, v60, v39
	v_add_co_ci_u32_e64 v75, null, v61, v40, vcc_lo
	;; [unrolled: 2-line block ×4, first 2 shown]
	v_cndmask_b32_e64 v72, v74, v72, s0
	v_add_co_u32 v74, vcc_lo, v43, v46
	v_cndmask_b32_e64 v73, v75, v73, s0
	v_add_co_ci_u32_e64 v75, null, 0, v44, vcc_lo
	global_load_dwordx2 v[72:73], v[72:73], off
	v_lshlrev_b64 v[76:77], 2, v[74:75]
	v_lshlrev_b64 v[74:75], 3, v[74:75]
	v_add_co_u32 v76, vcc_lo, s30, v76
	v_add_co_ci_u32_e64 v77, null, s31, v77, vcc_lo
	v_add_co_u32 v74, vcc_lo, s26, v74
	v_add_co_ci_u32_e64 v75, null, s27, v75, vcc_lo
	global_store_dword v[76:77], v63, off offset:768
	s_waitcnt vmcnt(0)
	global_store_dwordx2 v[74:75], v[72:73], off offset:1536
	s_or_b32 exec_lo, exec_lo, s90
	s_and_saveexec_b32 s90, s6
	s_cbranch_execnz .LBB77_47
	s_branch .LBB77_48
.LBB77_113:                             ;   in Loop: Header=BB77_21 Depth=1
	v_add_co_u32 v72, vcc_lo, v60, v27
	v_add_co_ci_u32_e64 v73, null, v61, v28, vcc_lo
	v_add_co_u32 v74, vcc_lo, v45, v62
	v_add_co_ci_u32_e64 v75, null, 0, v71, vcc_lo
	;; [unrolled: 2-line block ×3, first 2 shown]
	v_cndmask_b32_e64 v72, v72, v74, s0
	v_add_co_u32 v74, vcc_lo, v43, v46
	v_cndmask_b32_e64 v73, v73, v75, s0
	v_add_co_ci_u32_e64 v75, null, 0, v44, vcc_lo
	global_load_dwordx2 v[72:73], v[72:73], off
	v_lshlrev_b64 v[76:77], 2, v[74:75]
	v_lshlrev_b64 v[74:75], 3, v[74:75]
	v_add_co_u32 v76, vcc_lo, s30, v76
	v_add_co_ci_u32_e64 v77, null, s31, v77, vcc_lo
	v_add_co_u32 v74, vcc_lo, s26, v74
	v_add_co_ci_u32_e64 v75, null, s27, v75, vcc_lo
	global_store_dword v[76:77], v68, off
	s_waitcnt vmcnt(0)
	global_store_dwordx2 v[74:75], v[72:73], off
	s_or_b32 exec_lo, exec_lo, s90
	s_and_saveexec_b32 s90, s58
	s_cbranch_execz .LBB77_50
.LBB77_114:                             ;   in Loop: Header=BB77_21 Depth=1
	v_add_co_u32 v72, vcc_lo, v45, v62
	v_add_co_ci_u32_e64 v73, null, 0, v71, vcc_lo
	v_add_co_u32 v74, vcc_lo, v60, v29
	v_add_co_ci_u32_e64 v75, null, v61, v30, vcc_lo
	;; [unrolled: 2-line block ×4, first 2 shown]
	v_cndmask_b32_e64 v72, v74, v72, s0
	v_add_co_u32 v74, vcc_lo, v43, v46
	v_cndmask_b32_e64 v73, v75, v73, s0
	v_add_co_ci_u32_e64 v75, null, 0, v44, vcc_lo
	global_load_dwordx2 v[72:73], v[72:73], off
	v_lshlrev_b64 v[76:77], 2, v[74:75]
	v_lshlrev_b64 v[74:75], 3, v[74:75]
	v_add_co_u32 v76, vcc_lo, s30, v76
	v_add_co_ci_u32_e64 v77, null, s31, v77, vcc_lo
	v_add_co_u32 v74, vcc_lo, s26, v74
	v_add_co_ci_u32_e64 v75, null, s27, v75, vcc_lo
	global_store_dword v[76:77], v70, off offset:128
	s_waitcnt vmcnt(0)
	global_store_dwordx2 v[74:75], v[72:73], off offset:256
	s_or_b32 exec_lo, exec_lo, s90
	s_and_saveexec_b32 s90, s59
	s_cbranch_execz .LBB77_51
.LBB77_115:                             ;   in Loop: Header=BB77_21 Depth=1
	v_add_co_u32 v72, vcc_lo, v45, v62
	v_add_co_ci_u32_e64 v73, null, 0, v71, vcc_lo
	v_add_co_u32 v74, vcc_lo, v60, v31
	v_add_co_ci_u32_e64 v75, null, v61, v32, vcc_lo
	;; [unrolled: 2-line block ×4, first 2 shown]
	v_cndmask_b32_e64 v72, v74, v72, s0
	v_add_co_u32 v74, vcc_lo, v43, v46
	v_cndmask_b32_e64 v73, v75, v73, s0
	v_add_co_ci_u32_e64 v75, null, 0, v44, vcc_lo
	global_load_dwordx2 v[72:73], v[72:73], off
	v_lshlrev_b64 v[76:77], 2, v[74:75]
	v_lshlrev_b64 v[74:75], 3, v[74:75]
	v_add_co_u32 v76, vcc_lo, s30, v76
	v_add_co_ci_u32_e64 v77, null, s31, v77, vcc_lo
	v_add_co_u32 v74, vcc_lo, s26, v74
	v_add_co_ci_u32_e64 v75, null, s27, v75, vcc_lo
	global_store_dword v[76:77], v69, off offset:256
	s_waitcnt vmcnt(0)
	global_store_dwordx2 v[74:75], v[72:73], off offset:512
	s_or_b32 exec_lo, exec_lo, s90
	s_and_saveexec_b32 s90, s60
	s_cbranch_execz .LBB77_52
.LBB77_116:                             ;   in Loop: Header=BB77_21 Depth=1
	v_add_co_u32 v72, vcc_lo, v45, v62
	v_add_co_ci_u32_e64 v73, null, 0, v71, vcc_lo
	v_add_co_u32 v74, vcc_lo, v60, v33
	v_add_co_ci_u32_e64 v75, null, v61, v34, vcc_lo
	v_cndmask_b32_e64 v72, v74, v72, s0
	v_add_co_u32 v74, vcc_lo, v43, v46
	v_cndmask_b32_e64 v73, v75, v73, s0
	v_add_co_ci_u32_e64 v75, null, 0, v44, vcc_lo
	global_load_dwordx2 v[72:73], v[72:73], off offset:768
	v_lshlrev_b64 v[76:77], 2, v[74:75]
	v_lshlrev_b64 v[74:75], 3, v[74:75]
	v_add_co_u32 v76, vcc_lo, s30, v76
	v_add_co_ci_u32_e64 v77, null, s31, v77, vcc_lo
	v_add_co_u32 v74, vcc_lo, s26, v74
	v_add_co_ci_u32_e64 v75, null, s27, v75, vcc_lo
	global_store_dword v[76:77], v67, off offset:384
	s_waitcnt vmcnt(0)
	global_store_dwordx2 v[74:75], v[72:73], off offset:768
	s_or_b32 exec_lo, exec_lo, s90
	s_and_saveexec_b32 s90, s61
	s_cbranch_execz .LBB77_53
.LBB77_117:                             ;   in Loop: Header=BB77_21 Depth=1
	v_add_co_u32 v72, vcc_lo, v45, v62
	v_add_co_ci_u32_e64 v73, null, 0, v71, vcc_lo
	v_add_co_u32 v74, vcc_lo, v60, v35
	v_add_co_ci_u32_e64 v75, null, v61, v36, vcc_lo
	v_add_co_u32 v72, vcc_lo, 0x400, v72
	v_add_co_ci_u32_e64 v73, null, 0, v73, vcc_lo
	v_add_co_u32 v74, vcc_lo, 0x300, v74
	v_add_co_ci_u32_e64 v75, null, 0, v75, vcc_lo
	v_cndmask_b32_e64 v72, v74, v72, s0
	v_add_co_u32 v74, vcc_lo, v43, v46
	v_cndmask_b32_e64 v73, v75, v73, s0
	v_add_co_ci_u32_e64 v75, null, 0, v44, vcc_lo
	global_load_dwordx2 v[72:73], v[72:73], off
	v_lshlrev_b64 v[76:77], 2, v[74:75]
	v_lshlrev_b64 v[74:75], 3, v[74:75]
	v_add_co_u32 v76, vcc_lo, s30, v76
	v_add_co_ci_u32_e64 v77, null, s31, v77, vcc_lo
	v_add_co_u32 v74, vcc_lo, s26, v74
	v_add_co_ci_u32_e64 v75, null, s27, v75, vcc_lo
	global_store_dword v[76:77], v66, off offset:512
	s_waitcnt vmcnt(0)
	global_store_dwordx2 v[74:75], v[72:73], off offset:1024
	s_or_b32 exec_lo, exec_lo, s90
	s_and_saveexec_b32 s90, s62
	s_cbranch_execz .LBB77_54
.LBB77_118:                             ;   in Loop: Header=BB77_21 Depth=1
	v_add_co_u32 v72, vcc_lo, v45, v62
	v_add_co_ci_u32_e64 v73, null, 0, v71, vcc_lo
	v_add_co_u32 v74, vcc_lo, v60, v37
	v_add_co_ci_u32_e64 v75, null, v61, v38, vcc_lo
	;; [unrolled: 2-line block ×4, first 2 shown]
	v_cndmask_b32_e64 v72, v74, v72, s0
	v_add_co_u32 v74, vcc_lo, v43, v46
	v_cndmask_b32_e64 v73, v75, v73, s0
	v_add_co_ci_u32_e64 v75, null, 0, v44, vcc_lo
	global_load_dwordx2 v[72:73], v[72:73], off
	v_lshlrev_b64 v[76:77], 2, v[74:75]
	v_lshlrev_b64 v[74:75], 3, v[74:75]
	v_add_co_u32 v76, vcc_lo, s30, v76
	v_add_co_ci_u32_e64 v77, null, s31, v77, vcc_lo
	v_add_co_u32 v74, vcc_lo, s26, v74
	v_add_co_ci_u32_e64 v75, null, s27, v75, vcc_lo
	global_store_dword v[76:77], v64, off offset:640
	s_waitcnt vmcnt(0)
	global_store_dwordx2 v[74:75], v[72:73], off offset:1280
	s_or_b32 exec_lo, exec_lo, s90
	s_and_saveexec_b32 s90, s63
	s_cbranch_execz .LBB77_55
.LBB77_119:                             ;   in Loop: Header=BB77_21 Depth=1
	v_add_co_u32 v72, vcc_lo, v45, v62
	v_add_co_ci_u32_e64 v73, null, 0, v71, vcc_lo
	v_add_co_u32 v74, vcc_lo, v60, v39
	v_add_co_ci_u32_e64 v75, null, v61, v40, vcc_lo
	;; [unrolled: 2-line block ×4, first 2 shown]
	v_cndmask_b32_e64 v72, v74, v72, s0
	v_add_co_u32 v74, vcc_lo, v43, v46
	v_cndmask_b32_e64 v73, v75, v73, s0
	v_add_co_ci_u32_e64 v75, null, 0, v44, vcc_lo
	global_load_dwordx2 v[72:73], v[72:73], off
	v_lshlrev_b64 v[76:77], 2, v[74:75]
	v_lshlrev_b64 v[74:75], 3, v[74:75]
	v_add_co_u32 v76, vcc_lo, s30, v76
	v_add_co_ci_u32_e64 v77, null, s31, v77, vcc_lo
	v_add_co_u32 v74, vcc_lo, s26, v74
	v_add_co_ci_u32_e64 v75, null, s27, v75, vcc_lo
	global_store_dword v[76:77], v63, off offset:768
	s_waitcnt vmcnt(0)
	global_store_dwordx2 v[74:75], v[72:73], off offset:1536
	s_or_b32 exec_lo, exec_lo, s90
	s_and_saveexec_b32 s90, s1
	s_cbranch_execnz .LBB77_56
	s_branch .LBB77_57
.LBB77_120:                             ;   in Loop: Header=BB77_21 Depth=1
	v_add_co_u32 v72, vcc_lo, v60, v27
	v_add_co_ci_u32_e64 v73, null, v61, v28, vcc_lo
	v_add_co_u32 v74, vcc_lo, v45, v62
	v_add_co_ci_u32_e64 v75, null, 0, v71, vcc_lo
	;; [unrolled: 2-line block ×3, first 2 shown]
	v_cndmask_b32_e64 v72, v72, v74, s0
	v_add_co_u32 v74, vcc_lo, v43, v46
	v_cndmask_b32_e64 v73, v73, v75, s0
	v_add_co_ci_u32_e64 v75, null, 0, v44, vcc_lo
	global_load_dwordx2 v[72:73], v[72:73], off
	v_lshlrev_b64 v[76:77], 2, v[74:75]
	v_lshlrev_b64 v[74:75], 3, v[74:75]
	v_add_co_u32 v76, vcc_lo, s30, v76
	v_add_co_ci_u32_e64 v77, null, s31, v77, vcc_lo
	v_add_co_u32 v74, vcc_lo, s26, v74
	v_add_co_ci_u32_e64 v75, null, s27, v75, vcc_lo
	global_store_dword v[76:77], v68, off
	s_waitcnt vmcnt(0)
	global_store_dwordx2 v[74:75], v[72:73], off
	s_or_b32 exec_lo, exec_lo, s90
	s_and_saveexec_b32 s90, s65
	s_cbranch_execz .LBB77_59
.LBB77_121:                             ;   in Loop: Header=BB77_21 Depth=1
	v_add_co_u32 v72, vcc_lo, v45, v62
	v_add_co_ci_u32_e64 v73, null, 0, v71, vcc_lo
	v_add_co_u32 v74, vcc_lo, v60, v29
	v_add_co_ci_u32_e64 v75, null, v61, v30, vcc_lo
	;; [unrolled: 2-line block ×4, first 2 shown]
	v_cndmask_b32_e64 v72, v74, v72, s0
	v_add_co_u32 v74, vcc_lo, v43, v46
	v_cndmask_b32_e64 v73, v75, v73, s0
	v_add_co_ci_u32_e64 v75, null, 0, v44, vcc_lo
	global_load_dwordx2 v[72:73], v[72:73], off
	v_lshlrev_b64 v[76:77], 2, v[74:75]
	v_lshlrev_b64 v[74:75], 3, v[74:75]
	v_add_co_u32 v76, vcc_lo, s30, v76
	v_add_co_ci_u32_e64 v77, null, s31, v77, vcc_lo
	v_add_co_u32 v74, vcc_lo, s26, v74
	v_add_co_ci_u32_e64 v75, null, s27, v75, vcc_lo
	global_store_dword v[76:77], v70, off offset:128
	s_waitcnt vmcnt(0)
	global_store_dwordx2 v[74:75], v[72:73], off offset:256
	s_or_b32 exec_lo, exec_lo, s90
	s_and_saveexec_b32 s90, s66
	s_cbranch_execz .LBB77_60
.LBB77_122:                             ;   in Loop: Header=BB77_21 Depth=1
	v_add_co_u32 v72, vcc_lo, v45, v62
	v_add_co_ci_u32_e64 v73, null, 0, v71, vcc_lo
	v_add_co_u32 v74, vcc_lo, v60, v31
	v_add_co_ci_u32_e64 v75, null, v61, v32, vcc_lo
	;; [unrolled: 2-line block ×4, first 2 shown]
	v_cndmask_b32_e64 v72, v74, v72, s0
	v_add_co_u32 v74, vcc_lo, v43, v46
	v_cndmask_b32_e64 v73, v75, v73, s0
	v_add_co_ci_u32_e64 v75, null, 0, v44, vcc_lo
	global_load_dwordx2 v[72:73], v[72:73], off
	v_lshlrev_b64 v[76:77], 2, v[74:75]
	v_lshlrev_b64 v[74:75], 3, v[74:75]
	v_add_co_u32 v76, vcc_lo, s30, v76
	v_add_co_ci_u32_e64 v77, null, s31, v77, vcc_lo
	v_add_co_u32 v74, vcc_lo, s26, v74
	v_add_co_ci_u32_e64 v75, null, s27, v75, vcc_lo
	global_store_dword v[76:77], v69, off offset:256
	s_waitcnt vmcnt(0)
	global_store_dwordx2 v[74:75], v[72:73], off offset:512
	s_or_b32 exec_lo, exec_lo, s90
	s_and_saveexec_b32 s90, s67
	s_cbranch_execz .LBB77_61
.LBB77_123:                             ;   in Loop: Header=BB77_21 Depth=1
	v_add_co_u32 v72, vcc_lo, v45, v62
	v_add_co_ci_u32_e64 v73, null, 0, v71, vcc_lo
	v_add_co_u32 v74, vcc_lo, v60, v33
	v_add_co_ci_u32_e64 v75, null, v61, v34, vcc_lo
	;; [unrolled: 2-line block ×4, first 2 shown]
	v_cndmask_b32_e64 v72, v74, v72, s0
	v_add_co_u32 v74, vcc_lo, v43, v46
	v_cndmask_b32_e64 v73, v75, v73, s0
	v_add_co_ci_u32_e64 v75, null, 0, v44, vcc_lo
	global_load_dwordx2 v[72:73], v[72:73], off
	v_lshlrev_b64 v[76:77], 2, v[74:75]
	v_lshlrev_b64 v[74:75], 3, v[74:75]
	v_add_co_u32 v76, vcc_lo, s30, v76
	v_add_co_ci_u32_e64 v77, null, s31, v77, vcc_lo
	v_add_co_u32 v74, vcc_lo, s26, v74
	v_add_co_ci_u32_e64 v75, null, s27, v75, vcc_lo
	global_store_dword v[76:77], v67, off offset:384
	s_waitcnt vmcnt(0)
	global_store_dwordx2 v[74:75], v[72:73], off offset:768
	s_or_b32 exec_lo, exec_lo, s90
	s_and_saveexec_b32 s90, s68
	s_cbranch_execz .LBB77_62
.LBB77_124:                             ;   in Loop: Header=BB77_21 Depth=1
	v_add_co_u32 v72, vcc_lo, v45, v62
	v_add_co_ci_u32_e64 v73, null, 0, v71, vcc_lo
	v_add_co_u32 v74, vcc_lo, v60, v35
	v_add_co_ci_u32_e64 v75, null, v61, v36, vcc_lo
	v_cndmask_b32_e64 v72, v74, v72, s0
	v_add_co_u32 v74, vcc_lo, v43, v46
	v_cndmask_b32_e64 v73, v75, v73, s0
	v_add_co_ci_u32_e64 v75, null, 0, v44, vcc_lo
	global_load_dwordx2 v[72:73], v[72:73], off offset:1024
	v_lshlrev_b64 v[76:77], 2, v[74:75]
	v_lshlrev_b64 v[74:75], 3, v[74:75]
	v_add_co_u32 v76, vcc_lo, s30, v76
	v_add_co_ci_u32_e64 v77, null, s31, v77, vcc_lo
	v_add_co_u32 v74, vcc_lo, s26, v74
	v_add_co_ci_u32_e64 v75, null, s27, v75, vcc_lo
	global_store_dword v[76:77], v66, off offset:512
	s_waitcnt vmcnt(0)
	global_store_dwordx2 v[74:75], v[72:73], off offset:1024
	s_or_b32 exec_lo, exec_lo, s90
	s_and_saveexec_b32 s90, s69
	s_cbranch_execz .LBB77_63
.LBB77_125:                             ;   in Loop: Header=BB77_21 Depth=1
	v_add_co_u32 v72, vcc_lo, v45, v62
	v_add_co_ci_u32_e64 v73, null, 0, v71, vcc_lo
	v_add_co_u32 v74, vcc_lo, v60, v37
	v_add_co_ci_u32_e64 v75, null, v61, v38, vcc_lo
	;; [unrolled: 2-line block ×4, first 2 shown]
	v_cndmask_b32_e64 v72, v74, v72, s0
	v_add_co_u32 v74, vcc_lo, v43, v46
	v_cndmask_b32_e64 v73, v75, v73, s0
	v_add_co_ci_u32_e64 v75, null, 0, v44, vcc_lo
	global_load_dwordx2 v[72:73], v[72:73], off
	v_lshlrev_b64 v[76:77], 2, v[74:75]
	v_lshlrev_b64 v[74:75], 3, v[74:75]
	v_add_co_u32 v76, vcc_lo, s30, v76
	v_add_co_ci_u32_e64 v77, null, s31, v77, vcc_lo
	v_add_co_u32 v74, vcc_lo, s26, v74
	v_add_co_ci_u32_e64 v75, null, s27, v75, vcc_lo
	global_store_dword v[76:77], v64, off offset:640
	s_waitcnt vmcnt(0)
	global_store_dwordx2 v[74:75], v[72:73], off offset:1280
	s_or_b32 exec_lo, exec_lo, s90
	s_and_saveexec_b32 s90, s70
	s_cbranch_execz .LBB77_64
.LBB77_126:                             ;   in Loop: Header=BB77_21 Depth=1
	v_add_co_u32 v72, vcc_lo, v45, v62
	v_add_co_ci_u32_e64 v73, null, 0, v71, vcc_lo
	v_add_co_u32 v74, vcc_lo, v60, v39
	v_add_co_ci_u32_e64 v75, null, v61, v40, vcc_lo
	;; [unrolled: 2-line block ×4, first 2 shown]
	v_cndmask_b32_e64 v72, v74, v72, s0
	v_add_co_u32 v74, vcc_lo, v43, v46
	v_cndmask_b32_e64 v73, v75, v73, s0
	v_add_co_ci_u32_e64 v75, null, 0, v44, vcc_lo
	global_load_dwordx2 v[72:73], v[72:73], off
	v_lshlrev_b64 v[76:77], 2, v[74:75]
	v_lshlrev_b64 v[74:75], 3, v[74:75]
	v_add_co_u32 v76, vcc_lo, s30, v76
	v_add_co_ci_u32_e64 v77, null, s31, v77, vcc_lo
	v_add_co_u32 v74, vcc_lo, s26, v74
	v_add_co_ci_u32_e64 v75, null, s27, v75, vcc_lo
	global_store_dword v[76:77], v63, off offset:768
	s_waitcnt vmcnt(0)
	global_store_dwordx2 v[74:75], v[72:73], off offset:1536
	s_or_b32 exec_lo, exec_lo, s90
	s_and_saveexec_b32 s90, s71
	s_cbranch_execnz .LBB77_65
	s_branch .LBB77_66
.LBB77_127:                             ;   in Loop: Header=BB77_21 Depth=1
	v_add_co_u32 v72, vcc_lo, v60, v27
	v_add_co_ci_u32_e64 v73, null, v61, v28, vcc_lo
	v_add_co_u32 v74, vcc_lo, v45, v62
	v_add_co_ci_u32_e64 v75, null, 0, v71, vcc_lo
	;; [unrolled: 2-line block ×3, first 2 shown]
	v_cndmask_b32_e64 v72, v72, v74, s0
	v_add_co_u32 v74, vcc_lo, v43, v46
	v_cndmask_b32_e64 v73, v73, v75, s0
	v_add_co_ci_u32_e64 v75, null, 0, v44, vcc_lo
	global_load_dwordx2 v[72:73], v[72:73], off
	v_lshlrev_b64 v[76:77], 2, v[74:75]
	v_lshlrev_b64 v[74:75], 3, v[74:75]
	v_add_co_u32 v76, vcc_lo, s30, v76
	v_add_co_ci_u32_e64 v77, null, s31, v77, vcc_lo
	v_add_co_u32 v74, vcc_lo, s26, v74
	v_add_co_ci_u32_e64 v75, null, s27, v75, vcc_lo
	global_store_dword v[76:77], v68, off
	s_waitcnt vmcnt(0)
	global_store_dwordx2 v[74:75], v[72:73], off
	s_or_b32 exec_lo, exec_lo, s90
	s_and_saveexec_b32 s90, s73
	s_cbranch_execz .LBB77_68
.LBB77_128:                             ;   in Loop: Header=BB77_21 Depth=1
	v_add_co_u32 v72, vcc_lo, v45, v62
	v_add_co_ci_u32_e64 v73, null, 0, v71, vcc_lo
	v_add_co_u32 v74, vcc_lo, v60, v29
	v_add_co_ci_u32_e64 v75, null, v61, v30, vcc_lo
	;; [unrolled: 2-line block ×4, first 2 shown]
	v_cndmask_b32_e64 v72, v74, v72, s0
	v_add_co_u32 v74, vcc_lo, v43, v46
	v_cndmask_b32_e64 v73, v75, v73, s0
	v_add_co_ci_u32_e64 v75, null, 0, v44, vcc_lo
	global_load_dwordx2 v[72:73], v[72:73], off
	v_lshlrev_b64 v[76:77], 2, v[74:75]
	v_lshlrev_b64 v[74:75], 3, v[74:75]
	v_add_co_u32 v76, vcc_lo, s30, v76
	v_add_co_ci_u32_e64 v77, null, s31, v77, vcc_lo
	v_add_co_u32 v74, vcc_lo, s26, v74
	v_add_co_ci_u32_e64 v75, null, s27, v75, vcc_lo
	global_store_dword v[76:77], v70, off offset:128
	s_waitcnt vmcnt(0)
	global_store_dwordx2 v[74:75], v[72:73], off offset:256
	s_or_b32 exec_lo, exec_lo, s90
	s_and_saveexec_b32 s90, s74
	s_cbranch_execz .LBB77_69
.LBB77_129:                             ;   in Loop: Header=BB77_21 Depth=1
	v_add_co_u32 v72, vcc_lo, v45, v62
	v_add_co_ci_u32_e64 v73, null, 0, v71, vcc_lo
	v_add_co_u32 v74, vcc_lo, v60, v31
	v_add_co_ci_u32_e64 v75, null, v61, v32, vcc_lo
	;; [unrolled: 2-line block ×4, first 2 shown]
	v_cndmask_b32_e64 v72, v74, v72, s0
	v_add_co_u32 v74, vcc_lo, v43, v46
	v_cndmask_b32_e64 v73, v75, v73, s0
	v_add_co_ci_u32_e64 v75, null, 0, v44, vcc_lo
	global_load_dwordx2 v[72:73], v[72:73], off
	v_lshlrev_b64 v[76:77], 2, v[74:75]
	v_lshlrev_b64 v[74:75], 3, v[74:75]
	v_add_co_u32 v76, vcc_lo, s30, v76
	v_add_co_ci_u32_e64 v77, null, s31, v77, vcc_lo
	v_add_co_u32 v74, vcc_lo, s26, v74
	v_add_co_ci_u32_e64 v75, null, s27, v75, vcc_lo
	global_store_dword v[76:77], v69, off offset:256
	s_waitcnt vmcnt(0)
	global_store_dwordx2 v[74:75], v[72:73], off offset:512
	s_or_b32 exec_lo, exec_lo, s90
	s_and_saveexec_b32 s90, s75
	s_cbranch_execz .LBB77_70
.LBB77_130:                             ;   in Loop: Header=BB77_21 Depth=1
	v_add_co_u32 v72, vcc_lo, v45, v62
	v_add_co_ci_u32_e64 v73, null, 0, v71, vcc_lo
	v_add_co_u32 v74, vcc_lo, v60, v33
	v_add_co_ci_u32_e64 v75, null, v61, v34, vcc_lo
	;; [unrolled: 2-line block ×4, first 2 shown]
	v_cndmask_b32_e64 v72, v74, v72, s0
	v_add_co_u32 v74, vcc_lo, v43, v46
	v_cndmask_b32_e64 v73, v75, v73, s0
	v_add_co_ci_u32_e64 v75, null, 0, v44, vcc_lo
	global_load_dwordx2 v[72:73], v[72:73], off
	v_lshlrev_b64 v[76:77], 2, v[74:75]
	v_lshlrev_b64 v[74:75], 3, v[74:75]
	v_add_co_u32 v76, vcc_lo, s30, v76
	v_add_co_ci_u32_e64 v77, null, s31, v77, vcc_lo
	v_add_co_u32 v74, vcc_lo, s26, v74
	v_add_co_ci_u32_e64 v75, null, s27, v75, vcc_lo
	global_store_dword v[76:77], v67, off offset:384
	s_waitcnt vmcnt(0)
	global_store_dwordx2 v[74:75], v[72:73], off offset:768
	s_or_b32 exec_lo, exec_lo, s90
	s_and_saveexec_b32 s90, s76
	s_cbranch_execz .LBB77_71
.LBB77_131:                             ;   in Loop: Header=BB77_21 Depth=1
	v_add_co_u32 v72, vcc_lo, v45, v62
	v_add_co_ci_u32_e64 v73, null, 0, v71, vcc_lo
	v_add_co_u32 v74, vcc_lo, v60, v35
	v_add_co_ci_u32_e64 v75, null, v61, v36, vcc_lo
	;; [unrolled: 2-line block ×4, first 2 shown]
	v_cndmask_b32_e64 v72, v74, v72, s0
	v_add_co_u32 v74, vcc_lo, v43, v46
	v_cndmask_b32_e64 v73, v75, v73, s0
	v_add_co_ci_u32_e64 v75, null, 0, v44, vcc_lo
	global_load_dwordx2 v[72:73], v[72:73], off
	v_lshlrev_b64 v[76:77], 2, v[74:75]
	v_lshlrev_b64 v[74:75], 3, v[74:75]
	v_add_co_u32 v76, vcc_lo, s30, v76
	v_add_co_ci_u32_e64 v77, null, s31, v77, vcc_lo
	v_add_co_u32 v74, vcc_lo, s26, v74
	v_add_co_ci_u32_e64 v75, null, s27, v75, vcc_lo
	global_store_dword v[76:77], v66, off offset:512
	s_waitcnt vmcnt(0)
	global_store_dwordx2 v[74:75], v[72:73], off offset:1024
	s_or_b32 exec_lo, exec_lo, s90
	s_and_saveexec_b32 s90, s77
	s_cbranch_execz .LBB77_72
.LBB77_132:                             ;   in Loop: Header=BB77_21 Depth=1
	v_add_co_u32 v72, vcc_lo, v45, v62
	v_add_co_ci_u32_e64 v73, null, 0, v71, vcc_lo
	v_add_co_u32 v74, vcc_lo, v60, v37
	v_add_co_ci_u32_e64 v75, null, v61, v38, vcc_lo
	v_cndmask_b32_e64 v72, v74, v72, s0
	v_add_co_u32 v74, vcc_lo, v43, v46
	v_cndmask_b32_e64 v73, v75, v73, s0
	v_add_co_ci_u32_e64 v75, null, 0, v44, vcc_lo
	global_load_dwordx2 v[72:73], v[72:73], off offset:1280
	v_lshlrev_b64 v[76:77], 2, v[74:75]
	v_lshlrev_b64 v[74:75], 3, v[74:75]
	v_add_co_u32 v76, vcc_lo, s30, v76
	v_add_co_ci_u32_e64 v77, null, s31, v77, vcc_lo
	v_add_co_u32 v74, vcc_lo, s26, v74
	v_add_co_ci_u32_e64 v75, null, s27, v75, vcc_lo
	global_store_dword v[76:77], v64, off offset:640
	s_waitcnt vmcnt(0)
	global_store_dwordx2 v[74:75], v[72:73], off offset:1280
	s_or_b32 exec_lo, exec_lo, s90
	s_and_saveexec_b32 s90, s78
	s_cbranch_execz .LBB77_73
.LBB77_133:                             ;   in Loop: Header=BB77_21 Depth=1
	v_add_co_u32 v72, vcc_lo, v45, v62
	v_add_co_ci_u32_e64 v73, null, 0, v71, vcc_lo
	v_add_co_u32 v74, vcc_lo, v60, v39
	v_add_co_ci_u32_e64 v75, null, v61, v40, vcc_lo
	;; [unrolled: 2-line block ×4, first 2 shown]
	v_cndmask_b32_e64 v72, v74, v72, s0
	v_add_co_u32 v74, vcc_lo, v43, v46
	v_cndmask_b32_e64 v73, v75, v73, s0
	v_add_co_ci_u32_e64 v75, null, 0, v44, vcc_lo
	global_load_dwordx2 v[72:73], v[72:73], off
	v_lshlrev_b64 v[76:77], 2, v[74:75]
	v_lshlrev_b64 v[74:75], 3, v[74:75]
	v_add_co_u32 v76, vcc_lo, s30, v76
	v_add_co_ci_u32_e64 v77, null, s31, v77, vcc_lo
	v_add_co_u32 v74, vcc_lo, s26, v74
	v_add_co_ci_u32_e64 v75, null, s27, v75, vcc_lo
	global_store_dword v[76:77], v63, off offset:768
	s_waitcnt vmcnt(0)
	global_store_dwordx2 v[74:75], v[72:73], off offset:1536
	s_or_b32 exec_lo, exec_lo, s90
	s_and_saveexec_b32 s90, s7
	s_cbranch_execnz .LBB77_74
	s_branch .LBB77_75
.LBB77_134:                             ;   in Loop: Header=BB77_21 Depth=1
	v_add_co_u32 v72, vcc_lo, v60, v27
	v_add_co_ci_u32_e64 v73, null, v61, v28, vcc_lo
	v_add_co_u32 v74, vcc_lo, v45, v62
	v_add_co_ci_u32_e64 v75, null, 0, v71, vcc_lo
	;; [unrolled: 2-line block ×3, first 2 shown]
	v_cndmask_b32_e64 v72, v72, v74, s0
	v_add_co_u32 v74, vcc_lo, v43, v46
	v_cndmask_b32_e64 v73, v73, v75, s0
	v_add_co_ci_u32_e64 v75, null, 0, v44, vcc_lo
	global_load_dwordx2 v[72:73], v[72:73], off
	v_lshlrev_b64 v[76:77], 2, v[74:75]
	v_lshlrev_b64 v[74:75], 3, v[74:75]
	v_add_co_u32 v76, vcc_lo, s30, v76
	v_add_co_ci_u32_e64 v77, null, s31, v77, vcc_lo
	v_add_co_u32 v74, vcc_lo, s26, v74
	v_add_co_ci_u32_e64 v75, null, s27, v75, vcc_lo
	global_store_dword v[76:77], v68, off
	s_waitcnt vmcnt(0)
	global_store_dwordx2 v[74:75], v[72:73], off
	s_or_b32 exec_lo, exec_lo, s90
	s_and_saveexec_b32 s90, s80
	s_cbranch_execz .LBB77_77
.LBB77_135:                             ;   in Loop: Header=BB77_21 Depth=1
	v_add_co_u32 v72, vcc_lo, v45, v62
	v_add_co_ci_u32_e64 v73, null, 0, v71, vcc_lo
	v_add_co_u32 v74, vcc_lo, v60, v29
	v_add_co_ci_u32_e64 v75, null, v61, v30, vcc_lo
	;; [unrolled: 2-line block ×4, first 2 shown]
	v_cndmask_b32_e64 v72, v74, v72, s0
	v_add_co_u32 v74, vcc_lo, v43, v46
	v_cndmask_b32_e64 v73, v75, v73, s0
	v_add_co_ci_u32_e64 v75, null, 0, v44, vcc_lo
	global_load_dwordx2 v[72:73], v[72:73], off
	v_lshlrev_b64 v[76:77], 2, v[74:75]
	v_lshlrev_b64 v[74:75], 3, v[74:75]
	v_add_co_u32 v76, vcc_lo, s30, v76
	v_add_co_ci_u32_e64 v77, null, s31, v77, vcc_lo
	v_add_co_u32 v74, vcc_lo, s26, v74
	v_add_co_ci_u32_e64 v75, null, s27, v75, vcc_lo
	global_store_dword v[76:77], v70, off offset:128
	s_waitcnt vmcnt(0)
	global_store_dwordx2 v[74:75], v[72:73], off offset:256
	s_or_b32 exec_lo, exec_lo, s90
	s_and_saveexec_b32 s90, s81
	s_cbranch_execz .LBB77_78
.LBB77_136:                             ;   in Loop: Header=BB77_21 Depth=1
	v_add_co_u32 v72, vcc_lo, v45, v62
	v_add_co_ci_u32_e64 v73, null, 0, v71, vcc_lo
	v_add_co_u32 v74, vcc_lo, v60, v31
	v_add_co_ci_u32_e64 v75, null, v61, v32, vcc_lo
	;; [unrolled: 2-line block ×4, first 2 shown]
	v_cndmask_b32_e64 v72, v74, v72, s0
	v_add_co_u32 v74, vcc_lo, v43, v46
	v_cndmask_b32_e64 v73, v75, v73, s0
	v_add_co_ci_u32_e64 v75, null, 0, v44, vcc_lo
	global_load_dwordx2 v[72:73], v[72:73], off
	v_lshlrev_b64 v[76:77], 2, v[74:75]
	v_lshlrev_b64 v[74:75], 3, v[74:75]
	v_add_co_u32 v76, vcc_lo, s30, v76
	v_add_co_ci_u32_e64 v77, null, s31, v77, vcc_lo
	v_add_co_u32 v74, vcc_lo, s26, v74
	v_add_co_ci_u32_e64 v75, null, s27, v75, vcc_lo
	global_store_dword v[76:77], v69, off offset:256
	s_waitcnt vmcnt(0)
	global_store_dwordx2 v[74:75], v[72:73], off offset:512
	s_or_b32 exec_lo, exec_lo, s90
	s_and_saveexec_b32 s90, s82
	s_cbranch_execz .LBB77_79
.LBB77_137:                             ;   in Loop: Header=BB77_21 Depth=1
	v_add_co_u32 v72, vcc_lo, v45, v62
	v_add_co_ci_u32_e64 v73, null, 0, v71, vcc_lo
	v_add_co_u32 v74, vcc_lo, v60, v33
	v_add_co_ci_u32_e64 v75, null, v61, v34, vcc_lo
	;; [unrolled: 2-line block ×4, first 2 shown]
	v_cndmask_b32_e64 v72, v74, v72, s0
	v_add_co_u32 v74, vcc_lo, v43, v46
	v_cndmask_b32_e64 v73, v75, v73, s0
	v_add_co_ci_u32_e64 v75, null, 0, v44, vcc_lo
	global_load_dwordx2 v[72:73], v[72:73], off
	v_lshlrev_b64 v[76:77], 2, v[74:75]
	v_lshlrev_b64 v[74:75], 3, v[74:75]
	v_add_co_u32 v76, vcc_lo, s30, v76
	v_add_co_ci_u32_e64 v77, null, s31, v77, vcc_lo
	v_add_co_u32 v74, vcc_lo, s26, v74
	v_add_co_ci_u32_e64 v75, null, s27, v75, vcc_lo
	global_store_dword v[76:77], v67, off offset:384
	s_waitcnt vmcnt(0)
	global_store_dwordx2 v[74:75], v[72:73], off offset:768
	s_or_b32 exec_lo, exec_lo, s90
	s_and_saveexec_b32 s90, s83
	s_cbranch_execz .LBB77_80
.LBB77_138:                             ;   in Loop: Header=BB77_21 Depth=1
	v_add_co_u32 v72, vcc_lo, v45, v62
	v_add_co_ci_u32_e64 v73, null, 0, v71, vcc_lo
	v_add_co_u32 v74, vcc_lo, v60, v35
	v_add_co_ci_u32_e64 v75, null, v61, v36, vcc_lo
	;; [unrolled: 2-line block ×4, first 2 shown]
	v_cndmask_b32_e64 v72, v74, v72, s0
	v_add_co_u32 v74, vcc_lo, v43, v46
	v_cndmask_b32_e64 v73, v75, v73, s0
	v_add_co_ci_u32_e64 v75, null, 0, v44, vcc_lo
	global_load_dwordx2 v[72:73], v[72:73], off
	v_lshlrev_b64 v[76:77], 2, v[74:75]
	v_lshlrev_b64 v[74:75], 3, v[74:75]
	v_add_co_u32 v76, vcc_lo, s30, v76
	v_add_co_ci_u32_e64 v77, null, s31, v77, vcc_lo
	v_add_co_u32 v74, vcc_lo, s26, v74
	v_add_co_ci_u32_e64 v75, null, s27, v75, vcc_lo
	global_store_dword v[76:77], v66, off offset:512
	s_waitcnt vmcnt(0)
	global_store_dwordx2 v[74:75], v[72:73], off offset:1024
	s_or_b32 exec_lo, exec_lo, s90
	s_and_saveexec_b32 s90, s84
	s_cbranch_execz .LBB77_81
.LBB77_139:                             ;   in Loop: Header=BB77_21 Depth=1
	v_add_co_u32 v72, vcc_lo, v45, v62
	v_add_co_ci_u32_e64 v73, null, 0, v71, vcc_lo
	v_add_co_u32 v74, vcc_lo, v60, v37
	v_add_co_ci_u32_e64 v75, null, v61, v38, vcc_lo
	;; [unrolled: 2-line block ×4, first 2 shown]
	v_cndmask_b32_e64 v72, v74, v72, s0
	v_add_co_u32 v74, vcc_lo, v43, v46
	v_cndmask_b32_e64 v73, v75, v73, s0
	v_add_co_ci_u32_e64 v75, null, 0, v44, vcc_lo
	global_load_dwordx2 v[72:73], v[72:73], off
	v_lshlrev_b64 v[76:77], 2, v[74:75]
	v_lshlrev_b64 v[74:75], 3, v[74:75]
	v_add_co_u32 v76, vcc_lo, s30, v76
	v_add_co_ci_u32_e64 v77, null, s31, v77, vcc_lo
	v_add_co_u32 v74, vcc_lo, s26, v74
	v_add_co_ci_u32_e64 v75, null, s27, v75, vcc_lo
	global_store_dword v[76:77], v64, off offset:640
	s_waitcnt vmcnt(0)
	global_store_dwordx2 v[74:75], v[72:73], off offset:1280
	s_or_b32 exec_lo, exec_lo, s90
	s_and_saveexec_b32 s90, s85
	s_cbranch_execz .LBB77_82
.LBB77_140:                             ;   in Loop: Header=BB77_21 Depth=1
	v_add_co_u32 v72, vcc_lo, v45, v62
	v_add_co_ci_u32_e64 v73, null, 0, v71, vcc_lo
	v_add_co_u32 v74, vcc_lo, v60, v39
	v_add_co_ci_u32_e64 v75, null, v61, v40, vcc_lo
	v_cndmask_b32_e64 v72, v74, v72, s0
	v_add_co_u32 v74, vcc_lo, v43, v46
	v_cndmask_b32_e64 v73, v75, v73, s0
	v_add_co_ci_u32_e64 v75, null, 0, v44, vcc_lo
	global_load_dwordx2 v[72:73], v[72:73], off offset:1536
	v_lshlrev_b64 v[76:77], 2, v[74:75]
	v_lshlrev_b64 v[74:75], 3, v[74:75]
	v_add_co_u32 v76, vcc_lo, s30, v76
	v_add_co_ci_u32_e64 v77, null, s31, v77, vcc_lo
	v_add_co_u32 v74, vcc_lo, s26, v74
	v_add_co_ci_u32_e64 v75, null, s27, v75, vcc_lo
	global_store_dword v[76:77], v63, off offset:768
	s_waitcnt vmcnt(0)
	global_store_dwordx2 v[74:75], v[72:73], off offset:1536
	s_or_b32 exec_lo, exec_lo, s90
	s_and_saveexec_b32 s90, s10
	s_cbranch_execnz .LBB77_83
	s_branch .LBB77_84
.LBB77_141:                             ;   in Loop: Header=BB77_21 Depth=1
	v_add_co_u32 v72, vcc_lo, v60, v27
	v_add_co_ci_u32_e64 v73, null, v61, v28, vcc_lo
	v_add_co_u32 v74, vcc_lo, v45, v62
	v_add_co_ci_u32_e64 v75, null, 0, v71, vcc_lo
	;; [unrolled: 2-line block ×3, first 2 shown]
	v_cndmask_b32_e64 v72, v72, v74, s0
	v_add_co_u32 v74, vcc_lo, v43, v46
	v_cndmask_b32_e64 v73, v73, v75, s0
	v_add_co_ci_u32_e64 v75, null, 0, v44, vcc_lo
	global_load_dwordx2 v[72:73], v[72:73], off
	v_lshlrev_b64 v[76:77], 2, v[74:75]
	v_lshlrev_b64 v[74:75], 3, v[74:75]
	v_add_co_u32 v76, vcc_lo, s30, v76
	v_add_co_ci_u32_e64 v77, null, s31, v77, vcc_lo
	v_add_co_u32 v74, vcc_lo, s26, v74
	v_add_co_ci_u32_e64 v75, null, s27, v75, vcc_lo
	global_store_dword v[76:77], v68, off
	s_waitcnt vmcnt(0)
	global_store_dwordx2 v[74:75], v[72:73], off
	s_or_b32 exec_lo, exec_lo, s9
	s_and_saveexec_b32 s9, s11
	s_cbranch_execz .LBB77_86
.LBB77_142:                             ;   in Loop: Header=BB77_21 Depth=1
	v_add_co_u32 v68, vcc_lo, v45, v62
	v_add_co_ci_u32_e64 v72, null, 0, v71, vcc_lo
	v_add_co_u32 v73, vcc_lo, v60, v29
	v_add_co_ci_u32_e64 v74, null, v61, v30, vcc_lo
	;; [unrolled: 2-line block ×4, first 2 shown]
	v_add_co_u32 v74, vcc_lo, v43, v46
	v_cndmask_b32_e64 v73, v73, v72, s0
	v_cndmask_b32_e64 v72, v75, v68, s0
	v_add_co_ci_u32_e64 v75, null, 0, v44, vcc_lo
	global_load_dwordx2 v[72:73], v[72:73], off
	v_lshlrev_b64 v[76:77], 2, v[74:75]
	v_lshlrev_b64 v[74:75], 3, v[74:75]
	v_add_co_u32 v76, vcc_lo, s30, v76
	v_add_co_ci_u32_e64 v77, null, s31, v77, vcc_lo
	v_add_co_u32 v74, vcc_lo, s26, v74
	v_add_co_ci_u32_e64 v75, null, s27, v75, vcc_lo
	global_store_dword v[76:77], v70, off offset:128
	s_waitcnt vmcnt(0)
	global_store_dwordx2 v[74:75], v[72:73], off offset:256
	s_or_b32 exec_lo, exec_lo, s9
	s_and_saveexec_b32 s9, s12
	s_cbranch_execz .LBB77_87
.LBB77_143:                             ;   in Loop: Header=BB77_21 Depth=1
	v_add_co_u32 v68, vcc_lo, v45, v62
	v_add_co_ci_u32_e64 v70, null, 0, v71, vcc_lo
	v_add_co_u32 v72, vcc_lo, v60, v31
	v_add_co_ci_u32_e64 v73, null, v61, v32, vcc_lo
	v_add_co_u32 v68, vcc_lo, 0x200, v68
	v_add_co_ci_u32_e64 v70, null, 0, v70, vcc_lo
	v_add_co_u32 v72, vcc_lo, 0x700, v72
	v_add_co_ci_u32_e64 v73, null, 0, v73, vcc_lo
	v_add_co_u32 v74, vcc_lo, v43, v46
	v_cndmask_b32_e64 v72, v72, v68, s0
	v_cndmask_b32_e64 v73, v73, v70, s0
	v_add_co_ci_u32_e64 v75, null, 0, v44, vcc_lo
	global_load_dwordx2 v[72:73], v[72:73], off
	v_lshlrev_b64 v[76:77], 2, v[74:75]
	v_lshlrev_b64 v[74:75], 3, v[74:75]
	v_add_co_u32 v76, vcc_lo, s30, v76
	v_add_co_ci_u32_e64 v77, null, s31, v77, vcc_lo
	v_add_co_u32 v74, vcc_lo, s26, v74
	v_add_co_ci_u32_e64 v75, null, s27, v75, vcc_lo
	global_store_dword v[76:77], v69, off offset:256
	s_waitcnt vmcnt(0)
	global_store_dwordx2 v[74:75], v[72:73], off offset:512
	s_or_b32 exec_lo, exec_lo, s9
	s_and_saveexec_b32 s9, s13
	s_cbranch_execz .LBB77_88
.LBB77_144:                             ;   in Loop: Header=BB77_21 Depth=1
	v_add_co_u32 v68, vcc_lo, v45, v62
	v_add_co_ci_u32_e64 v69, null, 0, v71, vcc_lo
	v_add_co_u32 v70, vcc_lo, v60, v33
	v_add_co_ci_u32_e64 v72, null, v61, v34, vcc_lo
	;; [unrolled: 2-line block ×4, first 2 shown]
	v_cndmask_b32_e64 v68, v70, v68, s0
	v_cndmask_b32_e64 v69, v72, v69, s0
	v_add_co_u32 v72, vcc_lo, v43, v46
	v_add_co_ci_u32_e64 v73, null, 0, v44, vcc_lo
	global_load_dwordx2 v[68:69], v[68:69], off
	v_lshlrev_b64 v[74:75], 2, v[72:73]
	v_lshlrev_b64 v[72:73], 3, v[72:73]
	v_add_co_u32 v74, vcc_lo, s30, v74
	v_add_co_ci_u32_e64 v75, null, s31, v75, vcc_lo
	v_add_co_u32 v72, vcc_lo, s26, v72
	v_add_co_ci_u32_e64 v73, null, s27, v73, vcc_lo
	global_store_dword v[74:75], v67, off offset:384
	s_waitcnt vmcnt(0)
	global_store_dwordx2 v[72:73], v[68:69], off offset:768
	s_or_b32 exec_lo, exec_lo, s9
	s_and_saveexec_b32 s9, s14
	s_cbranch_execz .LBB77_89
.LBB77_145:                             ;   in Loop: Header=BB77_21 Depth=1
	v_add_co_u32 v67, vcc_lo, v45, v62
	v_add_co_ci_u32_e64 v68, null, 0, v71, vcc_lo
	v_add_co_u32 v69, vcc_lo, v60, v35
	v_add_co_ci_u32_e64 v70, null, v61, v36, vcc_lo
	;; [unrolled: 2-line block ×4, first 2 shown]
	v_cndmask_b32_e64 v67, v69, v67, s0
	v_add_co_u32 v69, vcc_lo, v43, v46
	v_cndmask_b32_e64 v68, v70, v68, s0
	v_add_co_ci_u32_e64 v70, null, 0, v44, vcc_lo
	global_load_dwordx2 v[67:68], v[67:68], off
	v_lshlrev_b64 v[72:73], 2, v[69:70]
	v_lshlrev_b64 v[69:70], 3, v[69:70]
	v_add_co_u32 v72, vcc_lo, s30, v72
	v_add_co_ci_u32_e64 v73, null, s31, v73, vcc_lo
	v_add_co_u32 v69, vcc_lo, s26, v69
	v_add_co_ci_u32_e64 v70, null, s27, v70, vcc_lo
	global_store_dword v[72:73], v66, off offset:512
	s_waitcnt vmcnt(0)
	global_store_dwordx2 v[69:70], v[67:68], off offset:1024
	s_or_b32 exec_lo, exec_lo, s9
	s_and_saveexec_b32 s9, s15
	s_cbranch_execz .LBB77_90
.LBB77_146:                             ;   in Loop: Header=BB77_21 Depth=1
	v_add_co_u32 v66, vcc_lo, v45, v62
	v_add_co_ci_u32_e64 v67, null, 0, v71, vcc_lo
	v_add_co_u32 v68, vcc_lo, v60, v37
	v_add_co_ci_u32_e64 v69, null, v61, v38, vcc_lo
	;; [unrolled: 2-line block ×4, first 2 shown]
	v_cndmask_b32_e64 v66, v68, v66, s0
	v_add_co_u32 v68, vcc_lo, v43, v46
	v_cndmask_b32_e64 v67, v69, v67, s0
	v_add_co_ci_u32_e64 v69, null, 0, v44, vcc_lo
	global_load_dwordx2 v[66:67], v[66:67], off
	v_lshlrev_b64 v[72:73], 2, v[68:69]
	v_lshlrev_b64 v[68:69], 3, v[68:69]
	v_add_co_u32 v72, vcc_lo, s30, v72
	v_add_co_ci_u32_e64 v73, null, s31, v73, vcc_lo
	v_add_co_u32 v68, vcc_lo, s26, v68
	v_add_co_ci_u32_e64 v69, null, s27, v69, vcc_lo
	global_store_dword v[72:73], v64, off offset:640
	s_waitcnt vmcnt(0)
	global_store_dwordx2 v[68:69], v[66:67], off offset:1280
	s_or_b32 exec_lo, exec_lo, s9
	s_and_saveexec_b32 s9, s4
	s_cbranch_execz .LBB77_91
.LBB77_147:                             ;   in Loop: Header=BB77_21 Depth=1
	v_add_co_u32 v64, vcc_lo, v45, v62
	v_add_co_ci_u32_e64 v66, null, 0, v71, vcc_lo
	v_add_co_u32 v67, vcc_lo, v60, v39
	v_add_co_ci_u32_e64 v68, null, v61, v40, vcc_lo
	;; [unrolled: 2-line block ×4, first 2 shown]
	v_add_co_u32 v68, vcc_lo, v43, v46
	v_cndmask_b32_e64 v67, v67, v66, s0
	v_cndmask_b32_e64 v66, v69, v64, s0
	v_add_co_ci_u32_e64 v69, null, 0, v44, vcc_lo
	global_load_dwordx2 v[66:67], v[66:67], off
	v_lshlrev_b64 v[72:73], 2, v[68:69]
	v_lshlrev_b64 v[68:69], 3, v[68:69]
	v_add_co_u32 v72, vcc_lo, s30, v72
	v_add_co_ci_u32_e64 v73, null, s31, v73, vcc_lo
	v_add_co_u32 v68, vcc_lo, s26, v68
	v_add_co_ci_u32_e64 v69, null, s27, v69, vcc_lo
	global_store_dword v[72:73], v63, off offset:768
	s_waitcnt vmcnt(0)
	global_store_dwordx2 v[68:69], v[66:67], off offset:1536
	s_or_b32 exec_lo, exec_lo, s9
	s_and_saveexec_b32 s9, s5
	s_cbranch_execz .LBB77_20
.LBB77_148:                             ;   in Loop: Header=BB77_21 Depth=1
	v_add_co_u32 v45, vcc_lo, v45, v62
	v_add_co_ci_u32_e64 v62, null, 0, v71, vcc_lo
	v_add_co_u32 v60, vcc_lo, v60, v41
	v_add_co_ci_u32_e64 v61, null, v61, v42, vcc_lo
	v_add_co_u32 v43, vcc_lo, v43, v46
	v_cndmask_b32_e64 v60, v60, v45, s0
	v_cndmask_b32_e64 v61, v61, v62, s0
	v_add_co_ci_u32_e64 v44, null, 0, v44, vcc_lo
	global_load_dwordx2 v[60:61], v[60:61], off offset:1792
	v_lshlrev_b64 v[62:63], 2, v[43:44]
	v_lshlrev_b64 v[43:44], 3, v[43:44]
	v_add_co_u32 v62, vcc_lo, s30, v62
	v_add_co_ci_u32_e64 v63, null, s31, v63, vcc_lo
	v_add_co_u32 v43, vcc_lo, s26, v43
	v_add_co_ci_u32_e64 v44, null, s27, v44, vcc_lo
	global_store_dword v[62:63], v65, off offset:896
	s_waitcnt vmcnt(0)
	global_store_dwordx2 v[43:44], v[60:61], off offset:1792
	s_branch .LBB77_20
.LBB77_149:
	s_endpgm
	.section	.rodata,"a",@progbits
	.p2align	6, 0x0
	.amdhsa_kernel _ZN9rocsparseL35bsr2csr_block_per_row_33_256_kernelILj1024ELj256ELj32ElliEEv20rocsparse_direction_T4_S2_21rocsparse_index_base_PKT2_PKT3_PKS2_S2_S3_PS4_PS7_PS2_
		.amdhsa_group_segment_fixed_size 0
		.amdhsa_private_segment_fixed_size 0
		.amdhsa_kernarg_size 72
		.amdhsa_user_sgpr_count 6
		.amdhsa_user_sgpr_private_segment_buffer 1
		.amdhsa_user_sgpr_dispatch_ptr 0
		.amdhsa_user_sgpr_queue_ptr 0
		.amdhsa_user_sgpr_kernarg_segment_ptr 1
		.amdhsa_user_sgpr_dispatch_id 0
		.amdhsa_user_sgpr_flat_scratch_init 0
		.amdhsa_user_sgpr_private_segment_size 0
		.amdhsa_wavefront_size32 1
		.amdhsa_uses_dynamic_stack 0
		.amdhsa_system_sgpr_private_segment_wavefront_offset 0
		.amdhsa_system_sgpr_workgroup_id_x 1
		.amdhsa_system_sgpr_workgroup_id_y 0
		.amdhsa_system_sgpr_workgroup_id_z 0
		.amdhsa_system_sgpr_workgroup_info 0
		.amdhsa_system_vgpr_workitem_id 0
		.amdhsa_next_free_vgpr 78
		.amdhsa_next_free_sgpr 92
		.amdhsa_reserve_vcc 1
		.amdhsa_reserve_flat_scratch 0
		.amdhsa_float_round_mode_32 0
		.amdhsa_float_round_mode_16_64 0
		.amdhsa_float_denorm_mode_32 3
		.amdhsa_float_denorm_mode_16_64 3
		.amdhsa_dx10_clamp 1
		.amdhsa_ieee_mode 1
		.amdhsa_fp16_overflow 0
		.amdhsa_workgroup_processor_mode 1
		.amdhsa_memory_ordered 1
		.amdhsa_forward_progress 1
		.amdhsa_shared_vgpr_count 0
		.amdhsa_exception_fp_ieee_invalid_op 0
		.amdhsa_exception_fp_denorm_src 0
		.amdhsa_exception_fp_ieee_div_zero 0
		.amdhsa_exception_fp_ieee_overflow 0
		.amdhsa_exception_fp_ieee_underflow 0
		.amdhsa_exception_fp_ieee_inexact 0
		.amdhsa_exception_int_div_zero 0
	.end_amdhsa_kernel
	.section	.text._ZN9rocsparseL35bsr2csr_block_per_row_33_256_kernelILj1024ELj256ELj32ElliEEv20rocsparse_direction_T4_S2_21rocsparse_index_base_PKT2_PKT3_PKS2_S2_S3_PS4_PS7_PS2_,"axG",@progbits,_ZN9rocsparseL35bsr2csr_block_per_row_33_256_kernelILj1024ELj256ELj32ElliEEv20rocsparse_direction_T4_S2_21rocsparse_index_base_PKT2_PKT3_PKS2_S2_S3_PS4_PS7_PS2_,comdat
.Lfunc_end77:
	.size	_ZN9rocsparseL35bsr2csr_block_per_row_33_256_kernelILj1024ELj256ELj32ElliEEv20rocsparse_direction_T4_S2_21rocsparse_index_base_PKT2_PKT3_PKS2_S2_S3_PS4_PS7_PS2_, .Lfunc_end77-_ZN9rocsparseL35bsr2csr_block_per_row_33_256_kernelILj1024ELj256ELj32ElliEEv20rocsparse_direction_T4_S2_21rocsparse_index_base_PKT2_PKT3_PKS2_S2_S3_PS4_PS7_PS2_
                                        ; -- End function
	.set _ZN9rocsparseL35bsr2csr_block_per_row_33_256_kernelILj1024ELj256ELj32ElliEEv20rocsparse_direction_T4_S2_21rocsparse_index_base_PKT2_PKT3_PKS2_S2_S3_PS4_PS7_PS2_.num_vgpr, 78
	.set _ZN9rocsparseL35bsr2csr_block_per_row_33_256_kernelILj1024ELj256ELj32ElliEEv20rocsparse_direction_T4_S2_21rocsparse_index_base_PKT2_PKT3_PKS2_S2_S3_PS4_PS7_PS2_.num_agpr, 0
	.set _ZN9rocsparseL35bsr2csr_block_per_row_33_256_kernelILj1024ELj256ELj32ElliEEv20rocsparse_direction_T4_S2_21rocsparse_index_base_PKT2_PKT3_PKS2_S2_S3_PS4_PS7_PS2_.numbered_sgpr, 92
	.set _ZN9rocsparseL35bsr2csr_block_per_row_33_256_kernelILj1024ELj256ELj32ElliEEv20rocsparse_direction_T4_S2_21rocsparse_index_base_PKT2_PKT3_PKS2_S2_S3_PS4_PS7_PS2_.num_named_barrier, 0
	.set _ZN9rocsparseL35bsr2csr_block_per_row_33_256_kernelILj1024ELj256ELj32ElliEEv20rocsparse_direction_T4_S2_21rocsparse_index_base_PKT2_PKT3_PKS2_S2_S3_PS4_PS7_PS2_.private_seg_size, 0
	.set _ZN9rocsparseL35bsr2csr_block_per_row_33_256_kernelILj1024ELj256ELj32ElliEEv20rocsparse_direction_T4_S2_21rocsparse_index_base_PKT2_PKT3_PKS2_S2_S3_PS4_PS7_PS2_.uses_vcc, 1
	.set _ZN9rocsparseL35bsr2csr_block_per_row_33_256_kernelILj1024ELj256ELj32ElliEEv20rocsparse_direction_T4_S2_21rocsparse_index_base_PKT2_PKT3_PKS2_S2_S3_PS4_PS7_PS2_.uses_flat_scratch, 0
	.set _ZN9rocsparseL35bsr2csr_block_per_row_33_256_kernelILj1024ELj256ELj32ElliEEv20rocsparse_direction_T4_S2_21rocsparse_index_base_PKT2_PKT3_PKS2_S2_S3_PS4_PS7_PS2_.has_dyn_sized_stack, 0
	.set _ZN9rocsparseL35bsr2csr_block_per_row_33_256_kernelILj1024ELj256ELj32ElliEEv20rocsparse_direction_T4_S2_21rocsparse_index_base_PKT2_PKT3_PKS2_S2_S3_PS4_PS7_PS2_.has_recursion, 0
	.set _ZN9rocsparseL35bsr2csr_block_per_row_33_256_kernelILj1024ELj256ELj32ElliEEv20rocsparse_direction_T4_S2_21rocsparse_index_base_PKT2_PKT3_PKS2_S2_S3_PS4_PS7_PS2_.has_indirect_call, 0
	.section	.AMDGPU.csdata,"",@progbits
; Kernel info:
; codeLenInByte = 14788
; TotalNumSgprs: 94
; NumVgprs: 78
; ScratchSize: 0
; MemoryBound: 0
; FloatMode: 240
; IeeeMode: 1
; LDSByteSize: 0 bytes/workgroup (compile time only)
; SGPRBlocks: 0
; VGPRBlocks: 9
; NumSGPRsForWavesPerEU: 94
; NumVGPRsForWavesPerEU: 78
; Occupancy: 12
; WaveLimiterHint : 1
; COMPUTE_PGM_RSRC2:SCRATCH_EN: 0
; COMPUTE_PGM_RSRC2:USER_SGPR: 6
; COMPUTE_PGM_RSRC2:TRAP_HANDLER: 0
; COMPUTE_PGM_RSRC2:TGID_X_EN: 1
; COMPUTE_PGM_RSRC2:TGID_Y_EN: 0
; COMPUTE_PGM_RSRC2:TGID_Z_EN: 0
; COMPUTE_PGM_RSRC2:TIDIG_COMP_CNT: 0
	.section	.text._ZN9rocsparseL35bsr2csr_block_dim_equals_one_kernelILj1024ElilEEvT2_S1_21rocsparse_index_base_PKT0_PKT1_PKS1_S2_PS3_PS6_PS1_,"axG",@progbits,_ZN9rocsparseL35bsr2csr_block_dim_equals_one_kernelILj1024ElilEEvT2_S1_21rocsparse_index_base_PKT0_PKT1_PKS1_S2_PS3_PS6_PS1_,comdat
	.globl	_ZN9rocsparseL35bsr2csr_block_dim_equals_one_kernelILj1024ElilEEvT2_S1_21rocsparse_index_base_PKT0_PKT1_PKS1_S2_PS3_PS6_PS1_ ; -- Begin function _ZN9rocsparseL35bsr2csr_block_dim_equals_one_kernelILj1024ElilEEvT2_S1_21rocsparse_index_base_PKT0_PKT1_PKS1_S2_PS3_PS6_PS1_
	.p2align	8
	.type	_ZN9rocsparseL35bsr2csr_block_dim_equals_one_kernelILj1024ElilEEvT2_S1_21rocsparse_index_base_PKT0_PKT1_PKS1_S2_PS3_PS6_PS1_,@function
_ZN9rocsparseL35bsr2csr_block_dim_equals_one_kernelILj1024ElilEEvT2_S1_21rocsparse_index_base_PKT0_PKT1_PKS1_S2_PS3_PS6_PS1_: ; @_ZN9rocsparseL35bsr2csr_block_dim_equals_one_kernelILj1024ElilEEvT2_S1_21rocsparse_index_base_PKT0_PKT1_PKS1_S2_PS3_PS6_PS1_
; %bb.0:
	s_clause 0x6
	s_load_dwordx2 s[0:1], s[4:5], 0x0
	s_load_dword s16, s[4:5], 0x10
	s_load_dwordx4 s[8:11], s[4:5], 0x18
	s_load_dwordx2 s[2:3], s[4:5], 0x28
	s_load_dwordx2 s[12:13], s[4:5], 0x48
	s_load_dword s17, s[4:5], 0x30
	s_load_dwordx2 s[14:15], s[4:5], 0x38
	v_lshl_or_b32 v0, s6, 10, v0
	v_mov_b32_e32 v1, 0
	s_mov_b32 s18, exec_lo
	s_waitcnt lgkmcnt(0)
	v_cmpx_gt_i64_e64 s[0:1], v[0:1]
	s_cbranch_execz .LBB78_6
; %bb.1:
	s_load_dwordx2 s[6:7], s[4:5], 0x40
	s_mov_b32 s19, exec_lo
                                        ; implicit-def: $sgpr20
	v_cmpx_ne_u32_e32 0, v0
	s_xor_b32 s19, exec_lo, s19
; %bb.2:
	s_sub_i32 s20, s17, s16
; %bb.3:
	s_or_saveexec_b32 s19, s19
	v_mov_b32_e32 v2, s20
	s_xor_b32 exec_lo, exec_lo, s19
	s_cbranch_execz .LBB78_5
; %bb.4:
	s_load_dword s20, s[10:11], 0x0
	s_sub_i32 s21, s17, s16
	v_mov_b32_e32 v3, 0
	v_mov_b32_e32 v2, s21
	s_waitcnt lgkmcnt(0)
	s_add_i32 s20, s21, s20
	v_mov_b32_e32 v4, s20
	global_store_dword v3, v4, s[6:7]
.LBB78_5:
	s_or_b32 exec_lo, exec_lo, s19
	v_lshlrev_b64 v[3:4], 2, v[0:1]
	v_add_co_u32 v5, vcc_lo, s10, v3
	v_add_co_ci_u32_e64 v6, null, s11, v4, vcc_lo
	global_load_dword v5, v[5:6], off offset:4
	s_waitcnt vmcnt(0)
	v_add_nc_u32_e32 v5, v2, v5
	s_waitcnt lgkmcnt(0)
	v_add_co_u32 v2, vcc_lo, s6, v3
	v_add_co_ci_u32_e64 v3, null, s7, v4, vcc_lo
	global_store_dword v[2:3], v5, off offset:4
.LBB78_6:
	s_or_b32 exec_lo, exec_lo, s18
	s_lshl_b64 s[0:1], s[0:1], 2
	s_add_u32 s0, s10, s0
	s_addc_u32 s1, s11, s1
	s_clause 0x1
	s_load_dword s0, s[0:1], 0x0
	s_load_dword s1, s[10:11], 0x0
	s_waitcnt lgkmcnt(0)
	s_sub_i32 s6, s0, s1
	s_mov_b32 s0, exec_lo
	s_ashr_i32 s7, s6, 31
	v_cmpx_gt_i64_e64 s[6:7], v[0:1]
	s_cbranch_execz .LBB78_9
; %bb.7:
	s_load_dword s0, s[4:5], 0x50
	v_lshlrev_b64 v[2:3], 3, v[0:1]
	s_sub_u32 s16, s17, s16
	s_mov_b32 s5, 0
	s_subb_u32 s17, 0, 0
	s_waitcnt lgkmcnt(0)
	s_lshl_b32 s4, s0, 10
	s_lshl_b64 s[10:11], s[4:5], 3
	s_inst_prefetch 0x1
	.p2align	6
.LBB78_8:                               ; =>This Inner Loop Header: Depth=1
	v_add_co_u32 v4, vcc_lo, s2, v2
	v_add_co_ci_u32_e64 v5, null, s3, v3, vcc_lo
	v_add_co_u32 v6, vcc_lo, s8, v2
	v_add_co_ci_u32_e64 v7, null, s9, v3, vcc_lo
	global_load_dwordx2 v[4:5], v[4:5], off
	global_load_dwordx2 v[6:7], v[6:7], off
	v_add_co_u32 v8, vcc_lo, s12, v2
	v_add_co_ci_u32_e64 v9, null, s13, v3, vcc_lo
	v_add_co_u32 v0, vcc_lo, v0, s4
	v_add_co_ci_u32_e64 v1, null, 0, v1, vcc_lo
	v_add_co_u32 v10, vcc_lo, s14, v2
	v_add_co_ci_u32_e64 v11, null, s15, v3, vcc_lo
	v_cmp_le_i64_e64 s0, s[6:7], v[0:1]
	v_add_co_u32 v2, vcc_lo, v2, s10
	v_add_co_ci_u32_e64 v3, null, s11, v3, vcc_lo
	s_or_b32 s5, s0, s5
	s_waitcnt vmcnt(1)
	v_add_co_u32 v4, s1, s16, v4
	v_add_co_ci_u32_e64 v5, null, s17, v5, s1
	s_waitcnt vmcnt(0)
	global_store_dwordx2 v[10:11], v[6:7], off
	global_store_dwordx2 v[8:9], v[4:5], off
	s_andn2_b32 exec_lo, exec_lo, s5
	s_cbranch_execnz .LBB78_8
.LBB78_9:
	s_inst_prefetch 0x2
	s_endpgm
	.section	.rodata,"a",@progbits
	.p2align	6, 0x0
	.amdhsa_kernel _ZN9rocsparseL35bsr2csr_block_dim_equals_one_kernelILj1024ElilEEvT2_S1_21rocsparse_index_base_PKT0_PKT1_PKS1_S2_PS3_PS6_PS1_
		.amdhsa_group_segment_fixed_size 0
		.amdhsa_private_segment_fixed_size 0
		.amdhsa_kernarg_size 336
		.amdhsa_user_sgpr_count 6
		.amdhsa_user_sgpr_private_segment_buffer 1
		.amdhsa_user_sgpr_dispatch_ptr 0
		.amdhsa_user_sgpr_queue_ptr 0
		.amdhsa_user_sgpr_kernarg_segment_ptr 1
		.amdhsa_user_sgpr_dispatch_id 0
		.amdhsa_user_sgpr_flat_scratch_init 0
		.amdhsa_user_sgpr_private_segment_size 0
		.amdhsa_wavefront_size32 1
		.amdhsa_uses_dynamic_stack 0
		.amdhsa_system_sgpr_private_segment_wavefront_offset 0
		.amdhsa_system_sgpr_workgroup_id_x 1
		.amdhsa_system_sgpr_workgroup_id_y 0
		.amdhsa_system_sgpr_workgroup_id_z 0
		.amdhsa_system_sgpr_workgroup_info 0
		.amdhsa_system_vgpr_workitem_id 0
		.amdhsa_next_free_vgpr 12
		.amdhsa_next_free_sgpr 22
		.amdhsa_reserve_vcc 1
		.amdhsa_reserve_flat_scratch 0
		.amdhsa_float_round_mode_32 0
		.amdhsa_float_round_mode_16_64 0
		.amdhsa_float_denorm_mode_32 3
		.amdhsa_float_denorm_mode_16_64 3
		.amdhsa_dx10_clamp 1
		.amdhsa_ieee_mode 1
		.amdhsa_fp16_overflow 0
		.amdhsa_workgroup_processor_mode 1
		.amdhsa_memory_ordered 1
		.amdhsa_forward_progress 1
		.amdhsa_shared_vgpr_count 0
		.amdhsa_exception_fp_ieee_invalid_op 0
		.amdhsa_exception_fp_denorm_src 0
		.amdhsa_exception_fp_ieee_div_zero 0
		.amdhsa_exception_fp_ieee_overflow 0
		.amdhsa_exception_fp_ieee_underflow 0
		.amdhsa_exception_fp_ieee_inexact 0
		.amdhsa_exception_int_div_zero 0
	.end_amdhsa_kernel
	.section	.text._ZN9rocsparseL35bsr2csr_block_dim_equals_one_kernelILj1024ElilEEvT2_S1_21rocsparse_index_base_PKT0_PKT1_PKS1_S2_PS3_PS6_PS1_,"axG",@progbits,_ZN9rocsparseL35bsr2csr_block_dim_equals_one_kernelILj1024ElilEEvT2_S1_21rocsparse_index_base_PKT0_PKT1_PKS1_S2_PS3_PS6_PS1_,comdat
.Lfunc_end78:
	.size	_ZN9rocsparseL35bsr2csr_block_dim_equals_one_kernelILj1024ElilEEvT2_S1_21rocsparse_index_base_PKT0_PKT1_PKS1_S2_PS3_PS6_PS1_, .Lfunc_end78-_ZN9rocsparseL35bsr2csr_block_dim_equals_one_kernelILj1024ElilEEvT2_S1_21rocsparse_index_base_PKT0_PKT1_PKS1_S2_PS3_PS6_PS1_
                                        ; -- End function
	.set _ZN9rocsparseL35bsr2csr_block_dim_equals_one_kernelILj1024ElilEEvT2_S1_21rocsparse_index_base_PKT0_PKT1_PKS1_S2_PS3_PS6_PS1_.num_vgpr, 12
	.set _ZN9rocsparseL35bsr2csr_block_dim_equals_one_kernelILj1024ElilEEvT2_S1_21rocsparse_index_base_PKT0_PKT1_PKS1_S2_PS3_PS6_PS1_.num_agpr, 0
	.set _ZN9rocsparseL35bsr2csr_block_dim_equals_one_kernelILj1024ElilEEvT2_S1_21rocsparse_index_base_PKT0_PKT1_PKS1_S2_PS3_PS6_PS1_.numbered_sgpr, 22
	.set _ZN9rocsparseL35bsr2csr_block_dim_equals_one_kernelILj1024ElilEEvT2_S1_21rocsparse_index_base_PKT0_PKT1_PKS1_S2_PS3_PS6_PS1_.num_named_barrier, 0
	.set _ZN9rocsparseL35bsr2csr_block_dim_equals_one_kernelILj1024ElilEEvT2_S1_21rocsparse_index_base_PKT0_PKT1_PKS1_S2_PS3_PS6_PS1_.private_seg_size, 0
	.set _ZN9rocsparseL35bsr2csr_block_dim_equals_one_kernelILj1024ElilEEvT2_S1_21rocsparse_index_base_PKT0_PKT1_PKS1_S2_PS3_PS6_PS1_.uses_vcc, 1
	.set _ZN9rocsparseL35bsr2csr_block_dim_equals_one_kernelILj1024ElilEEvT2_S1_21rocsparse_index_base_PKT0_PKT1_PKS1_S2_PS3_PS6_PS1_.uses_flat_scratch, 0
	.set _ZN9rocsparseL35bsr2csr_block_dim_equals_one_kernelILj1024ElilEEvT2_S1_21rocsparse_index_base_PKT0_PKT1_PKS1_S2_PS3_PS6_PS1_.has_dyn_sized_stack, 0
	.set _ZN9rocsparseL35bsr2csr_block_dim_equals_one_kernelILj1024ElilEEvT2_S1_21rocsparse_index_base_PKT0_PKT1_PKS1_S2_PS3_PS6_PS1_.has_recursion, 0
	.set _ZN9rocsparseL35bsr2csr_block_dim_equals_one_kernelILj1024ElilEEvT2_S1_21rocsparse_index_base_PKT0_PKT1_PKS1_S2_PS3_PS6_PS1_.has_indirect_call, 0
	.section	.AMDGPU.csdata,"",@progbits
; Kernel info:
; codeLenInByte = 564
; TotalNumSgprs: 24
; NumVgprs: 12
; ScratchSize: 0
; MemoryBound: 0
; FloatMode: 240
; IeeeMode: 1
; LDSByteSize: 0 bytes/workgroup (compile time only)
; SGPRBlocks: 0
; VGPRBlocks: 1
; NumSGPRsForWavesPerEU: 24
; NumVGPRsForWavesPerEU: 12
; Occupancy: 16
; WaveLimiterHint : 0
; COMPUTE_PGM_RSRC2:SCRATCH_EN: 0
; COMPUTE_PGM_RSRC2:USER_SGPR: 6
; COMPUTE_PGM_RSRC2:TRAP_HANDLER: 0
; COMPUTE_PGM_RSRC2:TGID_X_EN: 1
; COMPUTE_PGM_RSRC2:TGID_Y_EN: 0
; COMPUTE_PGM_RSRC2:TGID_Z_EN: 0
; COMPUTE_PGM_RSRC2:TIDIG_COMP_CNT: 0
	.section	.text._ZN9rocsparseL32bsr2csr_block_per_row_2_7_kernelILj256ELj2ElilEEv20rocsparse_direction_T3_S2_21rocsparse_index_base_PKT1_PKT2_PKS2_S2_S3_PS4_PS7_PS2_,"axG",@progbits,_ZN9rocsparseL32bsr2csr_block_per_row_2_7_kernelILj256ELj2ElilEEv20rocsparse_direction_T3_S2_21rocsparse_index_base_PKT1_PKT2_PKS2_S2_S3_PS4_PS7_PS2_,comdat
	.globl	_ZN9rocsparseL32bsr2csr_block_per_row_2_7_kernelILj256ELj2ElilEEv20rocsparse_direction_T3_S2_21rocsparse_index_base_PKT1_PKT2_PKS2_S2_S3_PS4_PS7_PS2_ ; -- Begin function _ZN9rocsparseL32bsr2csr_block_per_row_2_7_kernelILj256ELj2ElilEEv20rocsparse_direction_T3_S2_21rocsparse_index_base_PKT1_PKT2_PKS2_S2_S3_PS4_PS7_PS2_
	.p2align	8
	.type	_ZN9rocsparseL32bsr2csr_block_per_row_2_7_kernelILj256ELj2ElilEEv20rocsparse_direction_T3_S2_21rocsparse_index_base_PKT1_PKT2_PKS2_S2_S3_PS4_PS7_PS2_,@function
_ZN9rocsparseL32bsr2csr_block_per_row_2_7_kernelILj256ELj2ElilEEv20rocsparse_direction_T3_S2_21rocsparse_index_base_PKT1_PKT2_PKS2_S2_S3_PS4_PS7_PS2_: ; @_ZN9rocsparseL32bsr2csr_block_per_row_2_7_kernelILj256ELj2ElilEEv20rocsparse_direction_T3_S2_21rocsparse_index_base_PKT1_PKT2_PKS2_S2_S3_PS4_PS7_PS2_
; %bb.0:
	s_load_dwordx2 s[0:1], s[4:5], 0x28
	s_mov_b32 s7, 0
	s_clause 0x1
	s_load_dword s12, s[4:5], 0x40
	s_load_dwordx2 s[2:3], s[4:5], 0x50
	s_lshl_b64 s[8:9], s[6:7], 2
	v_or_b32_e32 v1, s6, v0
	s_waitcnt lgkmcnt(0)
	s_add_u32 s0, s0, s8
	s_addc_u32 s1, s1, s9
	s_mov_b32 s8, exec_lo
	s_load_dwordx2 s[0:1], s[0:1], 0x0
	v_cmpx_eq_u32_e32 0, v1
	s_cbranch_execz .LBB79_2
; %bb.1:
	v_mov_b32_e32 v1, 0
	v_mov_b32_e32 v2, s12
	global_store_dword v1, v2, s[2:3]
.LBB79_2:
	s_or_b32 exec_lo, exec_lo, s8
	s_load_dword s13, s[4:5], 0x18
	v_and_b32_e32 v8, 1, v0
	v_lshrrev_b32_e32 v2, 1, v0
	s_lshl_b64 s[6:7], s[6:7], 3
	v_lshlrev_b32_e32 v4, 2, v8
	s_waitcnt lgkmcnt(0)
	s_sub_i32 s8, s0, s13
	s_sub_i32 s14, s1, s13
	s_lshl_b32 s9, s8, 2
	s_sub_i32 s1, s14, s8
	v_add_nc_u32_e32 v0, s8, v2
	s_lshl_b32 s1, s1, 1
	v_mul_lo_u32 v1, s1, v8
	s_add_i32 s1, s1, s12
	s_add_u32 s2, s2, s6
	s_addc_u32 s3, s3, s7
	v_add3_u32 v3, s1, s9, v1
	s_mov_b32 s1, exec_lo
	global_store_dword v4, v3, s[2:3] offset:4
	v_cmpx_gt_i32_e64 s14, v0
	s_cbranch_execz .LBB79_5
; %bb.3:
	s_clause 0x4
	s_load_dwordx2 s[6:7], s[4:5], 0x30
	s_load_dwordx2 s[8:9], s[4:5], 0x48
	s_load_dword s1, s[4:5], 0x0
	s_load_dwordx2 s[10:11], s[4:5], 0x20
	s_load_dwordx2 s[4:5], s[4:5], 0x58
	v_lshlrev_b32_e32 v2, 1, v2
	v_lshlrev_b32_e32 v4, 4, v8
	v_mov_b32_e32 v3, 0
	v_lshlrev_b32_e32 v6, 2, v0
	s_mov_b32 s3, 0
	s_waitcnt lgkmcnt(0)
	s_cmp_eq_u32 s1, 0
	s_cselect_b32 vcc_lo, -1, 0
	s_lshl_b32 s0, s0, 2
	s_lshl_b32 s1, s13, 2
	v_add3_u32 v1, v1, s0, v2
	v_add_co_u32 v9, s0, s10, v4
	v_add_co_ci_u32_e64 v10, null, s11, 0, s0
	v_subrev_nc_u32_e32 v4, s1, v1
.LBB79_4:                               ; =>This Inner Loop Header: Depth=1
	v_ashrrev_i32_e32 v1, 31, v0
	v_mov_b32_e32 v7, v3
	v_add_nc_u32_e32 v2, v8, v6
	v_lshlrev_b64 v[11:12], 3, v[0:1]
	v_lshlrev_b64 v[13:14], 3, v[6:7]
	;; [unrolled: 1-line block ×3, first 2 shown]
	v_add_nc_u32_e32 v0, 0x80, v0
	v_add_nc_u32_e32 v6, 0x200, v6
	v_add_co_u32 v11, s0, s6, v11
	v_add_co_ci_u32_e64 v12, null, s7, v12, s0
	v_add_co_u32 v5, s1, v9, v13
	v_add_co_u32 v1, s0, s10, v1
	global_load_dwordx2 v[15:16], v[11:12], off
	v_add_co_ci_u32_e64 v7, null, v10, v14, s1
	v_add_co_ci_u32_e64 v2, null, s11, v2, s0
	v_add_co_u32 v11, s0, v5, 8
	v_add_co_ci_u32_e64 v12, null, 0, v7, s0
	v_add_co_u32 v13, s0, v1, 16
	v_add_co_ci_u32_e64 v14, null, 0, v2, s0
	v_cndmask_b32_e32 v2, v2, v7, vcc_lo
	v_cndmask_b32_e32 v1, v1, v5, vcc_lo
	;; [unrolled: 1-line block ×4, first 2 shown]
	global_load_dwordx2 v[11:12], v[1:2], off
	global_load_dwordx2 v[13:14], v[13:14], off
	v_ashrrev_i32_e32 v5, 31, v4
	v_cmp_le_i32_e64 s0, s14, v0
	v_lshlrev_b64 v[1:2], 3, v[4:5]
	v_add_nc_u32_e32 v4, 0x100, v4
	s_or_b32 s3, s0, s3
	v_add_co_u32 v19, s1, s4, v1
	v_add_co_ci_u32_e64 v20, null, s5, v2, s1
	v_add_co_u32 v1, s1, s8, v1
	v_add_co_ci_u32_e64 v2, null, s9, v2, s1
	s_waitcnt vmcnt(2)
	v_sub_co_u32 v15, s2, v15, s13
	v_subrev_co_ci_u32_e64 v16, null, 0, v16, s2
	v_lshlrev_b64 v[15:16], 1, v[15:16]
	v_add_co_u32 v15, s2, v15, s12
	v_add_co_ci_u32_e64 v16, null, 0, v16, s2
	v_add_co_u32 v17, s1, v15, 1
	v_add_co_ci_u32_e64 v18, null, 0, v16, s1
	s_waitcnt vmcnt(0)
	global_store_dwordx4 v[1:2], v[11:14], off
	global_store_dwordx4 v[19:20], v[15:18], off
	s_andn2_b32 exec_lo, exec_lo, s3
	s_cbranch_execnz .LBB79_4
.LBB79_5:
	s_endpgm
	.section	.rodata,"a",@progbits
	.p2align	6, 0x0
	.amdhsa_kernel _ZN9rocsparseL32bsr2csr_block_per_row_2_7_kernelILj256ELj2ElilEEv20rocsparse_direction_T3_S2_21rocsparse_index_base_PKT1_PKT2_PKS2_S2_S3_PS4_PS7_PS2_
		.amdhsa_group_segment_fixed_size 0
		.amdhsa_private_segment_fixed_size 0
		.amdhsa_kernarg_size 96
		.amdhsa_user_sgpr_count 6
		.amdhsa_user_sgpr_private_segment_buffer 1
		.amdhsa_user_sgpr_dispatch_ptr 0
		.amdhsa_user_sgpr_queue_ptr 0
		.amdhsa_user_sgpr_kernarg_segment_ptr 1
		.amdhsa_user_sgpr_dispatch_id 0
		.amdhsa_user_sgpr_flat_scratch_init 0
		.amdhsa_user_sgpr_private_segment_size 0
		.amdhsa_wavefront_size32 1
		.amdhsa_uses_dynamic_stack 0
		.amdhsa_system_sgpr_private_segment_wavefront_offset 0
		.amdhsa_system_sgpr_workgroup_id_x 1
		.amdhsa_system_sgpr_workgroup_id_y 0
		.amdhsa_system_sgpr_workgroup_id_z 0
		.amdhsa_system_sgpr_workgroup_info 0
		.amdhsa_system_vgpr_workitem_id 0
		.amdhsa_next_free_vgpr 21
		.amdhsa_next_free_sgpr 15
		.amdhsa_reserve_vcc 1
		.amdhsa_reserve_flat_scratch 0
		.amdhsa_float_round_mode_32 0
		.amdhsa_float_round_mode_16_64 0
		.amdhsa_float_denorm_mode_32 3
		.amdhsa_float_denorm_mode_16_64 3
		.amdhsa_dx10_clamp 1
		.amdhsa_ieee_mode 1
		.amdhsa_fp16_overflow 0
		.amdhsa_workgroup_processor_mode 1
		.amdhsa_memory_ordered 1
		.amdhsa_forward_progress 1
		.amdhsa_shared_vgpr_count 0
		.amdhsa_exception_fp_ieee_invalid_op 0
		.amdhsa_exception_fp_denorm_src 0
		.amdhsa_exception_fp_ieee_div_zero 0
		.amdhsa_exception_fp_ieee_overflow 0
		.amdhsa_exception_fp_ieee_underflow 0
		.amdhsa_exception_fp_ieee_inexact 0
		.amdhsa_exception_int_div_zero 0
	.end_amdhsa_kernel
	.section	.text._ZN9rocsparseL32bsr2csr_block_per_row_2_7_kernelILj256ELj2ElilEEv20rocsparse_direction_T3_S2_21rocsparse_index_base_PKT1_PKT2_PKS2_S2_S3_PS4_PS7_PS2_,"axG",@progbits,_ZN9rocsparseL32bsr2csr_block_per_row_2_7_kernelILj256ELj2ElilEEv20rocsparse_direction_T3_S2_21rocsparse_index_base_PKT1_PKT2_PKS2_S2_S3_PS4_PS7_PS2_,comdat
.Lfunc_end79:
	.size	_ZN9rocsparseL32bsr2csr_block_per_row_2_7_kernelILj256ELj2ElilEEv20rocsparse_direction_T3_S2_21rocsparse_index_base_PKT1_PKT2_PKS2_S2_S3_PS4_PS7_PS2_, .Lfunc_end79-_ZN9rocsparseL32bsr2csr_block_per_row_2_7_kernelILj256ELj2ElilEEv20rocsparse_direction_T3_S2_21rocsparse_index_base_PKT1_PKT2_PKS2_S2_S3_PS4_PS7_PS2_
                                        ; -- End function
	.set _ZN9rocsparseL32bsr2csr_block_per_row_2_7_kernelILj256ELj2ElilEEv20rocsparse_direction_T3_S2_21rocsparse_index_base_PKT1_PKT2_PKS2_S2_S3_PS4_PS7_PS2_.num_vgpr, 21
	.set _ZN9rocsparseL32bsr2csr_block_per_row_2_7_kernelILj256ELj2ElilEEv20rocsparse_direction_T3_S2_21rocsparse_index_base_PKT1_PKT2_PKS2_S2_S3_PS4_PS7_PS2_.num_agpr, 0
	.set _ZN9rocsparseL32bsr2csr_block_per_row_2_7_kernelILj256ELj2ElilEEv20rocsparse_direction_T3_S2_21rocsparse_index_base_PKT1_PKT2_PKS2_S2_S3_PS4_PS7_PS2_.numbered_sgpr, 15
	.set _ZN9rocsparseL32bsr2csr_block_per_row_2_7_kernelILj256ELj2ElilEEv20rocsparse_direction_T3_S2_21rocsparse_index_base_PKT1_PKT2_PKS2_S2_S3_PS4_PS7_PS2_.num_named_barrier, 0
	.set _ZN9rocsparseL32bsr2csr_block_per_row_2_7_kernelILj256ELj2ElilEEv20rocsparse_direction_T3_S2_21rocsparse_index_base_PKT1_PKT2_PKS2_S2_S3_PS4_PS7_PS2_.private_seg_size, 0
	.set _ZN9rocsparseL32bsr2csr_block_per_row_2_7_kernelILj256ELj2ElilEEv20rocsparse_direction_T3_S2_21rocsparse_index_base_PKT1_PKT2_PKS2_S2_S3_PS4_PS7_PS2_.uses_vcc, 1
	.set _ZN9rocsparseL32bsr2csr_block_per_row_2_7_kernelILj256ELj2ElilEEv20rocsparse_direction_T3_S2_21rocsparse_index_base_PKT1_PKT2_PKS2_S2_S3_PS4_PS7_PS2_.uses_flat_scratch, 0
	.set _ZN9rocsparseL32bsr2csr_block_per_row_2_7_kernelILj256ELj2ElilEEv20rocsparse_direction_T3_S2_21rocsparse_index_base_PKT1_PKT2_PKS2_S2_S3_PS4_PS7_PS2_.has_dyn_sized_stack, 0
	.set _ZN9rocsparseL32bsr2csr_block_per_row_2_7_kernelILj256ELj2ElilEEv20rocsparse_direction_T3_S2_21rocsparse_index_base_PKT1_PKT2_PKS2_S2_S3_PS4_PS7_PS2_.has_recursion, 0
	.set _ZN9rocsparseL32bsr2csr_block_per_row_2_7_kernelILj256ELj2ElilEEv20rocsparse_direction_T3_S2_21rocsparse_index_base_PKT1_PKT2_PKS2_S2_S3_PS4_PS7_PS2_.has_indirect_call, 0
	.section	.AMDGPU.csdata,"",@progbits
; Kernel info:
; codeLenInByte = 636
; TotalNumSgprs: 17
; NumVgprs: 21
; ScratchSize: 0
; MemoryBound: 0
; FloatMode: 240
; IeeeMode: 1
; LDSByteSize: 0 bytes/workgroup (compile time only)
; SGPRBlocks: 0
; VGPRBlocks: 2
; NumSGPRsForWavesPerEU: 17
; NumVGPRsForWavesPerEU: 21
; Occupancy: 16
; WaveLimiterHint : 0
; COMPUTE_PGM_RSRC2:SCRATCH_EN: 0
; COMPUTE_PGM_RSRC2:USER_SGPR: 6
; COMPUTE_PGM_RSRC2:TRAP_HANDLER: 0
; COMPUTE_PGM_RSRC2:TGID_X_EN: 1
; COMPUTE_PGM_RSRC2:TGID_Y_EN: 0
; COMPUTE_PGM_RSRC2:TGID_Z_EN: 0
; COMPUTE_PGM_RSRC2:TIDIG_COMP_CNT: 0
	.section	.text._ZN9rocsparseL32bsr2csr_block_per_row_2_7_kernelILj256ELj3ElilEEv20rocsparse_direction_T3_S2_21rocsparse_index_base_PKT1_PKT2_PKS2_S2_S3_PS4_PS7_PS2_,"axG",@progbits,_ZN9rocsparseL32bsr2csr_block_per_row_2_7_kernelILj256ELj3ElilEEv20rocsparse_direction_T3_S2_21rocsparse_index_base_PKT1_PKT2_PKS2_S2_S3_PS4_PS7_PS2_,comdat
	.globl	_ZN9rocsparseL32bsr2csr_block_per_row_2_7_kernelILj256ELj3ElilEEv20rocsparse_direction_T3_S2_21rocsparse_index_base_PKT1_PKT2_PKS2_S2_S3_PS4_PS7_PS2_ ; -- Begin function _ZN9rocsparseL32bsr2csr_block_per_row_2_7_kernelILj256ELj3ElilEEv20rocsparse_direction_T3_S2_21rocsparse_index_base_PKT1_PKT2_PKS2_S2_S3_PS4_PS7_PS2_
	.p2align	8
	.type	_ZN9rocsparseL32bsr2csr_block_per_row_2_7_kernelILj256ELj3ElilEEv20rocsparse_direction_T3_S2_21rocsparse_index_base_PKT1_PKT2_PKS2_S2_S3_PS4_PS7_PS2_,@function
_ZN9rocsparseL32bsr2csr_block_per_row_2_7_kernelILj256ELj3ElilEEv20rocsparse_direction_T3_S2_21rocsparse_index_base_PKT1_PKT2_PKS2_S2_S3_PS4_PS7_PS2_: ; @_ZN9rocsparseL32bsr2csr_block_per_row_2_7_kernelILj256ELj3ElilEEv20rocsparse_direction_T3_S2_21rocsparse_index_base_PKT1_PKT2_PKS2_S2_S3_PS4_PS7_PS2_
; %bb.0:
	s_clause 0x2
	s_load_dwordx2 s[2:3], s[4:5], 0x28
	s_load_dword s8, s[4:5], 0x40
	s_load_dwordx2 s[0:1], s[4:5], 0x50
	s_mov_b32 s7, 0
	v_or_b32_e32 v1, s6, v0
	s_lshl_b64 s[10:11], s[6:7], 2
	s_mov_b32 s7, exec_lo
	s_waitcnt lgkmcnt(0)
	s_add_u32 s2, s2, s10
	s_addc_u32 s3, s3, s11
	v_cmpx_eq_u32_e32 0, v1
	s_cbranch_execz .LBB80_2
; %bb.1:
	v_mov_b32_e32 v1, 0
	v_mov_b32_e32 v2, s8
	global_store_dword v1, v2, s[0:1]
.LBB80_2:
	s_or_b32 exec_lo, exec_lo, s7
	v_and_b32_e32 v1, 3, v0
	s_mov_b32 s7, exec_lo
	v_cmpx_ne_u32_e32 3, v1
	s_cbranch_execz .LBB80_6
; %bb.3:
	s_load_dwordx2 s[2:3], s[2:3], 0x0
	s_load_dword s12, s[4:5], 0x18
	v_lshrrev_b32_e32 v2, 2, v0
	s_mul_hi_u32 s10, s6, 12
	s_mul_i32 s6, s6, 12
	v_lshlrev_b32_e32 v5, 2, v1
	s_waitcnt lgkmcnt(0)
	s_sub_i32 s7, s2, s12
	s_sub_i32 s3, s3, s12
	v_add_nc_u32_e32 v0, s7, v2
	s_sub_i32 s9, s3, s7
	s_mul_i32 s11, s7, 9
	s_mul_i32 s9, s9, 3
	v_mul_lo_u32 v4, s9, v1
	s_add_i32 s9, s9, s8
	v_cmp_gt_i32_e32 vcc_lo, s3, v0
	s_add_u32 s0, s0, s6
	s_addc_u32 s1, s1, s10
	v_add3_u32 v3, s9, s11, v4
	global_store_dword v5, v3, s[0:1] offset:4
	s_and_b32 exec_lo, exec_lo, vcc_lo
	s_cbranch_execz .LBB80_6
; %bb.4:
	s_clause 0x4
	s_load_dwordx2 s[0:1], s[4:5], 0x20
	s_load_dwordx2 s[6:7], s[4:5], 0x30
	;; [unrolled: 1-line block ×3, first 2 shown]
	s_load_dword s9, s[4:5], 0x0
	s_load_dwordx2 s[4:5], s[4:5], 0x58
	v_lshlrev_b32_e32 v5, 3, v1
	v_mul_u32_u24_e32 v6, 3, v2
	s_mul_i32 s2, s2, 9
	v_lshlrev_b32_e32 v1, 4, v1
	s_mul_i32 s13, s12, 9
	v_mov_b32_e32 v3, 0
	v_add3_u32 v4, v4, s2, v6
	v_lshl_add_u32 v2, v0, 3, v0
	v_subrev_nc_u32_e32 v4, s13, v4
	s_waitcnt lgkmcnt(0)
	v_add_co_u32 v6, s0, s0, v5
	v_add_co_ci_u32_e64 v7, null, s1, 0, s0
	s_cmp_eq_u32 s9, 0
	v_add_co_u32 v8, vcc_lo, v6, v1
	v_add_co_ci_u32_e64 v9, null, 0, v7, vcc_lo
	s_mov_b32 s9, 0
	s_cselect_b32 vcc_lo, -1, 0
	s_mov_b32 s13, s9
.LBB80_5:                               ; =>This Inner Loop Header: Depth=1
	v_ashrrev_i32_e32 v1, 31, v0
	v_lshlrev_b64 v[10:11], 3, v[2:3]
	v_add_nc_u32_e32 v2, 0x240, v2
	v_lshlrev_b64 v[12:13], 3, v[0:1]
	v_add_nc_u32_e32 v0, 64, v0
	v_add_co_u32 v5, s1, v8, v10
	v_add_co_u32 v1, s0, v6, v10
	;; [unrolled: 1-line block ×3, first 2 shown]
	v_add_co_ci_u32_e64 v13, null, s7, v13, s2
	v_add_co_ci_u32_e64 v10, null, v9, v11, s1
	;; [unrolled: 1-line block ×3, first 2 shown]
	global_load_dwordx2 v[14:15], v[12:13], off
	v_add_co_u32 v12, s0, v5, 8
	v_add_co_ci_u32_e64 v13, null, 0, v10, s0
	v_add_co_u32 v16, s0, v1, 24
	v_add_co_ci_u32_e64 v17, null, 0, v11, s0
	;; [unrolled: 2-line block ×4, first 2 shown]
	v_cndmask_b32_e32 v11, v11, v10, vcc_lo
	v_cndmask_b32_e32 v10, v1, v5, vcc_lo
	;; [unrolled: 1-line block ×6, first 2 shown]
	global_load_dwordx2 v[10:11], v[10:11], off
	global_load_dwordx2 v[12:13], v[12:13], off
	;; [unrolled: 1-line block ×3, first 2 shown]
	v_ashrrev_i32_e32 v5, 31, v4
	v_cmp_le_i32_e64 s0, s3, v0
	v_lshlrev_b64 v[16:17], 3, v[4:5]
	v_add_nc_u32_e32 v4, 0xc0, v4
	s_or_b32 s13, s0, s13
	s_waitcnt vmcnt(3)
	v_sub_co_u32 v1, s1, v14, s12
	v_subrev_co_ci_u32_e64 v5, null, 0, v15, s1
	v_add_co_u32 v20, s1, s4, v16
	v_mad_u64_u32 v[14:15], null, v1, 3, s[8:9]
	v_add_co_ci_u32_e64 v21, null, s5, v17, s1
	v_add_co_u32 v22, s1, s10, v16
	v_add_co_ci_u32_e64 v23, null, s11, v17, s1
	v_mov_b32_e32 v1, v15
	v_add_co_u32 v24, s1, v14, 2
	v_mad_u64_u32 v[15:16], null, v5, 3, v[1:2]
	v_add_co_u32 v16, s2, v14, 1
	v_add_co_ci_u32_e64 v17, null, 0, v15, s2
	v_add_co_ci_u32_e64 v25, null, 0, v15, s1
	s_waitcnt vmcnt(1)
	global_store_dwordx4 v[22:23], v[10:13], off
	s_waitcnt vmcnt(0)
	global_store_dwordx2 v[22:23], v[18:19], off offset:16
	global_store_dwordx4 v[20:21], v[14:17], off
	global_store_dwordx2 v[20:21], v[24:25], off offset:16
	s_andn2_b32 exec_lo, exec_lo, s13
	s_cbranch_execnz .LBB80_5
.LBB80_6:
	s_endpgm
	.section	.rodata,"a",@progbits
	.p2align	6, 0x0
	.amdhsa_kernel _ZN9rocsparseL32bsr2csr_block_per_row_2_7_kernelILj256ELj3ElilEEv20rocsparse_direction_T3_S2_21rocsparse_index_base_PKT1_PKT2_PKS2_S2_S3_PS4_PS7_PS2_
		.amdhsa_group_segment_fixed_size 0
		.amdhsa_private_segment_fixed_size 0
		.amdhsa_kernarg_size 96
		.amdhsa_user_sgpr_count 6
		.amdhsa_user_sgpr_private_segment_buffer 1
		.amdhsa_user_sgpr_dispatch_ptr 0
		.amdhsa_user_sgpr_queue_ptr 0
		.amdhsa_user_sgpr_kernarg_segment_ptr 1
		.amdhsa_user_sgpr_dispatch_id 0
		.amdhsa_user_sgpr_flat_scratch_init 0
		.amdhsa_user_sgpr_private_segment_size 0
		.amdhsa_wavefront_size32 1
		.amdhsa_uses_dynamic_stack 0
		.amdhsa_system_sgpr_private_segment_wavefront_offset 0
		.amdhsa_system_sgpr_workgroup_id_x 1
		.amdhsa_system_sgpr_workgroup_id_y 0
		.amdhsa_system_sgpr_workgroup_id_z 0
		.amdhsa_system_sgpr_workgroup_info 0
		.amdhsa_system_vgpr_workitem_id 0
		.amdhsa_next_free_vgpr 26
		.amdhsa_next_free_sgpr 14
		.amdhsa_reserve_vcc 1
		.amdhsa_reserve_flat_scratch 0
		.amdhsa_float_round_mode_32 0
		.amdhsa_float_round_mode_16_64 0
		.amdhsa_float_denorm_mode_32 3
		.amdhsa_float_denorm_mode_16_64 3
		.amdhsa_dx10_clamp 1
		.amdhsa_ieee_mode 1
		.amdhsa_fp16_overflow 0
		.amdhsa_workgroup_processor_mode 1
		.amdhsa_memory_ordered 1
		.amdhsa_forward_progress 1
		.amdhsa_shared_vgpr_count 0
		.amdhsa_exception_fp_ieee_invalid_op 0
		.amdhsa_exception_fp_denorm_src 0
		.amdhsa_exception_fp_ieee_div_zero 0
		.amdhsa_exception_fp_ieee_overflow 0
		.amdhsa_exception_fp_ieee_underflow 0
		.amdhsa_exception_fp_ieee_inexact 0
		.amdhsa_exception_int_div_zero 0
	.end_amdhsa_kernel
	.section	.text._ZN9rocsparseL32bsr2csr_block_per_row_2_7_kernelILj256ELj3ElilEEv20rocsparse_direction_T3_S2_21rocsparse_index_base_PKT1_PKT2_PKS2_S2_S3_PS4_PS7_PS2_,"axG",@progbits,_ZN9rocsparseL32bsr2csr_block_per_row_2_7_kernelILj256ELj3ElilEEv20rocsparse_direction_T3_S2_21rocsparse_index_base_PKT1_PKT2_PKS2_S2_S3_PS4_PS7_PS2_,comdat
.Lfunc_end80:
	.size	_ZN9rocsparseL32bsr2csr_block_per_row_2_7_kernelILj256ELj3ElilEEv20rocsparse_direction_T3_S2_21rocsparse_index_base_PKT1_PKT2_PKS2_S2_S3_PS4_PS7_PS2_, .Lfunc_end80-_ZN9rocsparseL32bsr2csr_block_per_row_2_7_kernelILj256ELj3ElilEEv20rocsparse_direction_T3_S2_21rocsparse_index_base_PKT1_PKT2_PKS2_S2_S3_PS4_PS7_PS2_
                                        ; -- End function
	.set _ZN9rocsparseL32bsr2csr_block_per_row_2_7_kernelILj256ELj3ElilEEv20rocsparse_direction_T3_S2_21rocsparse_index_base_PKT1_PKT2_PKS2_S2_S3_PS4_PS7_PS2_.num_vgpr, 26
	.set _ZN9rocsparseL32bsr2csr_block_per_row_2_7_kernelILj256ELj3ElilEEv20rocsparse_direction_T3_S2_21rocsparse_index_base_PKT1_PKT2_PKS2_S2_S3_PS4_PS7_PS2_.num_agpr, 0
	.set _ZN9rocsparseL32bsr2csr_block_per_row_2_7_kernelILj256ELj3ElilEEv20rocsparse_direction_T3_S2_21rocsparse_index_base_PKT1_PKT2_PKS2_S2_S3_PS4_PS7_PS2_.numbered_sgpr, 14
	.set _ZN9rocsparseL32bsr2csr_block_per_row_2_7_kernelILj256ELj3ElilEEv20rocsparse_direction_T3_S2_21rocsparse_index_base_PKT1_PKT2_PKS2_S2_S3_PS4_PS7_PS2_.num_named_barrier, 0
	.set _ZN9rocsparseL32bsr2csr_block_per_row_2_7_kernelILj256ELj3ElilEEv20rocsparse_direction_T3_S2_21rocsparse_index_base_PKT1_PKT2_PKS2_S2_S3_PS4_PS7_PS2_.private_seg_size, 0
	.set _ZN9rocsparseL32bsr2csr_block_per_row_2_7_kernelILj256ELj3ElilEEv20rocsparse_direction_T3_S2_21rocsparse_index_base_PKT1_PKT2_PKS2_S2_S3_PS4_PS7_PS2_.uses_vcc, 1
	.set _ZN9rocsparseL32bsr2csr_block_per_row_2_7_kernelILj256ELj3ElilEEv20rocsparse_direction_T3_S2_21rocsparse_index_base_PKT1_PKT2_PKS2_S2_S3_PS4_PS7_PS2_.uses_flat_scratch, 0
	.set _ZN9rocsparseL32bsr2csr_block_per_row_2_7_kernelILj256ELj3ElilEEv20rocsparse_direction_T3_S2_21rocsparse_index_base_PKT1_PKT2_PKS2_S2_S3_PS4_PS7_PS2_.has_dyn_sized_stack, 0
	.set _ZN9rocsparseL32bsr2csr_block_per_row_2_7_kernelILj256ELj3ElilEEv20rocsparse_direction_T3_S2_21rocsparse_index_base_PKT1_PKT2_PKS2_S2_S3_PS4_PS7_PS2_.has_recursion, 0
	.set _ZN9rocsparseL32bsr2csr_block_per_row_2_7_kernelILj256ELj3ElilEEv20rocsparse_direction_T3_S2_21rocsparse_index_base_PKT1_PKT2_PKS2_S2_S3_PS4_PS7_PS2_.has_indirect_call, 0
	.section	.AMDGPU.csdata,"",@progbits
; Kernel info:
; codeLenInByte = 736
; TotalNumSgprs: 16
; NumVgprs: 26
; ScratchSize: 0
; MemoryBound: 0
; FloatMode: 240
; IeeeMode: 1
; LDSByteSize: 0 bytes/workgroup (compile time only)
; SGPRBlocks: 0
; VGPRBlocks: 3
; NumSGPRsForWavesPerEU: 16
; NumVGPRsForWavesPerEU: 26
; Occupancy: 16
; WaveLimiterHint : 0
; COMPUTE_PGM_RSRC2:SCRATCH_EN: 0
; COMPUTE_PGM_RSRC2:USER_SGPR: 6
; COMPUTE_PGM_RSRC2:TRAP_HANDLER: 0
; COMPUTE_PGM_RSRC2:TGID_X_EN: 1
; COMPUTE_PGM_RSRC2:TGID_Y_EN: 0
; COMPUTE_PGM_RSRC2:TGID_Z_EN: 0
; COMPUTE_PGM_RSRC2:TIDIG_COMP_CNT: 0
	.section	.text._ZN9rocsparseL32bsr2csr_block_per_row_2_7_kernelILj256ELj4ElilEEv20rocsparse_direction_T3_S2_21rocsparse_index_base_PKT1_PKT2_PKS2_S2_S3_PS4_PS7_PS2_,"axG",@progbits,_ZN9rocsparseL32bsr2csr_block_per_row_2_7_kernelILj256ELj4ElilEEv20rocsparse_direction_T3_S2_21rocsparse_index_base_PKT1_PKT2_PKS2_S2_S3_PS4_PS7_PS2_,comdat
	.globl	_ZN9rocsparseL32bsr2csr_block_per_row_2_7_kernelILj256ELj4ElilEEv20rocsparse_direction_T3_S2_21rocsparse_index_base_PKT1_PKT2_PKS2_S2_S3_PS4_PS7_PS2_ ; -- Begin function _ZN9rocsparseL32bsr2csr_block_per_row_2_7_kernelILj256ELj4ElilEEv20rocsparse_direction_T3_S2_21rocsparse_index_base_PKT1_PKT2_PKS2_S2_S3_PS4_PS7_PS2_
	.p2align	8
	.type	_ZN9rocsparseL32bsr2csr_block_per_row_2_7_kernelILj256ELj4ElilEEv20rocsparse_direction_T3_S2_21rocsparse_index_base_PKT1_PKT2_PKS2_S2_S3_PS4_PS7_PS2_,@function
_ZN9rocsparseL32bsr2csr_block_per_row_2_7_kernelILj256ELj4ElilEEv20rocsparse_direction_T3_S2_21rocsparse_index_base_PKT1_PKT2_PKS2_S2_S3_PS4_PS7_PS2_: ; @_ZN9rocsparseL32bsr2csr_block_per_row_2_7_kernelILj256ELj4ElilEEv20rocsparse_direction_T3_S2_21rocsparse_index_base_PKT1_PKT2_PKS2_S2_S3_PS4_PS7_PS2_
; %bb.0:
	s_load_dwordx2 s[0:1], s[4:5], 0x28
	s_mov_b32 s7, 0
	s_clause 0x1
	s_load_dword s10, s[4:5], 0x40
	s_load_dwordx2 s[2:3], s[4:5], 0x50
	s_lshl_b64 s[8:9], s[6:7], 2
	v_or_b32_e32 v1, s6, v0
	s_waitcnt lgkmcnt(0)
	s_add_u32 s0, s0, s8
	s_addc_u32 s1, s1, s9
	s_mov_b32 s8, exec_lo
	s_load_dwordx2 s[0:1], s[0:1], 0x0
	v_cmpx_eq_u32_e32 0, v1
	s_cbranch_execz .LBB81_2
; %bb.1:
	v_mov_b32_e32 v1, 0
	v_mov_b32_e32 v2, s10
	global_store_dword v1, v2, s[2:3]
.LBB81_2:
	s_or_b32 exec_lo, exec_lo, s8
	s_load_dword s11, s[4:5], 0x18
	v_and_b32_e32 v8, 3, v0
	v_lshrrev_b32_e32 v2, 2, v0
	s_lshl_b64 s[6:7], s[6:7], 4
	v_lshlrev_b32_e32 v4, 2, v8
	s_waitcnt lgkmcnt(0)
	s_sub_i32 s8, s0, s11
	s_sub_i32 s12, s1, s11
	s_lshl_b32 s9, s8, 4
	s_sub_i32 s1, s12, s8
	v_add_nc_u32_e32 v0, s8, v2
	s_lshl_b32 s1, s1, 2
	v_mul_lo_u32 v1, s1, v8
	s_add_i32 s1, s1, s10
	s_add_u32 s2, s2, s6
	s_addc_u32 s3, s3, s7
	v_add3_u32 v3, s1, s9, v1
	s_mov_b32 s1, exec_lo
	global_store_dword v4, v3, s[2:3] offset:4
	v_cmpx_gt_i32_e64 s12, v0
	s_cbranch_execz .LBB81_5
; %bb.3:
	s_clause 0x4
	s_load_dwordx2 s[2:3], s[4:5], 0x30
	s_load_dwordx2 s[6:7], s[4:5], 0x48
	s_load_dword s1, s[4:5], 0x0
	s_load_dwordx2 s[8:9], s[4:5], 0x20
	s_load_dwordx2 s[4:5], s[4:5], 0x58
	v_lshlrev_b32_e32 v2, 2, v2
	v_lshlrev_b32_e32 v4, 5, v8
	v_mov_b32_e32 v3, 0
	v_lshlrev_b32_e32 v6, 4, v0
	s_mov_b32 s13, 0
	s_waitcnt lgkmcnt(0)
	s_cmp_eq_u32 s1, 0
	s_cselect_b32 vcc_lo, -1, 0
	s_lshl_b32 s0, s0, 4
	s_lshl_b32 s1, s11, 4
	v_add3_u32 v1, v1, s0, v2
	v_add_co_u32 v9, s0, s8, v4
	v_add_co_ci_u32_e64 v10, null, s9, 0, s0
	v_subrev_nc_u32_e32 v4, s1, v1
.LBB81_4:                               ; =>This Inner Loop Header: Depth=1
	v_ashrrev_i32_e32 v1, 31, v0
	v_add_nc_u32_e32 v2, v8, v6
	v_mov_b32_e32 v7, v3
	v_lshlrev_b64 v[11:12], 3, v[0:1]
	v_lshlrev_b64 v[1:2], 3, v[2:3]
	;; [unrolled: 1-line block ×3, first 2 shown]
	v_add_nc_u32_e32 v0, 64, v0
	v_add_nc_u32_e32 v6, 0x400, v6
	v_add_co_u32 v11, s0, s2, v11
	v_add_co_ci_u32_e64 v12, null, s3, v12, s0
	v_add_co_u32 v5, s0, s8, v1
	v_add_co_ci_u32_e64 v7, null, s9, v2, s0
	global_load_dwordx2 v[1:2], v[11:12], off
	v_add_co_u32 v13, s0, v9, v13
	v_add_co_ci_u32_e64 v14, null, v10, v14, s0
	v_add_co_u32 v15, s0, v13, 8
	v_add_co_ci_u32_e64 v16, null, 0, v14, s0
	;; [unrolled: 2-line block ×5, first 2 shown]
	v_add_co_u32 v23, s0, v13, 24
	v_cndmask_b32_e32 v11, v5, v13, vcc_lo
	v_add_co_ci_u32_e64 v24, null, 0, v14, s0
	v_add_co_u32 v5, s0, 0x60, v5
	v_cndmask_b32_e32 v12, v7, v14, vcc_lo
	v_add_co_ci_u32_e64 v7, null, 0, v7, s0
	v_cndmask_b32_e32 v14, v18, v16, vcc_lo
	v_cndmask_b32_e32 v13, v17, v15, vcc_lo
	;; [unrolled: 1-line block ×6, first 2 shown]
	global_load_dwordx2 v[11:12], v[11:12], off
	global_load_dwordx2 v[13:14], v[13:14], off
	;; [unrolled: 1-line block ×4, first 2 shown]
	v_ashrrev_i32_e32 v5, 31, v4
	v_cmp_le_i32_e64 s0, s12, v0
	v_lshlrev_b64 v[19:20], 3, v[4:5]
	v_add_nc_u32_e32 v4, 0x100, v4
	s_or_b32 s13, s0, s13
	v_add_co_u32 v27, s1, s4, v19
	v_add_co_ci_u32_e64 v28, null, s5, v20, s1
	v_add_co_u32 v29, s1, s6, v19
	v_add_co_ci_u32_e64 v30, null, s7, v20, s1
	s_waitcnt vmcnt(4)
	v_sub_co_u32 v1, s1, v1, s11
	v_subrev_co_ci_u32_e64 v2, null, 0, v2, s1
	v_lshlrev_b64 v[1:2], 2, v[1:2]
	v_add_co_u32 v19, s1, v1, s10
	v_add_co_ci_u32_e64 v20, null, 0, v2, s1
	v_add_co_u32 v21, s1, v19, 1
	v_add_co_ci_u32_e64 v22, null, 0, v20, s1
	;; [unrolled: 2-line block ×4, first 2 shown]
	s_waitcnt vmcnt(2)
	global_store_dwordx4 v[29:30], v[11:14], off
	s_waitcnt vmcnt(0)
	global_store_dwordx4 v[29:30], v[15:18], off offset:16
	global_store_dwordx4 v[27:28], v[19:22], off
	global_store_dwordx4 v[27:28], v[23:26], off offset:16
	s_andn2_b32 exec_lo, exec_lo, s13
	s_cbranch_execnz .LBB81_4
.LBB81_5:
	s_endpgm
	.section	.rodata,"a",@progbits
	.p2align	6, 0x0
	.amdhsa_kernel _ZN9rocsparseL32bsr2csr_block_per_row_2_7_kernelILj256ELj4ElilEEv20rocsparse_direction_T3_S2_21rocsparse_index_base_PKT1_PKT2_PKS2_S2_S3_PS4_PS7_PS2_
		.amdhsa_group_segment_fixed_size 0
		.amdhsa_private_segment_fixed_size 0
		.amdhsa_kernarg_size 96
		.amdhsa_user_sgpr_count 6
		.amdhsa_user_sgpr_private_segment_buffer 1
		.amdhsa_user_sgpr_dispatch_ptr 0
		.amdhsa_user_sgpr_queue_ptr 0
		.amdhsa_user_sgpr_kernarg_segment_ptr 1
		.amdhsa_user_sgpr_dispatch_id 0
		.amdhsa_user_sgpr_flat_scratch_init 0
		.amdhsa_user_sgpr_private_segment_size 0
		.amdhsa_wavefront_size32 1
		.amdhsa_uses_dynamic_stack 0
		.amdhsa_system_sgpr_private_segment_wavefront_offset 0
		.amdhsa_system_sgpr_workgroup_id_x 1
		.amdhsa_system_sgpr_workgroup_id_y 0
		.amdhsa_system_sgpr_workgroup_id_z 0
		.amdhsa_system_sgpr_workgroup_info 0
		.amdhsa_system_vgpr_workitem_id 0
		.amdhsa_next_free_vgpr 31
		.amdhsa_next_free_sgpr 14
		.amdhsa_reserve_vcc 1
		.amdhsa_reserve_flat_scratch 0
		.amdhsa_float_round_mode_32 0
		.amdhsa_float_round_mode_16_64 0
		.amdhsa_float_denorm_mode_32 3
		.amdhsa_float_denorm_mode_16_64 3
		.amdhsa_dx10_clamp 1
		.amdhsa_ieee_mode 1
		.amdhsa_fp16_overflow 0
		.amdhsa_workgroup_processor_mode 1
		.amdhsa_memory_ordered 1
		.amdhsa_forward_progress 1
		.amdhsa_shared_vgpr_count 0
		.amdhsa_exception_fp_ieee_invalid_op 0
		.amdhsa_exception_fp_denorm_src 0
		.amdhsa_exception_fp_ieee_div_zero 0
		.amdhsa_exception_fp_ieee_overflow 0
		.amdhsa_exception_fp_ieee_underflow 0
		.amdhsa_exception_fp_ieee_inexact 0
		.amdhsa_exception_int_div_zero 0
	.end_amdhsa_kernel
	.section	.text._ZN9rocsparseL32bsr2csr_block_per_row_2_7_kernelILj256ELj4ElilEEv20rocsparse_direction_T3_S2_21rocsparse_index_base_PKT1_PKT2_PKS2_S2_S3_PS4_PS7_PS2_,"axG",@progbits,_ZN9rocsparseL32bsr2csr_block_per_row_2_7_kernelILj256ELj4ElilEEv20rocsparse_direction_T3_S2_21rocsparse_index_base_PKT1_PKT2_PKS2_S2_S3_PS4_PS7_PS2_,comdat
.Lfunc_end81:
	.size	_ZN9rocsparseL32bsr2csr_block_per_row_2_7_kernelILj256ELj4ElilEEv20rocsparse_direction_T3_S2_21rocsparse_index_base_PKT1_PKT2_PKS2_S2_S3_PS4_PS7_PS2_, .Lfunc_end81-_ZN9rocsparseL32bsr2csr_block_per_row_2_7_kernelILj256ELj4ElilEEv20rocsparse_direction_T3_S2_21rocsparse_index_base_PKT1_PKT2_PKS2_S2_S3_PS4_PS7_PS2_
                                        ; -- End function
	.set _ZN9rocsparseL32bsr2csr_block_per_row_2_7_kernelILj256ELj4ElilEEv20rocsparse_direction_T3_S2_21rocsparse_index_base_PKT1_PKT2_PKS2_S2_S3_PS4_PS7_PS2_.num_vgpr, 31
	.set _ZN9rocsparseL32bsr2csr_block_per_row_2_7_kernelILj256ELj4ElilEEv20rocsparse_direction_T3_S2_21rocsparse_index_base_PKT1_PKT2_PKS2_S2_S3_PS4_PS7_PS2_.num_agpr, 0
	.set _ZN9rocsparseL32bsr2csr_block_per_row_2_7_kernelILj256ELj4ElilEEv20rocsparse_direction_T3_S2_21rocsparse_index_base_PKT1_PKT2_PKS2_S2_S3_PS4_PS7_PS2_.numbered_sgpr, 14
	.set _ZN9rocsparseL32bsr2csr_block_per_row_2_7_kernelILj256ELj4ElilEEv20rocsparse_direction_T3_S2_21rocsparse_index_base_PKT1_PKT2_PKS2_S2_S3_PS4_PS7_PS2_.num_named_barrier, 0
	.set _ZN9rocsparseL32bsr2csr_block_per_row_2_7_kernelILj256ELj4ElilEEv20rocsparse_direction_T3_S2_21rocsparse_index_base_PKT1_PKT2_PKS2_S2_S3_PS4_PS7_PS2_.private_seg_size, 0
	.set _ZN9rocsparseL32bsr2csr_block_per_row_2_7_kernelILj256ELj4ElilEEv20rocsparse_direction_T3_S2_21rocsparse_index_base_PKT1_PKT2_PKS2_S2_S3_PS4_PS7_PS2_.uses_vcc, 1
	.set _ZN9rocsparseL32bsr2csr_block_per_row_2_7_kernelILj256ELj4ElilEEv20rocsparse_direction_T3_S2_21rocsparse_index_base_PKT1_PKT2_PKS2_S2_S3_PS4_PS7_PS2_.uses_flat_scratch, 0
	.set _ZN9rocsparseL32bsr2csr_block_per_row_2_7_kernelILj256ELj4ElilEEv20rocsparse_direction_T3_S2_21rocsparse_index_base_PKT1_PKT2_PKS2_S2_S3_PS4_PS7_PS2_.has_dyn_sized_stack, 0
	.set _ZN9rocsparseL32bsr2csr_block_per_row_2_7_kernelILj256ELj4ElilEEv20rocsparse_direction_T3_S2_21rocsparse_index_base_PKT1_PKT2_PKS2_S2_S3_PS4_PS7_PS2_.has_recursion, 0
	.set _ZN9rocsparseL32bsr2csr_block_per_row_2_7_kernelILj256ELj4ElilEEv20rocsparse_direction_T3_S2_21rocsparse_index_base_PKT1_PKT2_PKS2_S2_S3_PS4_PS7_PS2_.has_indirect_call, 0
	.section	.AMDGPU.csdata,"",@progbits
; Kernel info:
; codeLenInByte = 784
; TotalNumSgprs: 16
; NumVgprs: 31
; ScratchSize: 0
; MemoryBound: 0
; FloatMode: 240
; IeeeMode: 1
; LDSByteSize: 0 bytes/workgroup (compile time only)
; SGPRBlocks: 0
; VGPRBlocks: 3
; NumSGPRsForWavesPerEU: 16
; NumVGPRsForWavesPerEU: 31
; Occupancy: 16
; WaveLimiterHint : 0
; COMPUTE_PGM_RSRC2:SCRATCH_EN: 0
; COMPUTE_PGM_RSRC2:USER_SGPR: 6
; COMPUTE_PGM_RSRC2:TRAP_HANDLER: 0
; COMPUTE_PGM_RSRC2:TGID_X_EN: 1
; COMPUTE_PGM_RSRC2:TGID_Y_EN: 0
; COMPUTE_PGM_RSRC2:TGID_Z_EN: 0
; COMPUTE_PGM_RSRC2:TIDIG_COMP_CNT: 0
	.section	.text._ZN9rocsparseL32bsr2csr_block_per_row_2_7_kernelILj256ELj5ElilEEv20rocsparse_direction_T3_S2_21rocsparse_index_base_PKT1_PKT2_PKS2_S2_S3_PS4_PS7_PS2_,"axG",@progbits,_ZN9rocsparseL32bsr2csr_block_per_row_2_7_kernelILj256ELj5ElilEEv20rocsparse_direction_T3_S2_21rocsparse_index_base_PKT1_PKT2_PKS2_S2_S3_PS4_PS7_PS2_,comdat
	.globl	_ZN9rocsparseL32bsr2csr_block_per_row_2_7_kernelILj256ELj5ElilEEv20rocsparse_direction_T3_S2_21rocsparse_index_base_PKT1_PKT2_PKS2_S2_S3_PS4_PS7_PS2_ ; -- Begin function _ZN9rocsparseL32bsr2csr_block_per_row_2_7_kernelILj256ELj5ElilEEv20rocsparse_direction_T3_S2_21rocsparse_index_base_PKT1_PKT2_PKS2_S2_S3_PS4_PS7_PS2_
	.p2align	8
	.type	_ZN9rocsparseL32bsr2csr_block_per_row_2_7_kernelILj256ELj5ElilEEv20rocsparse_direction_T3_S2_21rocsparse_index_base_PKT1_PKT2_PKS2_S2_S3_PS4_PS7_PS2_,@function
_ZN9rocsparseL32bsr2csr_block_per_row_2_7_kernelILj256ELj5ElilEEv20rocsparse_direction_T3_S2_21rocsparse_index_base_PKT1_PKT2_PKS2_S2_S3_PS4_PS7_PS2_: ; @_ZN9rocsparseL32bsr2csr_block_per_row_2_7_kernelILj256ELj5ElilEEv20rocsparse_direction_T3_S2_21rocsparse_index_base_PKT1_PKT2_PKS2_S2_S3_PS4_PS7_PS2_
; %bb.0:
	s_clause 0x2
	s_load_dwordx2 s[2:3], s[4:5], 0x28
	s_load_dword s8, s[4:5], 0x40
	s_load_dwordx2 s[0:1], s[4:5], 0x50
	s_mov_b32 s7, 0
	v_or_b32_e32 v1, s6, v0
	s_lshl_b64 s[10:11], s[6:7], 2
	s_mov_b32 s7, exec_lo
	s_waitcnt lgkmcnt(0)
	s_add_u32 s2, s2, s10
	s_addc_u32 s3, s3, s11
	v_cmpx_eq_u32_e32 0, v1
	s_cbranch_execz .LBB82_2
; %bb.1:
	v_mov_b32_e32 v1, 0
	v_mov_b32_e32 v2, s8
	global_store_dword v1, v2, s[0:1]
.LBB82_2:
	s_or_b32 exec_lo, exec_lo, s7
	v_and_b32_e32 v1, 7, v0
	s_mov_b32 s7, exec_lo
	v_cmpx_gt_u32_e32 5, v1
	s_cbranch_execz .LBB82_6
; %bb.3:
	s_load_dwordx2 s[2:3], s[2:3], 0x0
	s_load_dword s12, s[4:5], 0x18
	v_lshrrev_b32_e32 v2, 3, v0
	s_mul_hi_u32 s9, s6, 20
	s_mul_i32 s6, s6, 20
	v_lshlrev_b32_e32 v5, 2, v1
	s_waitcnt lgkmcnt(0)
	s_sub_i32 s7, s2, s12
	s_sub_i32 s13, s3, s12
	v_add_nc_u32_e32 v0, s7, v2
	s_sub_i32 s3, s13, s7
	s_mul_i32 s10, s7, 25
	s_mul_i32 s3, s3, 5
	v_mul_lo_u32 v4, s3, v1
	s_add_i32 s3, s3, s8
	v_cmp_gt_i32_e32 vcc_lo, s13, v0
	s_add_u32 s0, s0, s6
	s_addc_u32 s1, s1, s9
	v_add3_u32 v3, s3, s10, v4
	global_store_dword v5, v3, s[0:1] offset:4
	s_and_b32 exec_lo, exec_lo, vcc_lo
	s_cbranch_execz .LBB82_6
; %bb.4:
	s_clause 0x4
	s_load_dwordx2 s[0:1], s[4:5], 0x20
	s_load_dwordx2 s[6:7], s[4:5], 0x30
	;; [unrolled: 1-line block ×3, first 2 shown]
	s_load_dword s3, s[4:5], 0x0
	s_load_dwordx2 s[4:5], s[4:5], 0x58
	v_lshlrev_b32_e32 v5, 3, v1
	v_mul_u32_u24_e32 v6, 5, v2
	s_mul_i32 s2, s2, 25
	v_lshlrev_b32_e32 v1, 5, v1
	v_mul_lo_u32 v2, v0, 25
	s_mul_i32 s9, s12, 25
	v_add3_u32 v4, v4, s2, v6
	v_mov_b32_e32 v3, 0
	v_subrev_nc_u32_e32 v4, s9, v4
	s_mov_b32 s9, 0
	s_mov_b32 s14, s9
	s_waitcnt lgkmcnt(0)
	v_add_co_u32 v6, s0, s0, v5
	v_add_co_ci_u32_e64 v7, null, s1, 0, s0
	s_cmp_eq_u32 s3, 0
	v_add_co_u32 v8, vcc_lo, v6, v1
	v_add_co_ci_u32_e64 v9, null, 0, v7, vcc_lo
	s_cselect_b32 vcc_lo, -1, 0
.LBB82_5:                               ; =>This Inner Loop Header: Depth=1
	v_lshlrev_b64 v[10:11], 3, v[2:3]
	v_ashrrev_i32_e32 v1, 31, v0
	v_add_nc_u32_e32 v2, 0x320, v2
	v_lshlrev_b64 v[12:13], 3, v[0:1]
	v_add_co_u32 v1, s0, v6, v10
	v_add_co_ci_u32_e64 v5, null, v7, v11, s0
	v_add_co_u32 v14, s0, v8, v10
	v_add_co_ci_u32_e64 v15, null, v9, v11, s0
	;; [unrolled: 2-line block ×3, first 2 shown]
	v_cndmask_b32_e32 v13, v5, v15, vcc_lo
	v_cndmask_b32_e32 v12, v1, v14, vcc_lo
	global_load_dwordx2 v[18:19], v[10:11], off
	global_load_dwordx2 v[10:11], v[12:13], off
	v_add_co_u32 v16, s0, v14, 8
	v_add_co_ci_u32_e64 v17, null, 0, v15, s0
	v_add_co_u32 v20, s0, v1, 40
	v_add_co_ci_u32_e64 v21, null, 0, v5, s0
	;; [unrolled: 2-line block ×8, first 2 shown]
	v_cndmask_b32_e32 v13, v21, v17, vcc_lo
	v_cndmask_b32_e32 v12, v20, v16, vcc_lo
	;; [unrolled: 1-line block ×8, first 2 shown]
	global_load_dwordx2 v[12:13], v[12:13], off
	global_load_dwordx2 v[14:15], v[14:15], off
	;; [unrolled: 1-line block ×4, first 2 shown]
	v_add_nc_u32_e32 v0, 32, v0
	v_ashrrev_i32_e32 v5, 31, v4
	v_cmp_le_i32_e64 s0, s13, v0
	v_lshlrev_b64 v[20:21], 3, v[4:5]
	v_add_nc_u32_e32 v4, 0xa0, v4
	s_or_b32 s14, s0, s14
	v_add_co_u32 v24, s1, s4, v20
	v_add_co_ci_u32_e64 v25, null, s5, v21, s1
	v_add_co_u32 v26, s1, s10, v20
	v_add_co_ci_u32_e64 v27, null, s11, v21, s1
	s_waitcnt vmcnt(5)
	v_sub_co_u32 v1, s0, v18, s12
	v_subrev_co_ci_u32_e64 v5, null, 0, v19, s0
	v_mad_u64_u32 v[18:19], null, v1, 5, s[8:9]
	v_mov_b32_e32 v1, v19
	v_add_co_u32 v28, s2, v18, 4
	v_mad_u64_u32 v[19:20], null, v5, 5, v[1:2]
	v_add_co_u32 v20, s3, v18, 1
	v_add_co_ci_u32_e64 v21, null, 0, v19, s3
	v_add_co_ci_u32_e64 v29, null, 0, v19, s2
	s_waitcnt vmcnt(3)
	global_store_dwordx4 v[26:27], v[10:13], off
	v_add_co_u32 v10, s0, v18, 2
	v_add_co_u32 v12, s1, v18, 3
	v_add_co_ci_u32_e64 v11, null, 0, v19, s0
	v_add_co_ci_u32_e64 v13, null, 0, v19, s1
	s_waitcnt vmcnt(1)
	global_store_dwordx4 v[26:27], v[14:17], off offset:16
	s_waitcnt vmcnt(0)
	global_store_dwordx2 v[26:27], v[22:23], off offset:32
	global_store_dwordx4 v[24:25], v[18:21], off
	global_store_dwordx4 v[24:25], v[10:13], off offset:16
	global_store_dwordx2 v[24:25], v[28:29], off offset:32
	s_andn2_b32 exec_lo, exec_lo, s14
	s_cbranch_execnz .LBB82_5
.LBB82_6:
	s_endpgm
	.section	.rodata,"a",@progbits
	.p2align	6, 0x0
	.amdhsa_kernel _ZN9rocsparseL32bsr2csr_block_per_row_2_7_kernelILj256ELj5ElilEEv20rocsparse_direction_T3_S2_21rocsparse_index_base_PKT1_PKT2_PKS2_S2_S3_PS4_PS7_PS2_
		.amdhsa_group_segment_fixed_size 0
		.amdhsa_private_segment_fixed_size 0
		.amdhsa_kernarg_size 96
		.amdhsa_user_sgpr_count 6
		.amdhsa_user_sgpr_private_segment_buffer 1
		.amdhsa_user_sgpr_dispatch_ptr 0
		.amdhsa_user_sgpr_queue_ptr 0
		.amdhsa_user_sgpr_kernarg_segment_ptr 1
		.amdhsa_user_sgpr_dispatch_id 0
		.amdhsa_user_sgpr_flat_scratch_init 0
		.amdhsa_user_sgpr_private_segment_size 0
		.amdhsa_wavefront_size32 1
		.amdhsa_uses_dynamic_stack 0
		.amdhsa_system_sgpr_private_segment_wavefront_offset 0
		.amdhsa_system_sgpr_workgroup_id_x 1
		.amdhsa_system_sgpr_workgroup_id_y 0
		.amdhsa_system_sgpr_workgroup_id_z 0
		.amdhsa_system_sgpr_workgroup_info 0
		.amdhsa_system_vgpr_workitem_id 0
		.amdhsa_next_free_vgpr 32
		.amdhsa_next_free_sgpr 15
		.amdhsa_reserve_vcc 1
		.amdhsa_reserve_flat_scratch 0
		.amdhsa_float_round_mode_32 0
		.amdhsa_float_round_mode_16_64 0
		.amdhsa_float_denorm_mode_32 3
		.amdhsa_float_denorm_mode_16_64 3
		.amdhsa_dx10_clamp 1
		.amdhsa_ieee_mode 1
		.amdhsa_fp16_overflow 0
		.amdhsa_workgroup_processor_mode 1
		.amdhsa_memory_ordered 1
		.amdhsa_forward_progress 1
		.amdhsa_shared_vgpr_count 0
		.amdhsa_exception_fp_ieee_invalid_op 0
		.amdhsa_exception_fp_denorm_src 0
		.amdhsa_exception_fp_ieee_div_zero 0
		.amdhsa_exception_fp_ieee_overflow 0
		.amdhsa_exception_fp_ieee_underflow 0
		.amdhsa_exception_fp_ieee_inexact 0
		.amdhsa_exception_int_div_zero 0
	.end_amdhsa_kernel
	.section	.text._ZN9rocsparseL32bsr2csr_block_per_row_2_7_kernelILj256ELj5ElilEEv20rocsparse_direction_T3_S2_21rocsparse_index_base_PKT1_PKT2_PKS2_S2_S3_PS4_PS7_PS2_,"axG",@progbits,_ZN9rocsparseL32bsr2csr_block_per_row_2_7_kernelILj256ELj5ElilEEv20rocsparse_direction_T3_S2_21rocsparse_index_base_PKT1_PKT2_PKS2_S2_S3_PS4_PS7_PS2_,comdat
.Lfunc_end82:
	.size	_ZN9rocsparseL32bsr2csr_block_per_row_2_7_kernelILj256ELj5ElilEEv20rocsparse_direction_T3_S2_21rocsparse_index_base_PKT1_PKT2_PKS2_S2_S3_PS4_PS7_PS2_, .Lfunc_end82-_ZN9rocsparseL32bsr2csr_block_per_row_2_7_kernelILj256ELj5ElilEEv20rocsparse_direction_T3_S2_21rocsparse_index_base_PKT1_PKT2_PKS2_S2_S3_PS4_PS7_PS2_
                                        ; -- End function
	.set _ZN9rocsparseL32bsr2csr_block_per_row_2_7_kernelILj256ELj5ElilEEv20rocsparse_direction_T3_S2_21rocsparse_index_base_PKT1_PKT2_PKS2_S2_S3_PS4_PS7_PS2_.num_vgpr, 32
	.set _ZN9rocsparseL32bsr2csr_block_per_row_2_7_kernelILj256ELj5ElilEEv20rocsparse_direction_T3_S2_21rocsparse_index_base_PKT1_PKT2_PKS2_S2_S3_PS4_PS7_PS2_.num_agpr, 0
	.set _ZN9rocsparseL32bsr2csr_block_per_row_2_7_kernelILj256ELj5ElilEEv20rocsparse_direction_T3_S2_21rocsparse_index_base_PKT1_PKT2_PKS2_S2_S3_PS4_PS7_PS2_.numbered_sgpr, 15
	.set _ZN9rocsparseL32bsr2csr_block_per_row_2_7_kernelILj256ELj5ElilEEv20rocsparse_direction_T3_S2_21rocsparse_index_base_PKT1_PKT2_PKS2_S2_S3_PS4_PS7_PS2_.num_named_barrier, 0
	.set _ZN9rocsparseL32bsr2csr_block_per_row_2_7_kernelILj256ELj5ElilEEv20rocsparse_direction_T3_S2_21rocsparse_index_base_PKT1_PKT2_PKS2_S2_S3_PS4_PS7_PS2_.private_seg_size, 0
	.set _ZN9rocsparseL32bsr2csr_block_per_row_2_7_kernelILj256ELj5ElilEEv20rocsparse_direction_T3_S2_21rocsparse_index_base_PKT1_PKT2_PKS2_S2_S3_PS4_PS7_PS2_.uses_vcc, 1
	.set _ZN9rocsparseL32bsr2csr_block_per_row_2_7_kernelILj256ELj5ElilEEv20rocsparse_direction_T3_S2_21rocsparse_index_base_PKT1_PKT2_PKS2_S2_S3_PS4_PS7_PS2_.uses_flat_scratch, 0
	.set _ZN9rocsparseL32bsr2csr_block_per_row_2_7_kernelILj256ELj5ElilEEv20rocsparse_direction_T3_S2_21rocsparse_index_base_PKT1_PKT2_PKS2_S2_S3_PS4_PS7_PS2_.has_dyn_sized_stack, 0
	.set _ZN9rocsparseL32bsr2csr_block_per_row_2_7_kernelILj256ELj5ElilEEv20rocsparse_direction_T3_S2_21rocsparse_index_base_PKT1_PKT2_PKS2_S2_S3_PS4_PS7_PS2_.has_recursion, 0
	.set _ZN9rocsparseL32bsr2csr_block_per_row_2_7_kernelILj256ELj5ElilEEv20rocsparse_direction_T3_S2_21rocsparse_index_base_PKT1_PKT2_PKS2_S2_S3_PS4_PS7_PS2_.has_indirect_call, 0
	.section	.AMDGPU.csdata,"",@progbits
; Kernel info:
; codeLenInByte = 896
; TotalNumSgprs: 17
; NumVgprs: 32
; ScratchSize: 0
; MemoryBound: 0
; FloatMode: 240
; IeeeMode: 1
; LDSByteSize: 0 bytes/workgroup (compile time only)
; SGPRBlocks: 0
; VGPRBlocks: 3
; NumSGPRsForWavesPerEU: 17
; NumVGPRsForWavesPerEU: 32
; Occupancy: 16
; WaveLimiterHint : 0
; COMPUTE_PGM_RSRC2:SCRATCH_EN: 0
; COMPUTE_PGM_RSRC2:USER_SGPR: 6
; COMPUTE_PGM_RSRC2:TRAP_HANDLER: 0
; COMPUTE_PGM_RSRC2:TGID_X_EN: 1
; COMPUTE_PGM_RSRC2:TGID_Y_EN: 0
; COMPUTE_PGM_RSRC2:TGID_Z_EN: 0
; COMPUTE_PGM_RSRC2:TIDIG_COMP_CNT: 0
	.section	.text._ZN9rocsparseL32bsr2csr_block_per_row_2_7_kernelILj256ELj6ElilEEv20rocsparse_direction_T3_S2_21rocsparse_index_base_PKT1_PKT2_PKS2_S2_S3_PS4_PS7_PS2_,"axG",@progbits,_ZN9rocsparseL32bsr2csr_block_per_row_2_7_kernelILj256ELj6ElilEEv20rocsparse_direction_T3_S2_21rocsparse_index_base_PKT1_PKT2_PKS2_S2_S3_PS4_PS7_PS2_,comdat
	.globl	_ZN9rocsparseL32bsr2csr_block_per_row_2_7_kernelILj256ELj6ElilEEv20rocsparse_direction_T3_S2_21rocsparse_index_base_PKT1_PKT2_PKS2_S2_S3_PS4_PS7_PS2_ ; -- Begin function _ZN9rocsparseL32bsr2csr_block_per_row_2_7_kernelILj256ELj6ElilEEv20rocsparse_direction_T3_S2_21rocsparse_index_base_PKT1_PKT2_PKS2_S2_S3_PS4_PS7_PS2_
	.p2align	8
	.type	_ZN9rocsparseL32bsr2csr_block_per_row_2_7_kernelILj256ELj6ElilEEv20rocsparse_direction_T3_S2_21rocsparse_index_base_PKT1_PKT2_PKS2_S2_S3_PS4_PS7_PS2_,@function
_ZN9rocsparseL32bsr2csr_block_per_row_2_7_kernelILj256ELj6ElilEEv20rocsparse_direction_T3_S2_21rocsparse_index_base_PKT1_PKT2_PKS2_S2_S3_PS4_PS7_PS2_: ; @_ZN9rocsparseL32bsr2csr_block_per_row_2_7_kernelILj256ELj6ElilEEv20rocsparse_direction_T3_S2_21rocsparse_index_base_PKT1_PKT2_PKS2_S2_S3_PS4_PS7_PS2_
; %bb.0:
	s_clause 0x2
	s_load_dwordx2 s[2:3], s[4:5], 0x28
	s_load_dword s8, s[4:5], 0x40
	s_load_dwordx2 s[0:1], s[4:5], 0x50
	s_mov_b32 s7, 0
	v_or_b32_e32 v1, s6, v0
	s_lshl_b64 s[10:11], s[6:7], 2
	s_mov_b32 s7, exec_lo
	s_waitcnt lgkmcnt(0)
	s_add_u32 s2, s2, s10
	s_addc_u32 s3, s3, s11
	v_cmpx_eq_u32_e32 0, v1
	s_cbranch_execz .LBB83_2
; %bb.1:
	v_mov_b32_e32 v1, 0
	v_mov_b32_e32 v2, s8
	global_store_dword v1, v2, s[0:1]
.LBB83_2:
	s_or_b32 exec_lo, exec_lo, s7
	v_and_b32_e32 v1, 7, v0
	s_mov_b32 s7, exec_lo
	v_cmpx_gt_u32_e32 6, v1
	s_cbranch_execz .LBB83_6
; %bb.3:
	s_load_dwordx2 s[2:3], s[2:3], 0x0
	s_load_dword s14, s[4:5], 0x18
	v_lshrrev_b32_e32 v2, 3, v0
	s_mul_hi_u32 s9, s6, 24
	s_mul_i32 s6, s6, 24
	v_lshlrev_b32_e32 v5, 2, v1
	s_waitcnt lgkmcnt(0)
	s_sub_i32 s7, s2, s14
	s_sub_i32 s15, s3, s14
	v_add_nc_u32_e32 v0, s7, v2
	s_sub_i32 s3, s15, s7
	s_mul_i32 s10, s7, 36
	s_mul_i32 s3, s3, 6
	v_mul_lo_u32 v4, s3, v1
	s_add_i32 s3, s3, s8
	v_cmp_gt_i32_e32 vcc_lo, s15, v0
	s_add_u32 s0, s0, s6
	s_addc_u32 s1, s1, s9
	v_add3_u32 v3, s3, s10, v4
	global_store_dword v5, v3, s[0:1] offset:4
	s_and_b32 exec_lo, exec_lo, vcc_lo
	s_cbranch_execz .LBB83_6
; %bb.4:
	s_clause 0x3
	s_load_dwordx2 s[0:1], s[4:5], 0x20
	s_load_dwordx2 s[6:7], s[4:5], 0x30
	;; [unrolled: 1-line block ×3, first 2 shown]
	s_load_dword s3, s[4:5], 0x0
	v_lshlrev_b32_e32 v3, 3, v1
	s_load_dwordx2 s[12:13], s[4:5], 0x58
	v_mul_u32_u24_e32 v6, 6, v2
	v_mov_b32_e32 v5, 0
	s_mov_b32 s9, 0
	s_mov_b32 s5, s9
	s_waitcnt lgkmcnt(0)
	v_add_co_u32 v2, s0, s0, v3
	v_add_co_ci_u32_e64 v3, null, s1, 0, s0
	s_mul_i32 s0, s2, 36
	s_cmp_eq_u32 s3, 0
	v_add3_u32 v8, v4, s0, v6
	v_mad_u64_u32 v[6:7], null, v1, 40, v[2:3]
	v_mul_lo_u32 v4, v0, 36
	s_mul_i32 s0, s14, 36
	s_cselect_b32 vcc_lo, -1, 0
	v_subrev_nc_u32_e32 v8, s0, v8
.LBB83_5:                               ; =>This Inner Loop Header: Depth=1
	v_lshlrev_b64 v[9:10], 3, v[4:5]
	v_ashrrev_i32_e32 v1, 31, v0
	v_add_nc_u32_e32 v4, 0x480, v4
	v_lshlrev_b64 v[11:12], 3, v[0:1]
	v_add_co_u32 v1, s0, v2, v9
	v_add_co_ci_u32_e64 v13, null, v3, v10, s0
	v_add_co_u32 v14, s0, v6, v9
	v_add_co_ci_u32_e64 v15, null, v7, v10, s0
	;; [unrolled: 2-line block ×3, first 2 shown]
	v_cndmask_b32_e32 v12, v13, v15, vcc_lo
	v_cndmask_b32_e32 v11, v1, v14, vcc_lo
	global_load_dwordx2 v[22:23], v[9:10], off
	global_load_dwordx2 v[10:11], v[11:12], off
	v_add_co_u32 v16, s0, v14, 8
	v_add_co_ci_u32_e64 v17, null, 0, v15, s0
	v_add_co_u32 v18, s0, v1, 48
	v_add_co_ci_u32_e64 v19, null, 0, v13, s0
	;; [unrolled: 2-line block ×10, first 2 shown]
	v_cndmask_b32_e32 v13, v19, v17, vcc_lo
	v_cndmask_b32_e32 v12, v18, v16, vcc_lo
	;; [unrolled: 1-line block ×10, first 2 shown]
	global_load_dwordx2 v[12:13], v[12:13], off
	global_load_dwordx2 v[14:15], v[14:15], off
	;; [unrolled: 1-line block ×5, first 2 shown]
	v_add_nc_u32_e32 v0, 32, v0
	v_ashrrev_i32_e32 v9, 31, v8
	v_cmp_le_i32_e64 s0, s15, v0
	v_lshlrev_b64 v[24:25], 3, v[8:9]
	v_add_nc_u32_e32 v8, 0xc0, v8
	s_or_b32 s5, s0, s5
	v_add_co_u32 v30, s1, s12, v24
	v_add_co_ci_u32_e64 v31, null, s13, v25, s1
	v_add_co_u32 v32, s1, s10, v24
	v_add_co_ci_u32_e64 v33, null, s11, v25, s1
	s_waitcnt vmcnt(6)
	v_sub_co_u32 v1, s0, v22, s14
	v_subrev_co_ci_u32_e64 v9, null, 0, v23, s0
	v_mad_u64_u32 v[22:23], null, v1, 6, s[8:9]
	v_mov_b32_e32 v1, v23
	v_add_co_u32 v26, s2, v22, 4
	v_add_co_u32 v28, s3, v22, 5
	v_mad_u64_u32 v[23:24], null, v9, 6, v[1:2]
	v_add_co_u32 v24, s4, v22, 1
	v_add_co_u32 v9, s0, v22, 2
	v_add_co_ci_u32_e64 v25, null, 0, v23, s4
	v_add_co_ci_u32_e64 v27, null, 0, v23, s2
	;; [unrolled: 1-line block ×3, first 2 shown]
	s_waitcnt vmcnt(4)
	global_store_dwordx4 v[32:33], v[10:13], off
	v_add_co_u32 v11, s1, v22, 3
	v_add_co_ci_u32_e64 v10, null, 0, v23, s0
	v_add_co_ci_u32_e64 v12, null, 0, v23, s1
	s_waitcnt vmcnt(2)
	global_store_dwordx4 v[32:33], v[14:17], off offset:16
	s_waitcnt vmcnt(0)
	global_store_dwordx4 v[32:33], v[18:21], off offset:32
	global_store_dwordx4 v[30:31], v[22:25], off
	global_store_dwordx4 v[30:31], v[9:12], off offset:16
	global_store_dwordx4 v[30:31], v[26:29], off offset:32
	s_andn2_b32 exec_lo, exec_lo, s5
	s_cbranch_execnz .LBB83_5
.LBB83_6:
	s_endpgm
	.section	.rodata,"a",@progbits
	.p2align	6, 0x0
	.amdhsa_kernel _ZN9rocsparseL32bsr2csr_block_per_row_2_7_kernelILj256ELj6ElilEEv20rocsparse_direction_T3_S2_21rocsparse_index_base_PKT1_PKT2_PKS2_S2_S3_PS4_PS7_PS2_
		.amdhsa_group_segment_fixed_size 0
		.amdhsa_private_segment_fixed_size 0
		.amdhsa_kernarg_size 96
		.amdhsa_user_sgpr_count 6
		.amdhsa_user_sgpr_private_segment_buffer 1
		.amdhsa_user_sgpr_dispatch_ptr 0
		.amdhsa_user_sgpr_queue_ptr 0
		.amdhsa_user_sgpr_kernarg_segment_ptr 1
		.amdhsa_user_sgpr_dispatch_id 0
		.amdhsa_user_sgpr_flat_scratch_init 0
		.amdhsa_user_sgpr_private_segment_size 0
		.amdhsa_wavefront_size32 1
		.amdhsa_uses_dynamic_stack 0
		.amdhsa_system_sgpr_private_segment_wavefront_offset 0
		.amdhsa_system_sgpr_workgroup_id_x 1
		.amdhsa_system_sgpr_workgroup_id_y 0
		.amdhsa_system_sgpr_workgroup_id_z 0
		.amdhsa_system_sgpr_workgroup_info 0
		.amdhsa_system_vgpr_workitem_id 0
		.amdhsa_next_free_vgpr 37
		.amdhsa_next_free_sgpr 16
		.amdhsa_reserve_vcc 1
		.amdhsa_reserve_flat_scratch 0
		.amdhsa_float_round_mode_32 0
		.amdhsa_float_round_mode_16_64 0
		.amdhsa_float_denorm_mode_32 3
		.amdhsa_float_denorm_mode_16_64 3
		.amdhsa_dx10_clamp 1
		.amdhsa_ieee_mode 1
		.amdhsa_fp16_overflow 0
		.amdhsa_workgroup_processor_mode 1
		.amdhsa_memory_ordered 1
		.amdhsa_forward_progress 1
		.amdhsa_shared_vgpr_count 0
		.amdhsa_exception_fp_ieee_invalid_op 0
		.amdhsa_exception_fp_denorm_src 0
		.amdhsa_exception_fp_ieee_div_zero 0
		.amdhsa_exception_fp_ieee_overflow 0
		.amdhsa_exception_fp_ieee_underflow 0
		.amdhsa_exception_fp_ieee_inexact 0
		.amdhsa_exception_int_div_zero 0
	.end_amdhsa_kernel
	.section	.text._ZN9rocsparseL32bsr2csr_block_per_row_2_7_kernelILj256ELj6ElilEEv20rocsparse_direction_T3_S2_21rocsparse_index_base_PKT1_PKT2_PKS2_S2_S3_PS4_PS7_PS2_,"axG",@progbits,_ZN9rocsparseL32bsr2csr_block_per_row_2_7_kernelILj256ELj6ElilEEv20rocsparse_direction_T3_S2_21rocsparse_index_base_PKT1_PKT2_PKS2_S2_S3_PS4_PS7_PS2_,comdat
.Lfunc_end83:
	.size	_ZN9rocsparseL32bsr2csr_block_per_row_2_7_kernelILj256ELj6ElilEEv20rocsparse_direction_T3_S2_21rocsparse_index_base_PKT1_PKT2_PKS2_S2_S3_PS4_PS7_PS2_, .Lfunc_end83-_ZN9rocsparseL32bsr2csr_block_per_row_2_7_kernelILj256ELj6ElilEEv20rocsparse_direction_T3_S2_21rocsparse_index_base_PKT1_PKT2_PKS2_S2_S3_PS4_PS7_PS2_
                                        ; -- End function
	.set _ZN9rocsparseL32bsr2csr_block_per_row_2_7_kernelILj256ELj6ElilEEv20rocsparse_direction_T3_S2_21rocsparse_index_base_PKT1_PKT2_PKS2_S2_S3_PS4_PS7_PS2_.num_vgpr, 37
	.set _ZN9rocsparseL32bsr2csr_block_per_row_2_7_kernelILj256ELj6ElilEEv20rocsparse_direction_T3_S2_21rocsparse_index_base_PKT1_PKT2_PKS2_S2_S3_PS4_PS7_PS2_.num_agpr, 0
	.set _ZN9rocsparseL32bsr2csr_block_per_row_2_7_kernelILj256ELj6ElilEEv20rocsparse_direction_T3_S2_21rocsparse_index_base_PKT1_PKT2_PKS2_S2_S3_PS4_PS7_PS2_.numbered_sgpr, 16
	.set _ZN9rocsparseL32bsr2csr_block_per_row_2_7_kernelILj256ELj6ElilEEv20rocsparse_direction_T3_S2_21rocsparse_index_base_PKT1_PKT2_PKS2_S2_S3_PS4_PS7_PS2_.num_named_barrier, 0
	.set _ZN9rocsparseL32bsr2csr_block_per_row_2_7_kernelILj256ELj6ElilEEv20rocsparse_direction_T3_S2_21rocsparse_index_base_PKT1_PKT2_PKS2_S2_S3_PS4_PS7_PS2_.private_seg_size, 0
	.set _ZN9rocsparseL32bsr2csr_block_per_row_2_7_kernelILj256ELj6ElilEEv20rocsparse_direction_T3_S2_21rocsparse_index_base_PKT1_PKT2_PKS2_S2_S3_PS4_PS7_PS2_.uses_vcc, 1
	.set _ZN9rocsparseL32bsr2csr_block_per_row_2_7_kernelILj256ELj6ElilEEv20rocsparse_direction_T3_S2_21rocsparse_index_base_PKT1_PKT2_PKS2_S2_S3_PS4_PS7_PS2_.uses_flat_scratch, 0
	.set _ZN9rocsparseL32bsr2csr_block_per_row_2_7_kernelILj256ELj6ElilEEv20rocsparse_direction_T3_S2_21rocsparse_index_base_PKT1_PKT2_PKS2_S2_S3_PS4_PS7_PS2_.has_dyn_sized_stack, 0
	.set _ZN9rocsparseL32bsr2csr_block_per_row_2_7_kernelILj256ELj6ElilEEv20rocsparse_direction_T3_S2_21rocsparse_index_base_PKT1_PKT2_PKS2_S2_S3_PS4_PS7_PS2_.has_recursion, 0
	.set _ZN9rocsparseL32bsr2csr_block_per_row_2_7_kernelILj256ELj6ElilEEv20rocsparse_direction_T3_S2_21rocsparse_index_base_PKT1_PKT2_PKS2_S2_S3_PS4_PS7_PS2_.has_indirect_call, 0
	.section	.AMDGPU.csdata,"",@progbits
; Kernel info:
; codeLenInByte = 952
; TotalNumSgprs: 18
; NumVgprs: 37
; ScratchSize: 0
; MemoryBound: 0
; FloatMode: 240
; IeeeMode: 1
; LDSByteSize: 0 bytes/workgroup (compile time only)
; SGPRBlocks: 0
; VGPRBlocks: 4
; NumSGPRsForWavesPerEU: 18
; NumVGPRsForWavesPerEU: 37
; Occupancy: 16
; WaveLimiterHint : 0
; COMPUTE_PGM_RSRC2:SCRATCH_EN: 0
; COMPUTE_PGM_RSRC2:USER_SGPR: 6
; COMPUTE_PGM_RSRC2:TRAP_HANDLER: 0
; COMPUTE_PGM_RSRC2:TGID_X_EN: 1
; COMPUTE_PGM_RSRC2:TGID_Y_EN: 0
; COMPUTE_PGM_RSRC2:TGID_Z_EN: 0
; COMPUTE_PGM_RSRC2:TIDIG_COMP_CNT: 0
	.section	.text._ZN9rocsparseL32bsr2csr_block_per_row_2_7_kernelILj256ELj7ElilEEv20rocsparse_direction_T3_S2_21rocsparse_index_base_PKT1_PKT2_PKS2_S2_S3_PS4_PS7_PS2_,"axG",@progbits,_ZN9rocsparseL32bsr2csr_block_per_row_2_7_kernelILj256ELj7ElilEEv20rocsparse_direction_T3_S2_21rocsparse_index_base_PKT1_PKT2_PKS2_S2_S3_PS4_PS7_PS2_,comdat
	.globl	_ZN9rocsparseL32bsr2csr_block_per_row_2_7_kernelILj256ELj7ElilEEv20rocsparse_direction_T3_S2_21rocsparse_index_base_PKT1_PKT2_PKS2_S2_S3_PS4_PS7_PS2_ ; -- Begin function _ZN9rocsparseL32bsr2csr_block_per_row_2_7_kernelILj256ELj7ElilEEv20rocsparse_direction_T3_S2_21rocsparse_index_base_PKT1_PKT2_PKS2_S2_S3_PS4_PS7_PS2_
	.p2align	8
	.type	_ZN9rocsparseL32bsr2csr_block_per_row_2_7_kernelILj256ELj7ElilEEv20rocsparse_direction_T3_S2_21rocsparse_index_base_PKT1_PKT2_PKS2_S2_S3_PS4_PS7_PS2_,@function
_ZN9rocsparseL32bsr2csr_block_per_row_2_7_kernelILj256ELj7ElilEEv20rocsparse_direction_T3_S2_21rocsparse_index_base_PKT1_PKT2_PKS2_S2_S3_PS4_PS7_PS2_: ; @_ZN9rocsparseL32bsr2csr_block_per_row_2_7_kernelILj256ELj7ElilEEv20rocsparse_direction_T3_S2_21rocsparse_index_base_PKT1_PKT2_PKS2_S2_S3_PS4_PS7_PS2_
; %bb.0:
	s_clause 0x2
	s_load_dwordx2 s[2:3], s[4:5], 0x28
	s_load_dword s8, s[4:5], 0x40
	s_load_dwordx2 s[0:1], s[4:5], 0x50
	s_mov_b32 s7, 0
	v_or_b32_e32 v1, s6, v0
	s_lshl_b64 s[10:11], s[6:7], 2
	s_mov_b32 s7, exec_lo
	s_waitcnt lgkmcnt(0)
	s_add_u32 s2, s2, s10
	s_addc_u32 s3, s3, s11
	v_cmpx_eq_u32_e32 0, v1
	s_cbranch_execz .LBB84_2
; %bb.1:
	v_mov_b32_e32 v1, 0
	v_mov_b32_e32 v2, s8
	global_store_dword v1, v2, s[0:1]
.LBB84_2:
	s_or_b32 exec_lo, exec_lo, s7
	v_and_b32_e32 v1, 7, v0
	s_mov_b32 s7, exec_lo
	v_cmpx_ne_u32_e32 7, v1
	s_cbranch_execz .LBB84_6
; %bb.3:
	s_load_dwordx2 s[2:3], s[2:3], 0x0
	s_load_dword s14, s[4:5], 0x18
	v_lshrrev_b32_e32 v2, 3, v0
	s_mul_hi_u32 s9, s6, 28
	s_mul_i32 s6, s6, 28
	v_lshlrev_b32_e32 v5, 2, v1
	s_waitcnt lgkmcnt(0)
	s_sub_i32 s7, s2, s14
	s_sub_i32 s15, s3, s14
	v_add_nc_u32_e32 v0, s7, v2
	s_sub_i32 s3, s15, s7
	s_mul_i32 s10, s7, 49
	s_mul_i32 s3, s3, 7
	v_mul_lo_u32 v4, s3, v1
	s_add_i32 s3, s3, s8
	v_cmp_gt_i32_e32 vcc_lo, s15, v0
	s_add_u32 s0, s0, s6
	s_addc_u32 s1, s1, s9
	v_add3_u32 v3, s3, s10, v4
	global_store_dword v5, v3, s[0:1] offset:4
	s_and_b32 exec_lo, exec_lo, vcc_lo
	s_cbranch_execz .LBB84_6
; %bb.4:
	s_clause 0x3
	s_load_dwordx2 s[0:1], s[4:5], 0x20
	s_load_dwordx2 s[6:7], s[4:5], 0x30
	;; [unrolled: 1-line block ×3, first 2 shown]
	s_load_dword s3, s[4:5], 0x0
	v_lshlrev_b32_e32 v3, 3, v1
	s_load_dwordx2 s[12:13], s[4:5], 0x58
	v_mul_u32_u24_e32 v6, 7, v2
	v_mov_b32_e32 v5, 0
	s_mov_b32 s9, 0
	s_mov_b32 s16, s9
	s_waitcnt lgkmcnt(0)
	v_add_co_u32 v2, s0, s0, v3
	v_add_co_ci_u32_e64 v3, null, s1, 0, s0
	s_mul_i32 s0, s2, 49
	s_cmp_eq_u32 s3, 0
	v_add3_u32 v8, v4, s0, v6
	v_mad_u64_u32 v[6:7], null, v1, 48, v[2:3]
	v_mul_lo_u32 v4, v0, 49
	s_mul_i32 s0, s14, 49
	s_cselect_b32 vcc_lo, -1, 0
	v_subrev_nc_u32_e32 v8, s0, v8
.LBB84_5:                               ; =>This Inner Loop Header: Depth=1
	v_lshlrev_b64 v[9:10], 3, v[4:5]
	v_ashrrev_i32_e32 v1, 31, v0
	v_add_nc_u32_e32 v4, 0x620, v4
	v_lshlrev_b64 v[11:12], 3, v[0:1]
	v_add_co_u32 v1, s0, v2, v9
	v_add_co_ci_u32_e64 v13, null, v3, v10, s0
	v_add_co_u32 v14, s0, v6, v9
	v_add_co_ci_u32_e64 v15, null, v7, v10, s0
	;; [unrolled: 2-line block ×3, first 2 shown]
	v_cndmask_b32_e32 v12, v13, v15, vcc_lo
	v_cndmask_b32_e32 v11, v1, v14, vcc_lo
	v_add_co_u32 v16, s0, v14, 8
	v_add_co_ci_u32_e64 v17, null, 0, v15, s0
	v_add_co_u32 v18, s0, v1, 56
	v_add_co_ci_u32_e64 v19, null, 0, v13, s0
	v_add_co_u32 v20, s0, v14, 16
	global_load_dwordx2 v[22:23], v[9:10], off
	global_load_dwordx2 v[10:11], v[11:12], off
	v_add_co_ci_u32_e64 v21, null, 0, v15, s0
	v_add_co_u32 v24, s0, 0x70, v1
	v_add_co_ci_u32_e64 v25, null, 0, v13, s0
	v_add_co_u32 v26, s0, v14, 24
	;; [unrolled: 2-line block ×9, first 2 shown]
	v_add_co_ci_u32_e64 v40, null, 0, v13, s0
	v_cndmask_b32_e32 v13, v19, v17, vcc_lo
	v_cndmask_b32_e32 v12, v18, v16, vcc_lo
	;; [unrolled: 1-line block ×12, first 2 shown]
	global_load_dwordx2 v[12:13], v[12:13], off
	global_load_dwordx2 v[14:15], v[14:15], off
	;; [unrolled: 1-line block ×6, first 2 shown]
	v_add_nc_u32_e32 v0, 32, v0
	v_ashrrev_i32_e32 v9, 31, v8
	v_cmp_le_i32_e64 s0, s15, v0
	v_lshlrev_b64 v[24:25], 3, v[8:9]
	v_add_nc_u32_e32 v8, 0xe0, v8
	s_or_b32 s16, s0, s16
	v_add_co_u32 v28, s1, s12, v24
	v_add_co_ci_u32_e64 v29, null, s13, v25, s1
	v_add_co_u32 v30, s1, s10, v24
	v_add_co_ci_u32_e64 v31, null, s11, v25, s1
	s_waitcnt vmcnt(5)
	global_store_dwordx4 v[30:31], v[10:13], off
	s_waitcnt vmcnt(3)
	global_store_dwordx4 v[30:31], v[14:17], off offset:16
	s_waitcnt vmcnt(1)
	global_store_dwordx4 v[30:31], v[18:21], off offset:32
	v_sub_co_u32 v1, s0, v22, s14
	v_subrev_co_ci_u32_e64 v9, null, 0, v23, s0
	v_mad_u64_u32 v[22:23], null, v1, 7, s[8:9]
	v_mov_b32_e32 v1, v23
	v_add_co_u32 v11, s1, v22, 3
	v_add_co_u32 v13, s2, v22, 4
	v_mad_u64_u32 v[23:24], null, v9, 7, v[1:2]
	v_add_co_u32 v24, s5, v22, 1
	v_add_co_u32 v9, s0, v22, 2
	v_add_co_u32 v15, s3, v22, 5
	v_add_co_ci_u32_e64 v25, null, 0, v23, s5
	v_add_co_u32 v17, s4, v22, 6
	v_add_co_ci_u32_e64 v10, null, 0, v23, s0
	v_add_co_ci_u32_e64 v12, null, 0, v23, s1
	;; [unrolled: 1-line block ×5, first 2 shown]
	s_waitcnt vmcnt(0)
	global_store_dwordx2 v[30:31], v[26:27], off offset:48
	global_store_dwordx4 v[28:29], v[22:25], off
	global_store_dwordx4 v[28:29], v[9:12], off offset:16
	global_store_dwordx4 v[28:29], v[13:16], off offset:32
	global_store_dwordx2 v[28:29], v[17:18], off offset:48
	s_andn2_b32 exec_lo, exec_lo, s16
	s_cbranch_execnz .LBB84_5
.LBB84_6:
	s_endpgm
	.section	.rodata,"a",@progbits
	.p2align	6, 0x0
	.amdhsa_kernel _ZN9rocsparseL32bsr2csr_block_per_row_2_7_kernelILj256ELj7ElilEEv20rocsparse_direction_T3_S2_21rocsparse_index_base_PKT1_PKT2_PKS2_S2_S3_PS4_PS7_PS2_
		.amdhsa_group_segment_fixed_size 0
		.amdhsa_private_segment_fixed_size 0
		.amdhsa_kernarg_size 96
		.amdhsa_user_sgpr_count 6
		.amdhsa_user_sgpr_private_segment_buffer 1
		.amdhsa_user_sgpr_dispatch_ptr 0
		.amdhsa_user_sgpr_queue_ptr 0
		.amdhsa_user_sgpr_kernarg_segment_ptr 1
		.amdhsa_user_sgpr_dispatch_id 0
		.amdhsa_user_sgpr_flat_scratch_init 0
		.amdhsa_user_sgpr_private_segment_size 0
		.amdhsa_wavefront_size32 1
		.amdhsa_uses_dynamic_stack 0
		.amdhsa_system_sgpr_private_segment_wavefront_offset 0
		.amdhsa_system_sgpr_workgroup_id_x 1
		.amdhsa_system_sgpr_workgroup_id_y 0
		.amdhsa_system_sgpr_workgroup_id_z 0
		.amdhsa_system_sgpr_workgroup_info 0
		.amdhsa_system_vgpr_workitem_id 0
		.amdhsa_next_free_vgpr 41
		.amdhsa_next_free_sgpr 17
		.amdhsa_reserve_vcc 1
		.amdhsa_reserve_flat_scratch 0
		.amdhsa_float_round_mode_32 0
		.amdhsa_float_round_mode_16_64 0
		.amdhsa_float_denorm_mode_32 3
		.amdhsa_float_denorm_mode_16_64 3
		.amdhsa_dx10_clamp 1
		.amdhsa_ieee_mode 1
		.amdhsa_fp16_overflow 0
		.amdhsa_workgroup_processor_mode 1
		.amdhsa_memory_ordered 1
		.amdhsa_forward_progress 1
		.amdhsa_shared_vgpr_count 0
		.amdhsa_exception_fp_ieee_invalid_op 0
		.amdhsa_exception_fp_denorm_src 0
		.amdhsa_exception_fp_ieee_div_zero 0
		.amdhsa_exception_fp_ieee_overflow 0
		.amdhsa_exception_fp_ieee_underflow 0
		.amdhsa_exception_fp_ieee_inexact 0
		.amdhsa_exception_int_div_zero 0
	.end_amdhsa_kernel
	.section	.text._ZN9rocsparseL32bsr2csr_block_per_row_2_7_kernelILj256ELj7ElilEEv20rocsparse_direction_T3_S2_21rocsparse_index_base_PKT1_PKT2_PKS2_S2_S3_PS4_PS7_PS2_,"axG",@progbits,_ZN9rocsparseL32bsr2csr_block_per_row_2_7_kernelILj256ELj7ElilEEv20rocsparse_direction_T3_S2_21rocsparse_index_base_PKT1_PKT2_PKS2_S2_S3_PS4_PS7_PS2_,comdat
.Lfunc_end84:
	.size	_ZN9rocsparseL32bsr2csr_block_per_row_2_7_kernelILj256ELj7ElilEEv20rocsparse_direction_T3_S2_21rocsparse_index_base_PKT1_PKT2_PKS2_S2_S3_PS4_PS7_PS2_, .Lfunc_end84-_ZN9rocsparseL32bsr2csr_block_per_row_2_7_kernelILj256ELj7ElilEEv20rocsparse_direction_T3_S2_21rocsparse_index_base_PKT1_PKT2_PKS2_S2_S3_PS4_PS7_PS2_
                                        ; -- End function
	.set _ZN9rocsparseL32bsr2csr_block_per_row_2_7_kernelILj256ELj7ElilEEv20rocsparse_direction_T3_S2_21rocsparse_index_base_PKT1_PKT2_PKS2_S2_S3_PS4_PS7_PS2_.num_vgpr, 41
	.set _ZN9rocsparseL32bsr2csr_block_per_row_2_7_kernelILj256ELj7ElilEEv20rocsparse_direction_T3_S2_21rocsparse_index_base_PKT1_PKT2_PKS2_S2_S3_PS4_PS7_PS2_.num_agpr, 0
	.set _ZN9rocsparseL32bsr2csr_block_per_row_2_7_kernelILj256ELj7ElilEEv20rocsparse_direction_T3_S2_21rocsparse_index_base_PKT1_PKT2_PKS2_S2_S3_PS4_PS7_PS2_.numbered_sgpr, 17
	.set _ZN9rocsparseL32bsr2csr_block_per_row_2_7_kernelILj256ELj7ElilEEv20rocsparse_direction_T3_S2_21rocsparse_index_base_PKT1_PKT2_PKS2_S2_S3_PS4_PS7_PS2_.num_named_barrier, 0
	.set _ZN9rocsparseL32bsr2csr_block_per_row_2_7_kernelILj256ELj7ElilEEv20rocsparse_direction_T3_S2_21rocsparse_index_base_PKT1_PKT2_PKS2_S2_S3_PS4_PS7_PS2_.private_seg_size, 0
	.set _ZN9rocsparseL32bsr2csr_block_per_row_2_7_kernelILj256ELj7ElilEEv20rocsparse_direction_T3_S2_21rocsparse_index_base_PKT1_PKT2_PKS2_S2_S3_PS4_PS7_PS2_.uses_vcc, 1
	.set _ZN9rocsparseL32bsr2csr_block_per_row_2_7_kernelILj256ELj7ElilEEv20rocsparse_direction_T3_S2_21rocsparse_index_base_PKT1_PKT2_PKS2_S2_S3_PS4_PS7_PS2_.uses_flat_scratch, 0
	.set _ZN9rocsparseL32bsr2csr_block_per_row_2_7_kernelILj256ELj7ElilEEv20rocsparse_direction_T3_S2_21rocsparse_index_base_PKT1_PKT2_PKS2_S2_S3_PS4_PS7_PS2_.has_dyn_sized_stack, 0
	.set _ZN9rocsparseL32bsr2csr_block_per_row_2_7_kernelILj256ELj7ElilEEv20rocsparse_direction_T3_S2_21rocsparse_index_base_PKT1_PKT2_PKS2_S2_S3_PS4_PS7_PS2_.has_recursion, 0
	.set _ZN9rocsparseL32bsr2csr_block_per_row_2_7_kernelILj256ELj7ElilEEv20rocsparse_direction_T3_S2_21rocsparse_index_base_PKT1_PKT2_PKS2_S2_S3_PS4_PS7_PS2_.has_indirect_call, 0
	.section	.AMDGPU.csdata,"",@progbits
; Kernel info:
; codeLenInByte = 1036
; TotalNumSgprs: 19
; NumVgprs: 41
; ScratchSize: 0
; MemoryBound: 0
; FloatMode: 240
; IeeeMode: 1
; LDSByteSize: 0 bytes/workgroup (compile time only)
; SGPRBlocks: 0
; VGPRBlocks: 5
; NumSGPRsForWavesPerEU: 19
; NumVGPRsForWavesPerEU: 41
; Occupancy: 16
; WaveLimiterHint : 0
; COMPUTE_PGM_RSRC2:SCRATCH_EN: 0
; COMPUTE_PGM_RSRC2:USER_SGPR: 6
; COMPUTE_PGM_RSRC2:TRAP_HANDLER: 0
; COMPUTE_PGM_RSRC2:TGID_X_EN: 1
; COMPUTE_PGM_RSRC2:TGID_Y_EN: 0
; COMPUTE_PGM_RSRC2:TGID_Z_EN: 0
; COMPUTE_PGM_RSRC2:TIDIG_COMP_CNT: 0
	.section	.text._ZN9rocsparseL33bsr2csr_block_per_row_8_32_kernelILj1024ELj8ElilEEv20rocsparse_direction_T3_S2_21rocsparse_index_base_PKT1_PKT2_PKS2_S2_S3_PS4_PS7_PS2_,"axG",@progbits,_ZN9rocsparseL33bsr2csr_block_per_row_8_32_kernelILj1024ELj8ElilEEv20rocsparse_direction_T3_S2_21rocsparse_index_base_PKT1_PKT2_PKS2_S2_S3_PS4_PS7_PS2_,comdat
	.globl	_ZN9rocsparseL33bsr2csr_block_per_row_8_32_kernelILj1024ELj8ElilEEv20rocsparse_direction_T3_S2_21rocsparse_index_base_PKT1_PKT2_PKS2_S2_S3_PS4_PS7_PS2_ ; -- Begin function _ZN9rocsparseL33bsr2csr_block_per_row_8_32_kernelILj1024ELj8ElilEEv20rocsparse_direction_T3_S2_21rocsparse_index_base_PKT1_PKT2_PKS2_S2_S3_PS4_PS7_PS2_
	.p2align	8
	.type	_ZN9rocsparseL33bsr2csr_block_per_row_8_32_kernelILj1024ELj8ElilEEv20rocsparse_direction_T3_S2_21rocsparse_index_base_PKT1_PKT2_PKS2_S2_S3_PS4_PS7_PS2_,@function
_ZN9rocsparseL33bsr2csr_block_per_row_8_32_kernelILj1024ELj8ElilEEv20rocsparse_direction_T3_S2_21rocsparse_index_base_PKT1_PKT2_PKS2_S2_S3_PS4_PS7_PS2_: ; @_ZN9rocsparseL33bsr2csr_block_per_row_8_32_kernelILj1024ELj8ElilEEv20rocsparse_direction_T3_S2_21rocsparse_index_base_PKT1_PKT2_PKS2_S2_S3_PS4_PS7_PS2_
; %bb.0:
	s_clause 0x2
	s_load_dwordx2 s[2:3], s[4:5], 0x28
	s_load_dword s1, s[4:5], 0x40
	s_load_dwordx2 s[8:9], s[4:5], 0x50
	s_mov_b32 s7, 0
	v_or_b32_e32 v1, s6, v0
	s_lshl_b64 s[10:11], s[6:7], 2
	s_mov_b32 s0, exec_lo
	s_waitcnt lgkmcnt(0)
	s_add_u32 s10, s2, s10
	s_addc_u32 s11, s3, s11
	v_cmpx_eq_u32_e32 0, v1
	s_cbranch_execz .LBB85_2
; %bb.1:
	v_mov_b32_e32 v1, 0
	v_mov_b32_e32 v2, s1
	global_store_dword v1, v2, s[8:9]
.LBB85_2:
	s_or_b32 exec_lo, exec_lo, s0
	s_load_dwordx2 s[2:3], s[4:5], 0x38
	v_mov_b32_e32 v2, 0
	v_bfe_u32 v3, v0, 3, 3
	v_and_b32_e32 v1, 7, v0
	v_mov_b32_e32 v4, v2
	s_waitcnt lgkmcnt(0)
	v_cmp_gt_i64_e32 vcc_lo, s[2:3], v[3:4]
	v_cmp_gt_i64_e64 s0, s[2:3], v[1:2]
	s_and_b32 s0, vcc_lo, s0
	s_and_saveexec_b32 s7, s0
	s_cbranch_execz .LBB85_6
; %bb.3:
	s_load_dwordx2 s[10:11], s[10:11], 0x0
	s_load_dword s12, s[4:5], 0x18
	v_lshrrev_b32_e32 v2, 6, v0
	s_mul_i32 s14, s2, s2
	s_mul_i32 s7, s3, s6
	v_lshlrev_b32_e32 v5, 2, v3
	s_waitcnt lgkmcnt(0)
	s_sub_i32 s0, s10, s12
	s_sub_i32 s13, s11, s12
	v_add_nc_u32_e32 v0, s0, v2
	s_sub_i32 s15, s13, s0
	s_mul_hi_u32 s11, s2, s6
	s_mul_i32 s10, s2, s15
	s_mul_i32 s6, s2, s6
	v_mul_lo_u32 v4, s10, v3
	s_add_i32 s7, s11, s7
	s_mul_i32 s11, s14, s0
	s_add_i32 s10, s1, s10
	s_lshl_b64 s[6:7], s[6:7], 2
	v_cmp_gt_i32_e32 vcc_lo, s13, v0
	s_add_u32 s6, s8, s6
	s_addc_u32 s7, s9, s7
	v_add3_u32 v4, s10, s11, v4
	global_store_dword v5, v4, s[6:7] offset:4
	s_and_b32 exec_lo, exec_lo, vcc_lo
	s_cbranch_execz .LBB85_6
; %bb.4:
	v_mad_u64_u32 v[4:5], null, s2, v1, 0
	v_mad_u64_u32 v[6:7], null, s2, v3, 0
	s_clause 0x4
	s_load_dwordx2 s[16:17], s[4:5], 0x20
	s_load_dwordx2 s[6:7], s[4:5], 0x58
	;; [unrolled: 1-line block ×4, first 2 shown]
	s_load_dword s5, s[4:5], 0x0
	v_mul_lo_u32 v10, s15, v3
	s_mul_i32 s0, s2, s0
	s_mul_i32 s18, s2, s3
	v_mad_u64_u32 v[8:9], null, s3, v1, v[5:6]
	v_lshlrev_b32_e32 v9, 3, v1
	s_mul_hi_u32 s19, s2, s2
	v_add3_u32 v2, v2, s0, v10
	s_add_i32 s4, s19, s18
	v_mov_b32_e32 v5, v8
	v_mad_u64_u32 v[7:8], null, s3, v3, v[7:8]
	v_lshlrev_b32_e32 v8, 3, v3
	s_add_i32 s4, s4, s18
	v_lshlrev_b64 v[4:5], 3, v[4:5]
	s_waitcnt lgkmcnt(0)
	s_cmp_eq_u32 s5, 0
	s_mov_b32 s5, 0
	v_add_co_u32 v11, vcc_lo, s16, v4
	v_lshlrev_b64 v[3:4], 3, v[6:7]
	v_add_co_ci_u32_e64 v5, null, s17, v5, vcc_lo
	v_add_co_u32 v7, vcc_lo, v11, v8
	v_add_co_ci_u32_e64 v8, null, 0, v5, vcc_lo
	v_add_co_u32 v3, vcc_lo, s16, v3
	v_add_co_ci_u32_e64 v4, null, s17, v4, vcc_lo
	v_mad_u64_u32 v[5:6], null, s2, v2, v[1:2]
	v_add_co_u32 v9, vcc_lo, v3, v9
	v_add_co_ci_u32_e64 v10, null, 0, v4, vcc_lo
	v_add_co_u32 v2, s0, v1, s1
	s_cselect_b32 vcc_lo, -1, 0
	v_add_co_ci_u32_e64 v3, null, 0, 0, s0
	v_mov_b32_e32 v4, 0
	v_cndmask_b32_e32 v6, v8, v10, vcc_lo
	v_cndmask_b32_e32 v7, v7, v9, vcc_lo
	s_lshl_b32 s15, s2, 4
.LBB85_5:                               ; =>This Inner Loop Header: Depth=1
	v_ashrrev_i32_e32 v1, 31, v0
	v_mul_lo_u32 v12, s4, v0
	v_mad_u64_u32 v[8:9], null, s14, v0, 0
	v_lshlrev_b64 v[10:11], 3, v[0:1]
	v_mul_lo_u32 v1, s14, v1
	v_add_nc_u32_e32 v0, 16, v0
	v_add_co_u32 v10, vcc_lo, s8, v10
	v_add_co_ci_u32_e64 v11, null, s9, v11, vcc_lo
	v_add3_u32 v9, v9, v1, v12
	v_ashrrev_i64 v[12:13], 29, v[4:5]
	global_load_dwordx2 v[10:11], v[10:11], off
	v_lshlrev_b64 v[8:9], 3, v[8:9]
	v_add_co_u32 v14, s0, s6, v12
	v_add_co_ci_u32_e64 v15, null, s7, v13, s0
	v_add_co_u32 v8, vcc_lo, v7, v8
	v_add_co_ci_u32_e64 v9, null, v6, v9, vcc_lo
	v_add_co_u32 v12, s0, s10, v12
	v_add_co_u32 v4, vcc_lo, v4, 0
	global_load_dwordx2 v[8:9], v[8:9], off
	v_add_co_ci_u32_e64 v13, null, s11, v13, s0
	v_cmp_le_i32_e64 s0, s13, v0
	v_add_co_ci_u32_e64 v5, null, s15, v5, vcc_lo
	s_or_b32 s5, s0, s5
	s_waitcnt vmcnt(1)
	v_sub_co_u32 v1, s1, v10, s12
	v_subrev_co_ci_u32_e64 v10, null, 0, v11, s1
	v_mul_lo_u32 v16, v1, s3
	v_mul_lo_u32 v17, v10, s2
	v_mad_u64_u32 v[10:11], null, v1, s2, v[2:3]
	v_add3_u32 v11, v17, v11, v16
	s_waitcnt vmcnt(0)
	global_store_dwordx2 v[12:13], v[8:9], off
	global_store_dwordx2 v[14:15], v[10:11], off
	s_andn2_b32 exec_lo, exec_lo, s5
	s_cbranch_execnz .LBB85_5
.LBB85_6:
	s_endpgm
	.section	.rodata,"a",@progbits
	.p2align	6, 0x0
	.amdhsa_kernel _ZN9rocsparseL33bsr2csr_block_per_row_8_32_kernelILj1024ELj8ElilEEv20rocsparse_direction_T3_S2_21rocsparse_index_base_PKT1_PKT2_PKS2_S2_S3_PS4_PS7_PS2_
		.amdhsa_group_segment_fixed_size 0
		.amdhsa_private_segment_fixed_size 0
		.amdhsa_kernarg_size 96
		.amdhsa_user_sgpr_count 6
		.amdhsa_user_sgpr_private_segment_buffer 1
		.amdhsa_user_sgpr_dispatch_ptr 0
		.amdhsa_user_sgpr_queue_ptr 0
		.amdhsa_user_sgpr_kernarg_segment_ptr 1
		.amdhsa_user_sgpr_dispatch_id 0
		.amdhsa_user_sgpr_flat_scratch_init 0
		.amdhsa_user_sgpr_private_segment_size 0
		.amdhsa_wavefront_size32 1
		.amdhsa_uses_dynamic_stack 0
		.amdhsa_system_sgpr_private_segment_wavefront_offset 0
		.amdhsa_system_sgpr_workgroup_id_x 1
		.amdhsa_system_sgpr_workgroup_id_y 0
		.amdhsa_system_sgpr_workgroup_id_z 0
		.amdhsa_system_sgpr_workgroup_info 0
		.amdhsa_system_vgpr_workitem_id 0
		.amdhsa_next_free_vgpr 18
		.amdhsa_next_free_sgpr 20
		.amdhsa_reserve_vcc 1
		.amdhsa_reserve_flat_scratch 0
		.amdhsa_float_round_mode_32 0
		.amdhsa_float_round_mode_16_64 0
		.amdhsa_float_denorm_mode_32 3
		.amdhsa_float_denorm_mode_16_64 3
		.amdhsa_dx10_clamp 1
		.amdhsa_ieee_mode 1
		.amdhsa_fp16_overflow 0
		.amdhsa_workgroup_processor_mode 1
		.amdhsa_memory_ordered 1
		.amdhsa_forward_progress 1
		.amdhsa_shared_vgpr_count 0
		.amdhsa_exception_fp_ieee_invalid_op 0
		.amdhsa_exception_fp_denorm_src 0
		.amdhsa_exception_fp_ieee_div_zero 0
		.amdhsa_exception_fp_ieee_overflow 0
		.amdhsa_exception_fp_ieee_underflow 0
		.amdhsa_exception_fp_ieee_inexact 0
		.amdhsa_exception_int_div_zero 0
	.end_amdhsa_kernel
	.section	.text._ZN9rocsparseL33bsr2csr_block_per_row_8_32_kernelILj1024ELj8ElilEEv20rocsparse_direction_T3_S2_21rocsparse_index_base_PKT1_PKT2_PKS2_S2_S3_PS4_PS7_PS2_,"axG",@progbits,_ZN9rocsparseL33bsr2csr_block_per_row_8_32_kernelILj1024ELj8ElilEEv20rocsparse_direction_T3_S2_21rocsparse_index_base_PKT1_PKT2_PKS2_S2_S3_PS4_PS7_PS2_,comdat
.Lfunc_end85:
	.size	_ZN9rocsparseL33bsr2csr_block_per_row_8_32_kernelILj1024ELj8ElilEEv20rocsparse_direction_T3_S2_21rocsparse_index_base_PKT1_PKT2_PKS2_S2_S3_PS4_PS7_PS2_, .Lfunc_end85-_ZN9rocsparseL33bsr2csr_block_per_row_8_32_kernelILj1024ELj8ElilEEv20rocsparse_direction_T3_S2_21rocsparse_index_base_PKT1_PKT2_PKS2_S2_S3_PS4_PS7_PS2_
                                        ; -- End function
	.set _ZN9rocsparseL33bsr2csr_block_per_row_8_32_kernelILj1024ELj8ElilEEv20rocsparse_direction_T3_S2_21rocsparse_index_base_PKT1_PKT2_PKS2_S2_S3_PS4_PS7_PS2_.num_vgpr, 18
	.set _ZN9rocsparseL33bsr2csr_block_per_row_8_32_kernelILj1024ELj8ElilEEv20rocsparse_direction_T3_S2_21rocsparse_index_base_PKT1_PKT2_PKS2_S2_S3_PS4_PS7_PS2_.num_agpr, 0
	.set _ZN9rocsparseL33bsr2csr_block_per_row_8_32_kernelILj1024ELj8ElilEEv20rocsparse_direction_T3_S2_21rocsparse_index_base_PKT1_PKT2_PKS2_S2_S3_PS4_PS7_PS2_.numbered_sgpr, 20
	.set _ZN9rocsparseL33bsr2csr_block_per_row_8_32_kernelILj1024ELj8ElilEEv20rocsparse_direction_T3_S2_21rocsparse_index_base_PKT1_PKT2_PKS2_S2_S3_PS4_PS7_PS2_.num_named_barrier, 0
	.set _ZN9rocsparseL33bsr2csr_block_per_row_8_32_kernelILj1024ELj8ElilEEv20rocsparse_direction_T3_S2_21rocsparse_index_base_PKT1_PKT2_PKS2_S2_S3_PS4_PS7_PS2_.private_seg_size, 0
	.set _ZN9rocsparseL33bsr2csr_block_per_row_8_32_kernelILj1024ELj8ElilEEv20rocsparse_direction_T3_S2_21rocsparse_index_base_PKT1_PKT2_PKS2_S2_S3_PS4_PS7_PS2_.uses_vcc, 1
	.set _ZN9rocsparseL33bsr2csr_block_per_row_8_32_kernelILj1024ELj8ElilEEv20rocsparse_direction_T3_S2_21rocsparse_index_base_PKT1_PKT2_PKS2_S2_S3_PS4_PS7_PS2_.uses_flat_scratch, 0
	.set _ZN9rocsparseL33bsr2csr_block_per_row_8_32_kernelILj1024ELj8ElilEEv20rocsparse_direction_T3_S2_21rocsparse_index_base_PKT1_PKT2_PKS2_S2_S3_PS4_PS7_PS2_.has_dyn_sized_stack, 0
	.set _ZN9rocsparseL33bsr2csr_block_per_row_8_32_kernelILj1024ELj8ElilEEv20rocsparse_direction_T3_S2_21rocsparse_index_base_PKT1_PKT2_PKS2_S2_S3_PS4_PS7_PS2_.has_recursion, 0
	.set _ZN9rocsparseL33bsr2csr_block_per_row_8_32_kernelILj1024ELj8ElilEEv20rocsparse_direction_T3_S2_21rocsparse_index_base_PKT1_PKT2_PKS2_S2_S3_PS4_PS7_PS2_.has_indirect_call, 0
	.section	.AMDGPU.csdata,"",@progbits
; Kernel info:
; codeLenInByte = 780
; TotalNumSgprs: 22
; NumVgprs: 18
; ScratchSize: 0
; MemoryBound: 0
; FloatMode: 240
; IeeeMode: 1
; LDSByteSize: 0 bytes/workgroup (compile time only)
; SGPRBlocks: 0
; VGPRBlocks: 2
; NumSGPRsForWavesPerEU: 22
; NumVGPRsForWavesPerEU: 18
; Occupancy: 16
; WaveLimiterHint : 0
; COMPUTE_PGM_RSRC2:SCRATCH_EN: 0
; COMPUTE_PGM_RSRC2:USER_SGPR: 6
; COMPUTE_PGM_RSRC2:TRAP_HANDLER: 0
; COMPUTE_PGM_RSRC2:TGID_X_EN: 1
; COMPUTE_PGM_RSRC2:TGID_Y_EN: 0
; COMPUTE_PGM_RSRC2:TGID_Z_EN: 0
; COMPUTE_PGM_RSRC2:TIDIG_COMP_CNT: 0
	.section	.text._ZN9rocsparseL33bsr2csr_block_per_row_8_32_kernelILj1024ELj16ElilEEv20rocsparse_direction_T3_S2_21rocsparse_index_base_PKT1_PKT2_PKS2_S2_S3_PS4_PS7_PS2_,"axG",@progbits,_ZN9rocsparseL33bsr2csr_block_per_row_8_32_kernelILj1024ELj16ElilEEv20rocsparse_direction_T3_S2_21rocsparse_index_base_PKT1_PKT2_PKS2_S2_S3_PS4_PS7_PS2_,comdat
	.globl	_ZN9rocsparseL33bsr2csr_block_per_row_8_32_kernelILj1024ELj16ElilEEv20rocsparse_direction_T3_S2_21rocsparse_index_base_PKT1_PKT2_PKS2_S2_S3_PS4_PS7_PS2_ ; -- Begin function _ZN9rocsparseL33bsr2csr_block_per_row_8_32_kernelILj1024ELj16ElilEEv20rocsparse_direction_T3_S2_21rocsparse_index_base_PKT1_PKT2_PKS2_S2_S3_PS4_PS7_PS2_
	.p2align	8
	.type	_ZN9rocsparseL33bsr2csr_block_per_row_8_32_kernelILj1024ELj16ElilEEv20rocsparse_direction_T3_S2_21rocsparse_index_base_PKT1_PKT2_PKS2_S2_S3_PS4_PS7_PS2_,@function
_ZN9rocsparseL33bsr2csr_block_per_row_8_32_kernelILj1024ELj16ElilEEv20rocsparse_direction_T3_S2_21rocsparse_index_base_PKT1_PKT2_PKS2_S2_S3_PS4_PS7_PS2_: ; @_ZN9rocsparseL33bsr2csr_block_per_row_8_32_kernelILj1024ELj16ElilEEv20rocsparse_direction_T3_S2_21rocsparse_index_base_PKT1_PKT2_PKS2_S2_S3_PS4_PS7_PS2_
; %bb.0:
	s_clause 0x2
	s_load_dwordx2 s[2:3], s[4:5], 0x28
	s_load_dword s1, s[4:5], 0x40
	s_load_dwordx2 s[8:9], s[4:5], 0x50
	s_mov_b32 s7, 0
	v_or_b32_e32 v1, s6, v0
	s_lshl_b64 s[10:11], s[6:7], 2
	s_mov_b32 s0, exec_lo
	s_waitcnt lgkmcnt(0)
	s_add_u32 s10, s2, s10
	s_addc_u32 s11, s3, s11
	v_cmpx_eq_u32_e32 0, v1
	s_cbranch_execz .LBB86_2
; %bb.1:
	v_mov_b32_e32 v1, 0
	v_mov_b32_e32 v2, s1
	global_store_dword v1, v2, s[8:9]
.LBB86_2:
	s_or_b32 exec_lo, exec_lo, s0
	s_load_dwordx2 s[2:3], s[4:5], 0x38
	v_mov_b32_e32 v2, 0
	v_bfe_u32 v3, v0, 4, 4
	v_and_b32_e32 v1, 15, v0
	v_mov_b32_e32 v4, v2
	s_waitcnt lgkmcnt(0)
	v_cmp_gt_i64_e32 vcc_lo, s[2:3], v[3:4]
	v_cmp_gt_i64_e64 s0, s[2:3], v[1:2]
	s_and_b32 s0, vcc_lo, s0
	s_and_saveexec_b32 s7, s0
	s_cbranch_execz .LBB86_6
; %bb.3:
	s_load_dwordx2 s[10:11], s[10:11], 0x0
	s_load_dword s12, s[4:5], 0x18
	v_lshrrev_b32_e32 v2, 8, v0
	s_mul_i32 s14, s2, s2
	s_mul_i32 s7, s3, s6
	v_lshlrev_b32_e32 v5, 2, v3
	s_waitcnt lgkmcnt(0)
	s_sub_i32 s0, s10, s12
	s_sub_i32 s13, s11, s12
	v_add_nc_u32_e32 v0, s0, v2
	s_sub_i32 s15, s13, s0
	s_mul_hi_u32 s11, s2, s6
	s_mul_i32 s10, s2, s15
	s_mul_i32 s6, s2, s6
	v_mul_lo_u32 v4, s10, v3
	s_add_i32 s7, s11, s7
	s_mul_i32 s11, s14, s0
	s_add_i32 s10, s1, s10
	s_lshl_b64 s[6:7], s[6:7], 2
	v_cmp_gt_i32_e32 vcc_lo, s13, v0
	s_add_u32 s6, s8, s6
	s_addc_u32 s7, s9, s7
	v_add3_u32 v4, s10, s11, v4
	global_store_dword v5, v4, s[6:7] offset:4
	s_and_b32 exec_lo, exec_lo, vcc_lo
	s_cbranch_execz .LBB86_6
; %bb.4:
	v_mad_u64_u32 v[4:5], null, s2, v1, 0
	v_mad_u64_u32 v[6:7], null, s2, v3, 0
	s_clause 0x4
	s_load_dwordx2 s[16:17], s[4:5], 0x20
	s_load_dwordx2 s[6:7], s[4:5], 0x58
	;; [unrolled: 1-line block ×4, first 2 shown]
	s_load_dword s5, s[4:5], 0x0
	v_mul_lo_u32 v10, s15, v3
	s_mul_i32 s0, s2, s0
	s_mul_i32 s18, s2, s3
	v_mad_u64_u32 v[8:9], null, s3, v1, v[5:6]
	v_lshlrev_b32_e32 v9, 3, v1
	s_mul_hi_u32 s19, s2, s2
	v_add3_u32 v2, v2, s0, v10
	s_add_i32 s4, s19, s18
	v_mov_b32_e32 v5, v8
	v_mad_u64_u32 v[7:8], null, s3, v3, v[7:8]
	v_lshlrev_b32_e32 v8, 3, v3
	s_add_i32 s4, s4, s18
	v_lshlrev_b64 v[4:5], 3, v[4:5]
	s_waitcnt lgkmcnt(0)
	s_cmp_eq_u32 s5, 0
	s_mov_b32 s5, 0
	v_add_co_u32 v11, vcc_lo, s16, v4
	v_lshlrev_b64 v[3:4], 3, v[6:7]
	v_add_co_ci_u32_e64 v5, null, s17, v5, vcc_lo
	v_add_co_u32 v7, vcc_lo, v11, v8
	v_add_co_ci_u32_e64 v8, null, 0, v5, vcc_lo
	v_add_co_u32 v3, vcc_lo, s16, v3
	v_add_co_ci_u32_e64 v4, null, s17, v4, vcc_lo
	v_mad_u64_u32 v[5:6], null, s2, v2, v[1:2]
	v_add_co_u32 v9, vcc_lo, v3, v9
	v_add_co_ci_u32_e64 v10, null, 0, v4, vcc_lo
	v_add_co_u32 v2, s0, v1, s1
	s_cselect_b32 vcc_lo, -1, 0
	v_add_co_ci_u32_e64 v3, null, 0, 0, s0
	v_mov_b32_e32 v4, 0
	v_cndmask_b32_e32 v6, v8, v10, vcc_lo
	v_cndmask_b32_e32 v7, v7, v9, vcc_lo
	s_lshl_b32 s15, s2, 2
.LBB86_5:                               ; =>This Inner Loop Header: Depth=1
	v_ashrrev_i32_e32 v1, 31, v0
	v_mul_lo_u32 v12, s4, v0
	v_mad_u64_u32 v[8:9], null, s14, v0, 0
	v_lshlrev_b64 v[10:11], 3, v[0:1]
	v_mul_lo_u32 v1, s14, v1
	v_add_nc_u32_e32 v0, 4, v0
	v_add_co_u32 v10, vcc_lo, s8, v10
	v_add_co_ci_u32_e64 v11, null, s9, v11, vcc_lo
	v_add3_u32 v9, v9, v1, v12
	v_ashrrev_i64 v[12:13], 29, v[4:5]
	global_load_dwordx2 v[10:11], v[10:11], off
	v_lshlrev_b64 v[8:9], 3, v[8:9]
	v_add_co_u32 v14, s0, s6, v12
	v_add_co_ci_u32_e64 v15, null, s7, v13, s0
	v_add_co_u32 v8, vcc_lo, v7, v8
	v_add_co_ci_u32_e64 v9, null, v6, v9, vcc_lo
	v_add_co_u32 v12, s0, s10, v12
	v_add_co_u32 v4, vcc_lo, v4, 0
	global_load_dwordx2 v[8:9], v[8:9], off
	v_add_co_ci_u32_e64 v13, null, s11, v13, s0
	v_cmp_le_i32_e64 s0, s13, v0
	v_add_co_ci_u32_e64 v5, null, s15, v5, vcc_lo
	s_or_b32 s5, s0, s5
	s_waitcnt vmcnt(1)
	v_sub_co_u32 v1, s1, v10, s12
	v_subrev_co_ci_u32_e64 v10, null, 0, v11, s1
	v_mul_lo_u32 v16, v1, s3
	v_mul_lo_u32 v17, v10, s2
	v_mad_u64_u32 v[10:11], null, v1, s2, v[2:3]
	v_add3_u32 v11, v17, v11, v16
	s_waitcnt vmcnt(0)
	global_store_dwordx2 v[12:13], v[8:9], off
	global_store_dwordx2 v[14:15], v[10:11], off
	s_andn2_b32 exec_lo, exec_lo, s5
	s_cbranch_execnz .LBB86_5
.LBB86_6:
	s_endpgm
	.section	.rodata,"a",@progbits
	.p2align	6, 0x0
	.amdhsa_kernel _ZN9rocsparseL33bsr2csr_block_per_row_8_32_kernelILj1024ELj16ElilEEv20rocsparse_direction_T3_S2_21rocsparse_index_base_PKT1_PKT2_PKS2_S2_S3_PS4_PS7_PS2_
		.amdhsa_group_segment_fixed_size 0
		.amdhsa_private_segment_fixed_size 0
		.amdhsa_kernarg_size 96
		.amdhsa_user_sgpr_count 6
		.amdhsa_user_sgpr_private_segment_buffer 1
		.amdhsa_user_sgpr_dispatch_ptr 0
		.amdhsa_user_sgpr_queue_ptr 0
		.amdhsa_user_sgpr_kernarg_segment_ptr 1
		.amdhsa_user_sgpr_dispatch_id 0
		.amdhsa_user_sgpr_flat_scratch_init 0
		.amdhsa_user_sgpr_private_segment_size 0
		.amdhsa_wavefront_size32 1
		.amdhsa_uses_dynamic_stack 0
		.amdhsa_system_sgpr_private_segment_wavefront_offset 0
		.amdhsa_system_sgpr_workgroup_id_x 1
		.amdhsa_system_sgpr_workgroup_id_y 0
		.amdhsa_system_sgpr_workgroup_id_z 0
		.amdhsa_system_sgpr_workgroup_info 0
		.amdhsa_system_vgpr_workitem_id 0
		.amdhsa_next_free_vgpr 18
		.amdhsa_next_free_sgpr 20
		.amdhsa_reserve_vcc 1
		.amdhsa_reserve_flat_scratch 0
		.amdhsa_float_round_mode_32 0
		.amdhsa_float_round_mode_16_64 0
		.amdhsa_float_denorm_mode_32 3
		.amdhsa_float_denorm_mode_16_64 3
		.amdhsa_dx10_clamp 1
		.amdhsa_ieee_mode 1
		.amdhsa_fp16_overflow 0
		.amdhsa_workgroup_processor_mode 1
		.amdhsa_memory_ordered 1
		.amdhsa_forward_progress 1
		.amdhsa_shared_vgpr_count 0
		.amdhsa_exception_fp_ieee_invalid_op 0
		.amdhsa_exception_fp_denorm_src 0
		.amdhsa_exception_fp_ieee_div_zero 0
		.amdhsa_exception_fp_ieee_overflow 0
		.amdhsa_exception_fp_ieee_underflow 0
		.amdhsa_exception_fp_ieee_inexact 0
		.amdhsa_exception_int_div_zero 0
	.end_amdhsa_kernel
	.section	.text._ZN9rocsparseL33bsr2csr_block_per_row_8_32_kernelILj1024ELj16ElilEEv20rocsparse_direction_T3_S2_21rocsparse_index_base_PKT1_PKT2_PKS2_S2_S3_PS4_PS7_PS2_,"axG",@progbits,_ZN9rocsparseL33bsr2csr_block_per_row_8_32_kernelILj1024ELj16ElilEEv20rocsparse_direction_T3_S2_21rocsparse_index_base_PKT1_PKT2_PKS2_S2_S3_PS4_PS7_PS2_,comdat
.Lfunc_end86:
	.size	_ZN9rocsparseL33bsr2csr_block_per_row_8_32_kernelILj1024ELj16ElilEEv20rocsparse_direction_T3_S2_21rocsparse_index_base_PKT1_PKT2_PKS2_S2_S3_PS4_PS7_PS2_, .Lfunc_end86-_ZN9rocsparseL33bsr2csr_block_per_row_8_32_kernelILj1024ELj16ElilEEv20rocsparse_direction_T3_S2_21rocsparse_index_base_PKT1_PKT2_PKS2_S2_S3_PS4_PS7_PS2_
                                        ; -- End function
	.set _ZN9rocsparseL33bsr2csr_block_per_row_8_32_kernelILj1024ELj16ElilEEv20rocsparse_direction_T3_S2_21rocsparse_index_base_PKT1_PKT2_PKS2_S2_S3_PS4_PS7_PS2_.num_vgpr, 18
	.set _ZN9rocsparseL33bsr2csr_block_per_row_8_32_kernelILj1024ELj16ElilEEv20rocsparse_direction_T3_S2_21rocsparse_index_base_PKT1_PKT2_PKS2_S2_S3_PS4_PS7_PS2_.num_agpr, 0
	.set _ZN9rocsparseL33bsr2csr_block_per_row_8_32_kernelILj1024ELj16ElilEEv20rocsparse_direction_T3_S2_21rocsparse_index_base_PKT1_PKT2_PKS2_S2_S3_PS4_PS7_PS2_.numbered_sgpr, 20
	.set _ZN9rocsparseL33bsr2csr_block_per_row_8_32_kernelILj1024ELj16ElilEEv20rocsparse_direction_T3_S2_21rocsparse_index_base_PKT1_PKT2_PKS2_S2_S3_PS4_PS7_PS2_.num_named_barrier, 0
	.set _ZN9rocsparseL33bsr2csr_block_per_row_8_32_kernelILj1024ELj16ElilEEv20rocsparse_direction_T3_S2_21rocsparse_index_base_PKT1_PKT2_PKS2_S2_S3_PS4_PS7_PS2_.private_seg_size, 0
	.set _ZN9rocsparseL33bsr2csr_block_per_row_8_32_kernelILj1024ELj16ElilEEv20rocsparse_direction_T3_S2_21rocsparse_index_base_PKT1_PKT2_PKS2_S2_S3_PS4_PS7_PS2_.uses_vcc, 1
	.set _ZN9rocsparseL33bsr2csr_block_per_row_8_32_kernelILj1024ELj16ElilEEv20rocsparse_direction_T3_S2_21rocsparse_index_base_PKT1_PKT2_PKS2_S2_S3_PS4_PS7_PS2_.uses_flat_scratch, 0
	.set _ZN9rocsparseL33bsr2csr_block_per_row_8_32_kernelILj1024ELj16ElilEEv20rocsparse_direction_T3_S2_21rocsparse_index_base_PKT1_PKT2_PKS2_S2_S3_PS4_PS7_PS2_.has_dyn_sized_stack, 0
	.set _ZN9rocsparseL33bsr2csr_block_per_row_8_32_kernelILj1024ELj16ElilEEv20rocsparse_direction_T3_S2_21rocsparse_index_base_PKT1_PKT2_PKS2_S2_S3_PS4_PS7_PS2_.has_recursion, 0
	.set _ZN9rocsparseL33bsr2csr_block_per_row_8_32_kernelILj1024ELj16ElilEEv20rocsparse_direction_T3_S2_21rocsparse_index_base_PKT1_PKT2_PKS2_S2_S3_PS4_PS7_PS2_.has_indirect_call, 0
	.section	.AMDGPU.csdata,"",@progbits
; Kernel info:
; codeLenInByte = 780
; TotalNumSgprs: 22
; NumVgprs: 18
; ScratchSize: 0
; MemoryBound: 0
; FloatMode: 240
; IeeeMode: 1
; LDSByteSize: 0 bytes/workgroup (compile time only)
; SGPRBlocks: 0
; VGPRBlocks: 2
; NumSGPRsForWavesPerEU: 22
; NumVGPRsForWavesPerEU: 18
; Occupancy: 16
; WaveLimiterHint : 0
; COMPUTE_PGM_RSRC2:SCRATCH_EN: 0
; COMPUTE_PGM_RSRC2:USER_SGPR: 6
; COMPUTE_PGM_RSRC2:TRAP_HANDLER: 0
; COMPUTE_PGM_RSRC2:TGID_X_EN: 1
; COMPUTE_PGM_RSRC2:TGID_Y_EN: 0
; COMPUTE_PGM_RSRC2:TGID_Z_EN: 0
; COMPUTE_PGM_RSRC2:TIDIG_COMP_CNT: 0
	.section	.text._ZN9rocsparseL33bsr2csr_block_per_row_8_32_kernelILj1024ELj32ElilEEv20rocsparse_direction_T3_S2_21rocsparse_index_base_PKT1_PKT2_PKS2_S2_S3_PS4_PS7_PS2_,"axG",@progbits,_ZN9rocsparseL33bsr2csr_block_per_row_8_32_kernelILj1024ELj32ElilEEv20rocsparse_direction_T3_S2_21rocsparse_index_base_PKT1_PKT2_PKS2_S2_S3_PS4_PS7_PS2_,comdat
	.globl	_ZN9rocsparseL33bsr2csr_block_per_row_8_32_kernelILj1024ELj32ElilEEv20rocsparse_direction_T3_S2_21rocsparse_index_base_PKT1_PKT2_PKS2_S2_S3_PS4_PS7_PS2_ ; -- Begin function _ZN9rocsparseL33bsr2csr_block_per_row_8_32_kernelILj1024ELj32ElilEEv20rocsparse_direction_T3_S2_21rocsparse_index_base_PKT1_PKT2_PKS2_S2_S3_PS4_PS7_PS2_
	.p2align	8
	.type	_ZN9rocsparseL33bsr2csr_block_per_row_8_32_kernelILj1024ELj32ElilEEv20rocsparse_direction_T3_S2_21rocsparse_index_base_PKT1_PKT2_PKS2_S2_S3_PS4_PS7_PS2_,@function
_ZN9rocsparseL33bsr2csr_block_per_row_8_32_kernelILj1024ELj32ElilEEv20rocsparse_direction_T3_S2_21rocsparse_index_base_PKT1_PKT2_PKS2_S2_S3_PS4_PS7_PS2_: ; @_ZN9rocsparseL33bsr2csr_block_per_row_8_32_kernelILj1024ELj32ElilEEv20rocsparse_direction_T3_S2_21rocsparse_index_base_PKT1_PKT2_PKS2_S2_S3_PS4_PS7_PS2_
; %bb.0:
	s_clause 0x2
	s_load_dwordx2 s[2:3], s[4:5], 0x28
	s_load_dword s1, s[4:5], 0x40
	s_load_dwordx2 s[10:11], s[4:5], 0x50
	s_mov_b32 s7, 0
	v_or_b32_e32 v1, s6, v0
	s_lshl_b64 s[8:9], s[6:7], 2
	s_mov_b32 s0, exec_lo
	s_waitcnt lgkmcnt(0)
	s_add_u32 s8, s2, s8
	s_addc_u32 s9, s3, s9
	v_cmpx_eq_u32_e32 0, v1
	s_cbranch_execz .LBB87_2
; %bb.1:
	v_mov_b32_e32 v1, 0
	v_mov_b32_e32 v2, s1
	global_store_dword v1, v2, s[10:11]
.LBB87_2:
	s_or_b32 exec_lo, exec_lo, s0
	s_load_dwordx2 s[2:3], s[4:5], 0x38
	v_mov_b32_e32 v1, 0
	v_lshrrev_b32_e32 v2, 5, v0
	v_and_b32_e32 v0, 31, v0
	v_mov_b32_e32 v3, v1
	s_waitcnt lgkmcnt(0)
	v_cmp_gt_i64_e32 vcc_lo, s[2:3], v[2:3]
	v_cmp_gt_i64_e64 s0, s[2:3], v[0:1]
	s_and_b32 s0, vcc_lo, s0
	s_and_saveexec_b32 s7, s0
	s_cbranch_execz .LBB87_6
; %bb.3:
	s_load_dwordx2 s[14:15], s[8:9], 0x0
	s_load_dword s12, s[4:5], 0x18
	s_mul_i32 s7, s3, s6
	s_mul_hi_u32 s17, s2, s6
	s_mul_i32 s8, s2, s2
	s_mul_i32 s6, s2, s6
	s_add_i32 s7, s17, s7
	v_lshlrev_b32_e32 v3, 2, v2
	s_lshl_b64 s[6:7], s[6:7], 2
	s_waitcnt lgkmcnt(0)
	s_sub_i32 s0, s14, s12
	s_sub_i32 s13, s15, s12
	s_mul_i32 s17, s8, s0
	s_sub_i32 s9, s13, s0
	s_mul_i32 s16, s2, s9
	v_mul_lo_u32 v1, s16, v2
	s_add_i32 s16, s1, s16
	s_add_u32 s6, s10, s6
	s_addc_u32 s7, s11, s7
	s_cmp_ge_i32 s14, s15
	v_add3_u32 v1, s16, s17, v1
	global_store_dword v3, v1, s[6:7] offset:4
	s_cbranch_scc1 .LBB87_6
; %bb.4:
	v_mad_u64_u32 v[3:4], null, s2, v0, 0
	v_mad_u64_u32 v[5:6], null, s2, v2, 0
	s_clause 0x3
	s_load_dwordx2 s[10:11], s[4:5], 0x30
	s_load_dwordx2 s[6:7], s[4:5], 0x48
	s_load_dword s16, s[4:5], 0x0
	s_load_dwordx2 s[14:15], s[4:5], 0x20
	v_lshlrev_b32_e32 v9, 3, v0
	s_mul_i32 s17, s2, s3
	s_mul_hi_u32 s18, s2, s2
	v_mov_b32_e32 v1, v4
	s_add_i32 s18, s18, s17
	v_mov_b32_e32 v4, v6
	s_load_dwordx2 s[4:5], s[4:5], 0x58
	v_mad_u64_u32 v[6:7], null, s3, v0, v[1:2]
	v_mad_u64_u32 v[7:8], null, s3, v2, v[4:5]
	v_lshlrev_b32_e32 v8, 3, v2
	v_mul_lo_u32 v1, v2, s9
	s_add_i32 s9, s18, s17
	v_mov_b32_e32 v4, v6
	v_mov_b32_e32 v6, v7
	s_waitcnt lgkmcnt(0)
	s_cmp_eq_u32 s16, 0
	v_lshlrev_b64 v[3:4], 3, v[3:4]
	v_lshlrev_b64 v[5:6], 3, v[5:6]
	v_add_co_u32 v2, vcc_lo, s14, v3
	v_add_co_ci_u32_e64 v3, null, s15, v4, vcc_lo
	v_add_co_u32 v4, vcc_lo, s14, v5
	v_add_co_ci_u32_e64 v5, null, s15, v6, vcc_lo
	v_add_co_u32 v6, vcc_lo, v2, v8
	v_add_co_ci_u32_e64 v7, null, 0, v3, vcc_lo
	v_add_co_u32 v8, vcc_lo, v4, v9
	v_add_co_ci_u32_e64 v9, null, 0, v5, vcc_lo
	v_mad_u64_u32 v[4:5], null, s2, s0, v[1:2]
	v_add_co_u32 v1, s1, v0, s1
	v_add_co_ci_u32_e64 v2, null, 0, 0, s1
	s_cselect_b32 vcc_lo, -1, 0
	s_ashr_i32 s1, s0, 31
	v_mad_u64_u32 v[4:5], null, s2, v4, v[0:1]
	s_lshl_b64 s[14:15], s[0:1], 3
	s_mul_i32 s1, s8, s1
	s_add_u32 s10, s10, s14
	s_mul_hi_u32 s14, s8, s0
	s_addc_u32 s11, s11, s15
	s_add_i32 s1, s14, s1
	s_mul_i32 s14, s9, s0
	v_cndmask_b32_e32 v0, v6, v8, vcc_lo
	s_add_i32 s15, s1, s14
	s_mul_i32 s14, s8, s0
	v_cndmask_b32_e32 v7, v7, v9, vcc_lo
	s_lshl_b64 s[14:15], s[14:15], 3
	v_mov_b32_e32 v3, 0
	v_add_co_u32 v5, vcc_lo, v0, s14
	v_add_co_ci_u32_e64 v6, null, s15, v7, vcc_lo
	s_mov_b32 s1, s2
	s_lshl_b64 s[8:9], s[8:9], 3
	s_inst_prefetch 0x1
	.p2align	6
.LBB87_5:                               ; =>This Inner Loop Header: Depth=1
	global_load_dwordx2 v[7:8], v[5:6], off
	s_load_dwordx2 s[14:15], s[10:11], 0x0
	v_ashrrev_i64 v[9:10], 29, v[3:4]
	v_add_co_u32 v3, vcc_lo, v3, 0
	v_add_co_ci_u32_e64 v4, null, s1, v4, vcc_lo
	v_add_co_u32 v5, vcc_lo, v5, s8
	v_add_co_ci_u32_e64 v6, null, s9, v6, vcc_lo
	;; [unrolled: 2-line block ×4, first 2 shown]
	s_waitcnt lgkmcnt(0)
	s_sub_u32 s14, s14, s12
	s_subb_u32 s15, s15, 0
	v_mad_u64_u32 v[13:14], null, s14, s2, v[1:2]
	s_mul_i32 s14, s14, s3
	s_mul_i32 s15, s15, s2
	s_add_i32 s0, s0, 1
	s_add_u32 s10, s10, 8
	s_addc_u32 s11, s11, 0
	s_cmp_lt_i32 s0, s13
	v_add3_u32 v14, s14, s15, v14
	global_store_dwordx2 v[11:12], v[13:14], off
	s_waitcnt vmcnt(0)
	global_store_dwordx2 v[9:10], v[7:8], off
	s_cbranch_scc1 .LBB87_5
.LBB87_6:
	s_inst_prefetch 0x2
	s_endpgm
	.section	.rodata,"a",@progbits
	.p2align	6, 0x0
	.amdhsa_kernel _ZN9rocsparseL33bsr2csr_block_per_row_8_32_kernelILj1024ELj32ElilEEv20rocsparse_direction_T3_S2_21rocsparse_index_base_PKT1_PKT2_PKS2_S2_S3_PS4_PS7_PS2_
		.amdhsa_group_segment_fixed_size 0
		.amdhsa_private_segment_fixed_size 0
		.amdhsa_kernarg_size 96
		.amdhsa_user_sgpr_count 6
		.amdhsa_user_sgpr_private_segment_buffer 1
		.amdhsa_user_sgpr_dispatch_ptr 0
		.amdhsa_user_sgpr_queue_ptr 0
		.amdhsa_user_sgpr_kernarg_segment_ptr 1
		.amdhsa_user_sgpr_dispatch_id 0
		.amdhsa_user_sgpr_flat_scratch_init 0
		.amdhsa_user_sgpr_private_segment_size 0
		.amdhsa_wavefront_size32 1
		.amdhsa_uses_dynamic_stack 0
		.amdhsa_system_sgpr_private_segment_wavefront_offset 0
		.amdhsa_system_sgpr_workgroup_id_x 1
		.amdhsa_system_sgpr_workgroup_id_y 0
		.amdhsa_system_sgpr_workgroup_id_z 0
		.amdhsa_system_sgpr_workgroup_info 0
		.amdhsa_system_vgpr_workitem_id 0
		.amdhsa_next_free_vgpr 15
		.amdhsa_next_free_sgpr 19
		.amdhsa_reserve_vcc 1
		.amdhsa_reserve_flat_scratch 0
		.amdhsa_float_round_mode_32 0
		.amdhsa_float_round_mode_16_64 0
		.amdhsa_float_denorm_mode_32 3
		.amdhsa_float_denorm_mode_16_64 3
		.amdhsa_dx10_clamp 1
		.amdhsa_ieee_mode 1
		.amdhsa_fp16_overflow 0
		.amdhsa_workgroup_processor_mode 1
		.amdhsa_memory_ordered 1
		.amdhsa_forward_progress 1
		.amdhsa_shared_vgpr_count 0
		.amdhsa_exception_fp_ieee_invalid_op 0
		.amdhsa_exception_fp_denorm_src 0
		.amdhsa_exception_fp_ieee_div_zero 0
		.amdhsa_exception_fp_ieee_overflow 0
		.amdhsa_exception_fp_ieee_underflow 0
		.amdhsa_exception_fp_ieee_inexact 0
		.amdhsa_exception_int_div_zero 0
	.end_amdhsa_kernel
	.section	.text._ZN9rocsparseL33bsr2csr_block_per_row_8_32_kernelILj1024ELj32ElilEEv20rocsparse_direction_T3_S2_21rocsparse_index_base_PKT1_PKT2_PKS2_S2_S3_PS4_PS7_PS2_,"axG",@progbits,_ZN9rocsparseL33bsr2csr_block_per_row_8_32_kernelILj1024ELj32ElilEEv20rocsparse_direction_T3_S2_21rocsparse_index_base_PKT1_PKT2_PKS2_S2_S3_PS4_PS7_PS2_,comdat
.Lfunc_end87:
	.size	_ZN9rocsparseL33bsr2csr_block_per_row_8_32_kernelILj1024ELj32ElilEEv20rocsparse_direction_T3_S2_21rocsparse_index_base_PKT1_PKT2_PKS2_S2_S3_PS4_PS7_PS2_, .Lfunc_end87-_ZN9rocsparseL33bsr2csr_block_per_row_8_32_kernelILj1024ELj32ElilEEv20rocsparse_direction_T3_S2_21rocsparse_index_base_PKT1_PKT2_PKS2_S2_S3_PS4_PS7_PS2_
                                        ; -- End function
	.set _ZN9rocsparseL33bsr2csr_block_per_row_8_32_kernelILj1024ELj32ElilEEv20rocsparse_direction_T3_S2_21rocsparse_index_base_PKT1_PKT2_PKS2_S2_S3_PS4_PS7_PS2_.num_vgpr, 15
	.set _ZN9rocsparseL33bsr2csr_block_per_row_8_32_kernelILj1024ELj32ElilEEv20rocsparse_direction_T3_S2_21rocsparse_index_base_PKT1_PKT2_PKS2_S2_S3_PS4_PS7_PS2_.num_agpr, 0
	.set _ZN9rocsparseL33bsr2csr_block_per_row_8_32_kernelILj1024ELj32ElilEEv20rocsparse_direction_T3_S2_21rocsparse_index_base_PKT1_PKT2_PKS2_S2_S3_PS4_PS7_PS2_.numbered_sgpr, 19
	.set _ZN9rocsparseL33bsr2csr_block_per_row_8_32_kernelILj1024ELj32ElilEEv20rocsparse_direction_T3_S2_21rocsparse_index_base_PKT1_PKT2_PKS2_S2_S3_PS4_PS7_PS2_.num_named_barrier, 0
	.set _ZN9rocsparseL33bsr2csr_block_per_row_8_32_kernelILj1024ELj32ElilEEv20rocsparse_direction_T3_S2_21rocsparse_index_base_PKT1_PKT2_PKS2_S2_S3_PS4_PS7_PS2_.private_seg_size, 0
	.set _ZN9rocsparseL33bsr2csr_block_per_row_8_32_kernelILj1024ELj32ElilEEv20rocsparse_direction_T3_S2_21rocsparse_index_base_PKT1_PKT2_PKS2_S2_S3_PS4_PS7_PS2_.uses_vcc, 1
	.set _ZN9rocsparseL33bsr2csr_block_per_row_8_32_kernelILj1024ELj32ElilEEv20rocsparse_direction_T3_S2_21rocsparse_index_base_PKT1_PKT2_PKS2_S2_S3_PS4_PS7_PS2_.uses_flat_scratch, 0
	.set _ZN9rocsparseL33bsr2csr_block_per_row_8_32_kernelILj1024ELj32ElilEEv20rocsparse_direction_T3_S2_21rocsparse_index_base_PKT1_PKT2_PKS2_S2_S3_PS4_PS7_PS2_.has_dyn_sized_stack, 0
	.set _ZN9rocsparseL33bsr2csr_block_per_row_8_32_kernelILj1024ELj32ElilEEv20rocsparse_direction_T3_S2_21rocsparse_index_base_PKT1_PKT2_PKS2_S2_S3_PS4_PS7_PS2_.has_recursion, 0
	.set _ZN9rocsparseL33bsr2csr_block_per_row_8_32_kernelILj1024ELj32ElilEEv20rocsparse_direction_T3_S2_21rocsparse_index_base_PKT1_PKT2_PKS2_S2_S3_PS4_PS7_PS2_.has_indirect_call, 0
	.section	.AMDGPU.csdata,"",@progbits
; Kernel info:
; codeLenInByte = 812
; TotalNumSgprs: 21
; NumVgprs: 15
; ScratchSize: 0
; MemoryBound: 0
; FloatMode: 240
; IeeeMode: 1
; LDSByteSize: 0 bytes/workgroup (compile time only)
; SGPRBlocks: 0
; VGPRBlocks: 1
; NumSGPRsForWavesPerEU: 21
; NumVGPRsForWavesPerEU: 15
; Occupancy: 16
; WaveLimiterHint : 0
; COMPUTE_PGM_RSRC2:SCRATCH_EN: 0
; COMPUTE_PGM_RSRC2:USER_SGPR: 6
; COMPUTE_PGM_RSRC2:TRAP_HANDLER: 0
; COMPUTE_PGM_RSRC2:TGID_X_EN: 1
; COMPUTE_PGM_RSRC2:TGID_Y_EN: 0
; COMPUTE_PGM_RSRC2:TGID_Z_EN: 0
; COMPUTE_PGM_RSRC2:TIDIG_COMP_CNT: 0
	.section	.text._ZN9rocsparseL35bsr2csr_block_per_row_33_256_kernelILj1024ELj64ELj32ElilEEv20rocsparse_direction_T4_S2_21rocsparse_index_base_PKT2_PKT3_PKS2_S2_S3_PS4_PS7_PS2_,"axG",@progbits,_ZN9rocsparseL35bsr2csr_block_per_row_33_256_kernelILj1024ELj64ELj32ElilEEv20rocsparse_direction_T4_S2_21rocsparse_index_base_PKT2_PKT3_PKS2_S2_S3_PS4_PS7_PS2_,comdat
	.globl	_ZN9rocsparseL35bsr2csr_block_per_row_33_256_kernelILj1024ELj64ELj32ElilEEv20rocsparse_direction_T4_S2_21rocsparse_index_base_PKT2_PKT3_PKS2_S2_S3_PS4_PS7_PS2_ ; -- Begin function _ZN9rocsparseL35bsr2csr_block_per_row_33_256_kernelILj1024ELj64ELj32ElilEEv20rocsparse_direction_T4_S2_21rocsparse_index_base_PKT2_PKT3_PKS2_S2_S3_PS4_PS7_PS2_
	.p2align	8
	.type	_ZN9rocsparseL35bsr2csr_block_per_row_33_256_kernelILj1024ELj64ELj32ElilEEv20rocsparse_direction_T4_S2_21rocsparse_index_base_PKT2_PKT3_PKS2_S2_S3_PS4_PS7_PS2_,@function
_ZN9rocsparseL35bsr2csr_block_per_row_33_256_kernelILj1024ELj64ELj32ElilEEv20rocsparse_direction_T4_S2_21rocsparse_index_base_PKT2_PKT3_PKS2_S2_S3_PS4_PS7_PS2_: ; @_ZN9rocsparseL35bsr2csr_block_per_row_33_256_kernelILj1024ELj64ELj32ElilEEv20rocsparse_direction_T4_S2_21rocsparse_index_base_PKT2_PKT3_PKS2_S2_S3_PS4_PS7_PS2_
; %bb.0:
	s_load_dwordx2 s[0:1], s[4:5], 0x28
	s_mov_b32 s7, 0
	s_clause 0x1
	s_load_dword s16, s[4:5], 0x40
	s_load_dwordx2 s[12:13], s[4:5], 0x50
	s_lshl_b64 s[2:3], s[6:7], 2
	v_or_b32_e32 v1, s6, v0
	s_waitcnt lgkmcnt(0)
	s_add_u32 s0, s0, s2
	s_addc_u32 s1, s1, s3
	s_load_dwordx2 s[2:3], s[0:1], 0x0
	s_mov_b32 s0, exec_lo
	v_cmpx_eq_u32_e32 0, v1
	s_cbranch_execz .LBB88_2
; %bb.1:
	v_mov_b32_e32 v1, 0
	v_mov_b32_e32 v2, s16
	global_store_dword v1, v2, s[12:13]
.LBB88_2:
	s_or_b32 exec_lo, exec_lo, s0
	s_clause 0x1
	s_load_dword s17, s[4:5], 0x18
	s_load_dwordx2 s[8:9], s[4:5], 0x38
	v_mov_b32_e32 v5, 0
	v_lshrrev_b32_e32 v4, 5, v0
	v_lshlrev_b32_e32 v1, 2, v4
	s_waitcnt lgkmcnt(0)
	s_sub_i32 s10, s2, s17
	s_sub_i32 s18, s3, s17
	s_mul_i32 s7, s8, s9
	s_mul_hi_u32 s1, s8, s8
	s_mul_i32 s15, s9, s6
	s_mul_hi_u32 s19, s8, s6
	s_mul_i32 s0, s8, s6
	s_add_i32 s6, s1, s7
	s_sub_i32 s22, s18, s10
	s_add_i32 s1, s19, s15
	s_add_i32 s15, s6, s7
	s_mul_i32 s19, s8, s22
	s_lshl_b64 s[6:7], s[0:1], 2
	v_cmp_gt_i64_e64 s0, s[8:9], v[4:5]
	s_mul_i32 s14, s8, s8
	s_add_i32 s20, s16, s19
	s_add_u32 s6, s12, s6
	s_mul_i32 s11, s14, s10
	s_addc_u32 s7, s13, s7
	s_and_saveexec_b32 s1, s0
	s_cbranch_execz .LBB88_4
; %bb.3:
	v_mul_lo_u32 v2, v4, s19
	v_add3_u32 v2, s20, s11, v2
	global_store_dword v1, v2, s[6:7] offset:4
.LBB88_4:
	s_or_b32 exec_lo, exec_lo, s1
	v_or_b32_e32 v6, 32, v4
	v_mov_b32_e32 v7, v5
	v_cmp_gt_i64_e64 s1, s[8:9], v[6:7]
	s_and_saveexec_b32 s12, s1
	s_cbranch_execz .LBB88_6
; %bb.5:
	v_mul_lo_u32 v2, v6, s19
	v_add3_u32 v2, s20, s11, v2
	global_store_dword v1, v2, s[6:7] offset:132
.LBB88_6:
	s_or_b32 exec_lo, exec_lo, s12
	s_cmp_lt_i32 s2, s3
	s_cbranch_scc0 .LBB88_17
; %bb.7:
	s_clause 0x2
	s_load_dwordx2 s[12:13], s[4:5], 0x30
	s_load_dwordx2 s[6:7], s[4:5], 0x48
	s_load_dword s11, s[4:5], 0x0
	v_and_b32_e32 v0, 31, v0
	v_mov_b32_e32 v1, 0
	s_mul_hi_u32 s23, s8, s10
	s_mul_i32 s24, s8, s10
	s_mul_i32 s25, s9, s10
	v_or_b32_e32 v2, 32, v0
	v_mov_b32_e32 v3, v1
	v_cmp_gt_i64_e64 s2, s[8:9], v[0:1]
	v_lshlrev_b32_e32 v9, 3, v4
	v_mad_u64_u32 v[11:12], null, v6, s22, s[24:25]
	v_cmp_gt_i64_e64 s3, s[8:9], v[2:3]
	v_mad_u64_u32 v[13:14], null, v4, s22, s[24:25]
	v_lshlrev_b32_e32 v5, 3, v0
	v_mov_b32_e32 v10, v1
	v_mov_b32_e32 v6, v1
	v_mul_lo_u32 v11, s8, v11
	s_waitcnt lgkmcnt(0)
	s_cmp_eq_u32 s11, 0
	v_mul_lo_u32 v13, s8, v13
	s_cselect_b32 vcc_lo, -1, 0
	s_ashr_i32 s11, s10, 31
	s_and_b32 s19, s0, s2
	s_and_b32 s20, s0, s3
	;; [unrolled: 1-line block ×4, first 2 shown]
	s_lshl_b64 s[2:3], s[10:11], 3
	s_mul_i32 s0, s8, s11
	s_add_u32 s2, s12, s2
	s_addc_u32 s3, s13, s3
	s_add_i32 s0, s23, s0
	s_load_dwordx2 s[12:13], s[4:5], 0x20
	s_add_i32 s25, s0, s25
	s_load_dwordx2 s[4:5], s[4:5], 0x58
	s_lshl_b64 s[22:23], s[24:25], 3
	s_mov_b32 s11, s8
	v_add_co_u32 v7, s0, s22, v9
	v_add_co_ci_u32_e64 v8, null, s23, 0, s0
	s_lshl_b64 s[14:15], s[14:15], 3
	v_add_co_u32 v3, s0, 0x100, v7
	v_add_co_ci_u32_e64 v4, null, 0, v8, s0
	v_add_co_u32 v12, s0, s22, v5
	v_add_co_ci_u32_e64 v16, null, s23, 0, s0
	v_mul_lo_u32 v14, s8, v4
	v_add_co_u32 v17, s0, 0x100, v12
	v_add_co_ci_u32_e64 v18, null, 0, v16, s0
	v_mul_lo_u32 v15, s9, v3
	v_mad_u64_u32 v[3:4], null, s8, v3, v[5:6]
	v_mul_lo_u32 v19, s8, v8
	v_mul_lo_u32 v20, s9, v7
	v_mad_u64_u32 v[5:6], null, s8, v7, v[5:6]
	v_mul_lo_u32 v18, s8, v18
	;; [unrolled: 3-line block ×3, first 2 shown]
	v_mul_lo_u32 v17, s9, v12
	v_mad_u64_u32 v[9:10], null, s8, v12, v[9:10]
	v_mov_b32_e32 v12, v0
	v_add3_u32 v4, v15, v4, v14
	v_add3_u32 v6, v20, v6, v19
	;; [unrolled: 1-line block ×4, first 2 shown]
	s_branch .LBB88_9
.LBB88_8:                               ;   in Loop: Header=BB88_9 Depth=1
	s_or_b32 exec_lo, exec_lo, s24
	s_add_i32 s10, s10, 1
	v_add_co_u32 v1, s0, v1, 0
	s_add_u32 s2, s2, 8
	v_add_co_ci_u32_e64 v12, null, s11, v12, s0
	s_addc_u32 s3, s3, 0
	s_add_u32 s12, s12, s14
	s_addc_u32 s13, s13, s15
	s_cmp_ge_i32 s10, s18
	s_cbranch_scc1 .LBB88_17
.LBB88_9:                               ; =>This Inner Loop Header: Depth=1
	s_load_dwordx2 s[22:23], s[2:3], 0x0
	s_waitcnt lgkmcnt(0)
	s_sub_u32 s0, s22, s17
	s_subb_u32 s23, s23, 0
	s_mul_i32 s22, s0, s9
	s_mul_hi_u32 s24, s0, s8
	s_mul_i32 s23, s23, s8
	s_add_i32 s22, s24, s22
	s_mul_i32 s0, s0, s8
	s_add_i32 s23, s22, s23
	s_add_u32 s22, s0, s16
	s_addc_u32 s23, s23, 0
	s_and_saveexec_b32 s24, s19
	s_cbranch_execnz .LBB88_13
; %bb.10:                               ;   in Loop: Header=BB88_9 Depth=1
	s_or_b32 exec_lo, exec_lo, s24
	s_and_saveexec_b32 s24, s20
	s_cbranch_execnz .LBB88_14
.LBB88_11:                              ;   in Loop: Header=BB88_9 Depth=1
	s_or_b32 exec_lo, exec_lo, s24
	s_and_saveexec_b32 s24, s21
	s_cbranch_execnz .LBB88_15
.LBB88_12:                              ;   in Loop: Header=BB88_9 Depth=1
	s_or_b32 exec_lo, exec_lo, s24
	s_and_saveexec_b32 s24, s1
	s_cbranch_execz .LBB88_8
	s_branch .LBB88_16
.LBB88_13:                              ;   in Loop: Header=BB88_9 Depth=1
	v_add_co_u32 v14, s0, s12, v5
	v_add_co_ci_u32_e64 v15, null, s13, v6, s0
	v_add_co_u32 v16, s0, s12, v9
	v_add_co_ci_u32_e64 v17, null, s13, v10, s0
	v_cndmask_b32_e32 v14, v16, v14, vcc_lo
	v_add_co_u32 v16, s0, 0, v1
	v_cndmask_b32_e32 v15, v17, v15, vcc_lo
	v_add_co_ci_u32_e64 v17, null, v13, v12, s0
	v_add_co_u32 v18, s0, s22, v0
	global_load_dwordx2 v[14:15], v[14:15], off
	v_ashrrev_i64 v[16:17], 29, v[16:17]
	v_add_co_ci_u32_e64 v19, null, s23, 0, s0
	v_add_co_u32 v20, s0, s4, v16
	v_add_co_ci_u32_e64 v21, null, s5, v17, s0
	v_add_co_u32 v16, s0, s6, v16
	v_add_co_ci_u32_e64 v17, null, s7, v17, s0
	global_store_dwordx2 v[20:21], v[18:19], off
	s_waitcnt vmcnt(0)
	global_store_dwordx2 v[16:17], v[14:15], off
	s_or_b32 exec_lo, exec_lo, s24
	s_and_saveexec_b32 s24, s20
	s_cbranch_execz .LBB88_11
.LBB88_14:                              ;   in Loop: Header=BB88_9 Depth=1
	v_add_co_u32 v14, s0, s12, v5
	v_add_co_ci_u32_e64 v15, null, s13, v6, s0
	v_add_co_u32 v14, s0, 0x100, v14
	v_add_co_ci_u32_e64 v15, null, 0, v15, s0
	v_add_co_u32 v16, s0, s12, v7
	v_add_co_ci_u32_e64 v17, null, s13, v8, s0
	v_cndmask_b32_e32 v14, v16, v14, vcc_lo
	v_add_co_u32 v16, s0, 0, v1
	v_cndmask_b32_e32 v15, v17, v15, vcc_lo
	v_add_co_ci_u32_e64 v17, null, v13, v12, s0
	v_add_co_u32 v18, s0, s22, v2
	global_load_dwordx2 v[14:15], v[14:15], off
	v_add_nc_u32_e32 v17, 32, v17
	v_add_co_ci_u32_e64 v19, null, s23, 0, s0
	v_ashrrev_i64 v[16:17], 29, v[16:17]
	v_add_co_u32 v20, s0, s4, v16
	v_add_co_ci_u32_e64 v21, null, s5, v17, s0
	v_add_co_u32 v16, s0, s6, v16
	v_add_co_ci_u32_e64 v17, null, s7, v17, s0
	global_store_dwordx2 v[20:21], v[18:19], off
	s_waitcnt vmcnt(0)
	global_store_dwordx2 v[16:17], v[14:15], off
	s_or_b32 exec_lo, exec_lo, s24
	s_and_saveexec_b32 s24, s21
	s_cbranch_execz .LBB88_12
.LBB88_15:                              ;   in Loop: Header=BB88_9 Depth=1
	v_add_co_u32 v14, s0, s12, v9
	v_add_co_ci_u32_e64 v15, null, s13, v10, s0
	v_add_co_u32 v16, s0, s12, v3
	v_add_co_ci_u32_e64 v17, null, s13, v4, s0
	;; [unrolled: 2-line block ×3, first 2 shown]
	v_cndmask_b32_e32 v14, v14, v16, vcc_lo
	v_add_co_u32 v16, s0, 0, v1
	v_cndmask_b32_e32 v15, v15, v17, vcc_lo
	v_add_co_ci_u32_e64 v17, null, v11, v12, s0
	v_add_co_u32 v18, s0, s22, v0
	global_load_dwordx2 v[14:15], v[14:15], off
	v_ashrrev_i64 v[16:17], 29, v[16:17]
	v_add_co_ci_u32_e64 v19, null, s23, 0, s0
	v_add_co_u32 v20, s0, s4, v16
	v_add_co_ci_u32_e64 v21, null, s5, v17, s0
	v_add_co_u32 v16, s0, s6, v16
	v_add_co_ci_u32_e64 v17, null, s7, v17, s0
	global_store_dwordx2 v[20:21], v[18:19], off
	s_waitcnt vmcnt(0)
	global_store_dwordx2 v[16:17], v[14:15], off
	s_or_b32 exec_lo, exec_lo, s24
	s_and_saveexec_b32 s24, s1
	s_cbranch_execz .LBB88_8
.LBB88_16:                              ;   in Loop: Header=BB88_9 Depth=1
	v_add_co_u32 v14, s0, s12, v3
	v_add_co_ci_u32_e64 v15, null, s13, v4, s0
	v_add_co_u32 v16, s0, s12, v7
	v_add_co_ci_u32_e64 v17, null, s13, v8, s0
	v_cndmask_b32_e32 v14, v16, v14, vcc_lo
	v_add_co_u32 v16, s0, 0, v1
	v_cndmask_b32_e32 v15, v17, v15, vcc_lo
	v_add_co_ci_u32_e64 v17, null, v11, v12, s0
	v_add_co_u32 v18, s0, s22, v2
	global_load_dwordx2 v[14:15], v[14:15], off offset:256
	v_add_nc_u32_e32 v17, 32, v17
	v_add_co_ci_u32_e64 v19, null, s23, 0, s0
	v_ashrrev_i64 v[16:17], 29, v[16:17]
	v_add_co_u32 v20, s0, s4, v16
	v_add_co_ci_u32_e64 v21, null, s5, v17, s0
	v_add_co_u32 v16, s0, s6, v16
	v_add_co_ci_u32_e64 v17, null, s7, v17, s0
	global_store_dwordx2 v[20:21], v[18:19], off
	s_waitcnt vmcnt(0)
	global_store_dwordx2 v[16:17], v[14:15], off
	s_branch .LBB88_8
.LBB88_17:
	s_endpgm
	.section	.rodata,"a",@progbits
	.p2align	6, 0x0
	.amdhsa_kernel _ZN9rocsparseL35bsr2csr_block_per_row_33_256_kernelILj1024ELj64ELj32ElilEEv20rocsparse_direction_T4_S2_21rocsparse_index_base_PKT2_PKT3_PKS2_S2_S3_PS4_PS7_PS2_
		.amdhsa_group_segment_fixed_size 0
		.amdhsa_private_segment_fixed_size 0
		.amdhsa_kernarg_size 96
		.amdhsa_user_sgpr_count 6
		.amdhsa_user_sgpr_private_segment_buffer 1
		.amdhsa_user_sgpr_dispatch_ptr 0
		.amdhsa_user_sgpr_queue_ptr 0
		.amdhsa_user_sgpr_kernarg_segment_ptr 1
		.amdhsa_user_sgpr_dispatch_id 0
		.amdhsa_user_sgpr_flat_scratch_init 0
		.amdhsa_user_sgpr_private_segment_size 0
		.amdhsa_wavefront_size32 1
		.amdhsa_uses_dynamic_stack 0
		.amdhsa_system_sgpr_private_segment_wavefront_offset 0
		.amdhsa_system_sgpr_workgroup_id_x 1
		.amdhsa_system_sgpr_workgroup_id_y 0
		.amdhsa_system_sgpr_workgroup_id_z 0
		.amdhsa_system_sgpr_workgroup_info 0
		.amdhsa_system_vgpr_workitem_id 0
		.amdhsa_next_free_vgpr 22
		.amdhsa_next_free_sgpr 26
		.amdhsa_reserve_vcc 1
		.amdhsa_reserve_flat_scratch 0
		.amdhsa_float_round_mode_32 0
		.amdhsa_float_round_mode_16_64 0
		.amdhsa_float_denorm_mode_32 3
		.amdhsa_float_denorm_mode_16_64 3
		.amdhsa_dx10_clamp 1
		.amdhsa_ieee_mode 1
		.amdhsa_fp16_overflow 0
		.amdhsa_workgroup_processor_mode 1
		.amdhsa_memory_ordered 1
		.amdhsa_forward_progress 1
		.amdhsa_shared_vgpr_count 0
		.amdhsa_exception_fp_ieee_invalid_op 0
		.amdhsa_exception_fp_denorm_src 0
		.amdhsa_exception_fp_ieee_div_zero 0
		.amdhsa_exception_fp_ieee_overflow 0
		.amdhsa_exception_fp_ieee_underflow 0
		.amdhsa_exception_fp_ieee_inexact 0
		.amdhsa_exception_int_div_zero 0
	.end_amdhsa_kernel
	.section	.text._ZN9rocsparseL35bsr2csr_block_per_row_33_256_kernelILj1024ELj64ELj32ElilEEv20rocsparse_direction_T4_S2_21rocsparse_index_base_PKT2_PKT3_PKS2_S2_S3_PS4_PS7_PS2_,"axG",@progbits,_ZN9rocsparseL35bsr2csr_block_per_row_33_256_kernelILj1024ELj64ELj32ElilEEv20rocsparse_direction_T4_S2_21rocsparse_index_base_PKT2_PKT3_PKS2_S2_S3_PS4_PS7_PS2_,comdat
.Lfunc_end88:
	.size	_ZN9rocsparseL35bsr2csr_block_per_row_33_256_kernelILj1024ELj64ELj32ElilEEv20rocsparse_direction_T4_S2_21rocsparse_index_base_PKT2_PKT3_PKS2_S2_S3_PS4_PS7_PS2_, .Lfunc_end88-_ZN9rocsparseL35bsr2csr_block_per_row_33_256_kernelILj1024ELj64ELj32ElilEEv20rocsparse_direction_T4_S2_21rocsparse_index_base_PKT2_PKT3_PKS2_S2_S3_PS4_PS7_PS2_
                                        ; -- End function
	.set _ZN9rocsparseL35bsr2csr_block_per_row_33_256_kernelILj1024ELj64ELj32ElilEEv20rocsparse_direction_T4_S2_21rocsparse_index_base_PKT2_PKT3_PKS2_S2_S3_PS4_PS7_PS2_.num_vgpr, 22
	.set _ZN9rocsparseL35bsr2csr_block_per_row_33_256_kernelILj1024ELj64ELj32ElilEEv20rocsparse_direction_T4_S2_21rocsparse_index_base_PKT2_PKT3_PKS2_S2_S3_PS4_PS7_PS2_.num_agpr, 0
	.set _ZN9rocsparseL35bsr2csr_block_per_row_33_256_kernelILj1024ELj64ELj32ElilEEv20rocsparse_direction_T4_S2_21rocsparse_index_base_PKT2_PKT3_PKS2_S2_S3_PS4_PS7_PS2_.numbered_sgpr, 26
	.set _ZN9rocsparseL35bsr2csr_block_per_row_33_256_kernelILj1024ELj64ELj32ElilEEv20rocsparse_direction_T4_S2_21rocsparse_index_base_PKT2_PKT3_PKS2_S2_S3_PS4_PS7_PS2_.num_named_barrier, 0
	.set _ZN9rocsparseL35bsr2csr_block_per_row_33_256_kernelILj1024ELj64ELj32ElilEEv20rocsparse_direction_T4_S2_21rocsparse_index_base_PKT2_PKT3_PKS2_S2_S3_PS4_PS7_PS2_.private_seg_size, 0
	.set _ZN9rocsparseL35bsr2csr_block_per_row_33_256_kernelILj1024ELj64ELj32ElilEEv20rocsparse_direction_T4_S2_21rocsparse_index_base_PKT2_PKT3_PKS2_S2_S3_PS4_PS7_PS2_.uses_vcc, 1
	.set _ZN9rocsparseL35bsr2csr_block_per_row_33_256_kernelILj1024ELj64ELj32ElilEEv20rocsparse_direction_T4_S2_21rocsparse_index_base_PKT2_PKT3_PKS2_S2_S3_PS4_PS7_PS2_.uses_flat_scratch, 0
	.set _ZN9rocsparseL35bsr2csr_block_per_row_33_256_kernelILj1024ELj64ELj32ElilEEv20rocsparse_direction_T4_S2_21rocsparse_index_base_PKT2_PKT3_PKS2_S2_S3_PS4_PS7_PS2_.has_dyn_sized_stack, 0
	.set _ZN9rocsparseL35bsr2csr_block_per_row_33_256_kernelILj1024ELj64ELj32ElilEEv20rocsparse_direction_T4_S2_21rocsparse_index_base_PKT2_PKT3_PKS2_S2_S3_PS4_PS7_PS2_.has_recursion, 0
	.set _ZN9rocsparseL35bsr2csr_block_per_row_33_256_kernelILj1024ELj64ELj32ElilEEv20rocsparse_direction_T4_S2_21rocsparse_index_base_PKT2_PKT3_PKS2_S2_S3_PS4_PS7_PS2_.has_indirect_call, 0
	.section	.AMDGPU.csdata,"",@progbits
; Kernel info:
; codeLenInByte = 1516
; TotalNumSgprs: 28
; NumVgprs: 22
; ScratchSize: 0
; MemoryBound: 0
; FloatMode: 240
; IeeeMode: 1
; LDSByteSize: 0 bytes/workgroup (compile time only)
; SGPRBlocks: 0
; VGPRBlocks: 2
; NumSGPRsForWavesPerEU: 28
; NumVGPRsForWavesPerEU: 22
; Occupancy: 16
; WaveLimiterHint : 1
; COMPUTE_PGM_RSRC2:SCRATCH_EN: 0
; COMPUTE_PGM_RSRC2:USER_SGPR: 6
; COMPUTE_PGM_RSRC2:TRAP_HANDLER: 0
; COMPUTE_PGM_RSRC2:TGID_X_EN: 1
; COMPUTE_PGM_RSRC2:TGID_Y_EN: 0
; COMPUTE_PGM_RSRC2:TGID_Z_EN: 0
; COMPUTE_PGM_RSRC2:TIDIG_COMP_CNT: 0
	.section	.text._ZN9rocsparseL35bsr2csr_block_per_row_33_256_kernelILj1024ELj128ELj32ElilEEv20rocsparse_direction_T4_S2_21rocsparse_index_base_PKT2_PKT3_PKS2_S2_S3_PS4_PS7_PS2_,"axG",@progbits,_ZN9rocsparseL35bsr2csr_block_per_row_33_256_kernelILj1024ELj128ELj32ElilEEv20rocsparse_direction_T4_S2_21rocsparse_index_base_PKT2_PKT3_PKS2_S2_S3_PS4_PS7_PS2_,comdat
	.globl	_ZN9rocsparseL35bsr2csr_block_per_row_33_256_kernelILj1024ELj128ELj32ElilEEv20rocsparse_direction_T4_S2_21rocsparse_index_base_PKT2_PKT3_PKS2_S2_S3_PS4_PS7_PS2_ ; -- Begin function _ZN9rocsparseL35bsr2csr_block_per_row_33_256_kernelILj1024ELj128ELj32ElilEEv20rocsparse_direction_T4_S2_21rocsparse_index_base_PKT2_PKT3_PKS2_S2_S3_PS4_PS7_PS2_
	.p2align	8
	.type	_ZN9rocsparseL35bsr2csr_block_per_row_33_256_kernelILj1024ELj128ELj32ElilEEv20rocsparse_direction_T4_S2_21rocsparse_index_base_PKT2_PKT3_PKS2_S2_S3_PS4_PS7_PS2_,@function
_ZN9rocsparseL35bsr2csr_block_per_row_33_256_kernelILj1024ELj128ELj32ElilEEv20rocsparse_direction_T4_S2_21rocsparse_index_base_PKT2_PKT3_PKS2_S2_S3_PS4_PS7_PS2_: ; @_ZN9rocsparseL35bsr2csr_block_per_row_33_256_kernelILj1024ELj128ELj32ElilEEv20rocsparse_direction_T4_S2_21rocsparse_index_base_PKT2_PKT3_PKS2_S2_S3_PS4_PS7_PS2_
; %bb.0:
	s_load_dwordx2 s[0:1], s[4:5], 0x28
	s_mov_b32 s7, 0
	s_clause 0x1
	s_load_dword s22, s[4:5], 0x40
	s_load_dwordx2 s[2:3], s[4:5], 0x50
	s_lshl_b64 s[8:9], s[6:7], 2
	v_or_b32_e32 v1, s6, v0
	s_waitcnt lgkmcnt(0)
	s_add_u32 s0, s0, s8
	s_addc_u32 s1, s1, s9
	s_load_dwordx2 s[8:9], s[0:1], 0x0
	s_mov_b32 s0, exec_lo
	v_cmpx_eq_u32_e32 0, v1
	s_cbranch_execz .LBB89_2
; %bb.1:
	v_mov_b32_e32 v1, 0
	v_mov_b32_e32 v2, s22
	global_store_dword v1, v2, s[2:3]
.LBB89_2:
	s_or_b32 exec_lo, exec_lo, s0
	s_clause 0x1
	s_load_dword s23, s[4:5], 0x18
	s_load_dwordx2 s[10:11], s[4:5], 0x38
	v_mov_b32_e32 v9, 0
	v_lshrrev_b32_e32 v8, 5, v0
	v_lshlrev_b32_e32 v1, 2, v8
	s_waitcnt lgkmcnt(0)
	s_sub_i32 s12, s8, s23
	s_sub_i32 s24, s9, s23
	s_mul_i32 s7, s10, s11
	s_mul_hi_u32 s1, s10, s10
	s_mul_i32 s14, s11, s6
	s_mul_hi_u32 s15, s10, s6
	s_mul_i32 s0, s10, s6
	s_add_i32 s6, s1, s7
	s_sub_i32 s39, s24, s12
	s_add_i32 s1, s15, s14
	s_add_i32 s19, s6, s7
	s_mul_i32 s14, s10, s39
	s_lshl_b64 s[6:7], s[0:1], 2
	v_cmp_gt_i64_e64 s0, s[10:11], v[8:9]
	s_mul_i32 s18, s10, s10
	s_add_i32 s15, s22, s14
	s_add_u32 s6, s2, s6
	s_mul_i32 s13, s18, s12
	s_addc_u32 s7, s3, s7
	s_and_saveexec_b32 s1, s0
	s_cbranch_execz .LBB89_4
; %bb.3:
	v_mul_lo_u32 v2, v8, s14
	v_add3_u32 v2, s15, s13, v2
	global_store_dword v1, v2, s[6:7] offset:4
.LBB89_4:
	s_or_b32 exec_lo, exec_lo, s1
	v_or_b32_e32 v10, 32, v8
	v_mov_b32_e32 v11, v9
	v_cmp_gt_i64_e64 s3, s[10:11], v[10:11]
	s_and_saveexec_b32 s1, s3
	s_cbranch_execz .LBB89_6
; %bb.5:
	v_mul_lo_u32 v2, v10, s14
	v_add3_u32 v2, s15, s13, v2
	global_store_dword v1, v2, s[6:7] offset:132
.LBB89_6:
	s_or_b32 exec_lo, exec_lo, s1
	v_or_b32_e32 v11, 64, v8
	v_mov_b32_e32 v12, v9
	v_cmp_gt_i64_e64 s1, s[10:11], v[11:12]
	;; [unrolled: 11-line block ×3, first 2 shown]
	s_and_saveexec_b32 s16, s2
	s_cbranch_execz .LBB89_10
; %bb.9:
	v_mul_lo_u32 v2, v12, s14
	v_add3_u32 v2, s15, s13, v2
	global_store_dword v1, v2, s[6:7] offset:388
.LBB89_10:
	s_or_b32 exec_lo, exec_lo, s16
	s_cmp_lt_i32 s8, s9
	s_cbranch_scc0 .LBB89_45
; %bb.11:
	s_clause 0x2
	s_load_dwordx2 s[20:21], s[4:5], 0x30
	s_load_dwordx2 s[14:15], s[4:5], 0x48
	s_load_dword s13, s[4:5], 0x0
	v_and_b32_e32 v0, 31, v0
	v_mov_b32_e32 v1, 0
	s_mul_i32 s40, s10, s12
	v_lshlrev_b32_e32 v21, 3, v8
	v_mad_u64_u32 v[12:13], null, v12, s39, s[40:41]
	v_or_b32_e32 v2, 32, v0
	v_mov_b32_e32 v3, v1
	v_or_b32_e32 v4, 64, v0
	v_mov_b32_e32 v5, v1
	;; [unrolled: 2-line block ×3, first 2 shown]
	v_cmp_gt_i64_e64 s6, s[10:11], v[0:1]
	v_cmp_gt_i64_e64 s7, s[10:11], v[2:3]
	;; [unrolled: 1-line block ×3, first 2 shown]
	v_mad_u64_u32 v[9:10], null, v10, s39, s[40:41]
	v_cmp_gt_i64_e64 s9, s[10:11], v[6:7]
	v_mad_u64_u32 v[12:13], null, s10, v12, 0x60
	s_waitcnt lgkmcnt(0)
	s_cmp_eq_u32 s13, 0
	v_mad_u64_u32 v[13:14], null, v11, s39, s[40:41]
	s_cselect_b32 vcc_lo, -1, 0
	s_ashr_i32 s13, s12, 31
	s_and_b32 s27, s0, s8
	s_and_b32 s28, s0, s9
	;; [unrolled: 1-line block ×14, first 2 shown]
	s_lshl_b64 s[2:3], s[12:13], 3
	s_and_b32 s25, s0, s6
	s_and_b32 s26, s0, s7
	s_mul_hi_u32 s0, s10, s12
	s_mul_i32 s6, s10, s13
	s_add_u32 s2, s20, s2
	s_addc_u32 s3, s21, s3
	s_add_i32 s0, s0, s6
	s_mul_i32 s6, s11, s12
	v_mul_lo_u32 v26, s10, v9
	v_mad_u64_u32 v[9:10], null, v8, s39, s[40:41]
	s_add_i32 s41, s0, s6
	v_mul_lo_u32 v24, s10, v13
	s_lshl_b64 s[6:7], s[40:41], 3
	v_lshlrev_b32_e32 v13, 3, v0
	v_add_co_u32 v15, s0, s6, v21
	v_add_co_ci_u32_e64 v16, null, s7, 0, s0
	v_mul_lo_u32 v28, s10, v9
	v_add_co_u32 v7, s0, 0x300, v15
	v_add_co_ci_u32_e64 v8, null, 0, v16, s0
	v_add_co_u32 v9, s0, 0x200, v15
	v_add_co_ci_u32_e64 v10, null, 0, v16, s0
	v_add_co_u32 v11, s0, 0x100, v15
	v_mov_b32_e32 v23, v12
	v_add_co_ci_u32_e64 v12, null, 0, v16, s0
	v_add_co_u32 v35, s0, s6, v13
	v_add_co_ci_u32_e64 v36, null, s7, 0, s0
	v_mov_b32_e32 v14, v1
	v_mov_b32_e32 v22, v1
	v_add_co_u32 v17, s0, 0x300, v35
	v_add_co_ci_u32_e64 v18, null, 0, v36, s0
	v_mov_b32_e32 v25, v1
	v_mov_b32_e32 v27, v1
	;; [unrolled: 1-line block ×3, first 2 shown]
	v_mul_lo_u32 v1, s10, v8
	v_mul_lo_u32 v30, s11, v7
	v_mad_u64_u32 v[7:8], null, s10, v7, v[13:14]
	v_mul_lo_u32 v31, s10, v10
	v_mul_lo_u32 v32, s11, v9
	v_mad_u64_u32 v[9:10], null, s10, v9, v[13:14]
	;; [unrolled: 3-line block ×4, first 2 shown]
	v_mul_lo_u32 v40, s11, v17
	v_mad_u64_u32 v[15:16], null, s10, v17, v[21:22]
	v_add_co_u32 v17, s0, 0x200, v35
	s_clause 0x1
	s_load_dwordx2 s[16:17], s[4:5], 0x20
	s_load_dwordx2 s[4:5], s[4:5], 0x58
	v_mul_lo_u32 v39, s10, v18
	v_add_co_ci_u32_e64 v18, null, 0, v36, s0
	v_add_co_u32 v19, s0, 0x100, v35
	v_add_co_ci_u32_e64 v20, null, 0, v36, s0
	v_mul_lo_u32 v41, s10, v18
	v_mul_lo_u32 v42, s11, v17
	v_mad_u64_u32 v[17:18], null, s10, v17, v[21:22]
	v_mul_lo_u32 v43, s10, v20
	v_mul_lo_u32 v44, s11, v19
	v_mad_u64_u32 v[19:20], null, s10, v19, v[21:22]
	;; [unrolled: 3-line block ×3, first 2 shown]
	v_mov_b32_e32 v3, v0
	v_add3_u32 v8, v30, v8, v1
	v_add3_u32 v10, v32, v10, v31
	;; [unrolled: 1-line block ×8, first 2 shown]
	s_mov_b32 s13, s10
	s_lshl_b64 s[6:7], s[18:19], 3
	s_branch .LBB89_13
.LBB89_12:                              ;   in Loop: Header=BB89_13 Depth=1
	s_or_b32 exec_lo, exec_lo, s20
	v_add_co_u32 v5, s0, v5, 0
	v_add_co_ci_u32_e64 v23, null, s13, v23, s0
	v_add_co_u32 v25, s0, v25, 0
	v_add_co_ci_u32_e64 v24, null, s13, v24, s0
	v_add_co_u32 v27, s0, v27, 0
	s_add_i32 s12, s12, 1
	v_add_co_ci_u32_e64 v26, null, s13, v26, s0
	v_add_co_u32 v29, s0, v29, 0
	s_add_u32 s2, s2, 8
	v_add_co_ci_u32_e64 v28, null, s13, v28, s0
	s_addc_u32 s3, s3, 0
	s_add_u32 s16, s16, s6
	s_addc_u32 s17, s17, s7
	s_cmp_ge_i32 s12, s24
	s_cbranch_scc1 .LBB89_45
.LBB89_13:                              ; =>This Inner Loop Header: Depth=1
	s_load_dwordx2 s[18:19], s[2:3], 0x0
	s_waitcnt lgkmcnt(0)
	s_sub_u32 s0, s18, s23
	s_subb_u32 s19, s19, 0
	s_mul_i32 s18, s0, s11
	s_mul_hi_u32 s20, s0, s10
	s_mul_i32 s19, s19, s10
	s_add_i32 s18, s20, s18
	s_mul_i32 s0, s0, s10
	s_add_i32 s19, s18, s19
	s_add_u32 s18, s0, s22
	s_addc_u32 s19, s19, 0
	s_and_saveexec_b32 s20, s25
	s_cbranch_execnz .LBB89_29
; %bb.14:                               ;   in Loop: Header=BB89_13 Depth=1
	s_or_b32 exec_lo, exec_lo, s20
	s_and_saveexec_b32 s20, s26
	s_cbranch_execnz .LBB89_30
.LBB89_15:                              ;   in Loop: Header=BB89_13 Depth=1
	s_or_b32 exec_lo, exec_lo, s20
	s_and_saveexec_b32 s20, s27
	s_cbranch_execnz .LBB89_31
.LBB89_16:                              ;   in Loop: Header=BB89_13 Depth=1
	s_or_b32 exec_lo, exec_lo, s20
	s_and_saveexec_b32 s20, s28
	s_cbranch_execnz .LBB89_32
.LBB89_17:                              ;   in Loop: Header=BB89_13 Depth=1
	s_or_b32 exec_lo, exec_lo, s20
	s_and_saveexec_b32 s20, s29
	s_cbranch_execnz .LBB89_33
.LBB89_18:                              ;   in Loop: Header=BB89_13 Depth=1
	s_or_b32 exec_lo, exec_lo, s20
	s_and_saveexec_b32 s20, s30
	s_cbranch_execnz .LBB89_34
.LBB89_19:                              ;   in Loop: Header=BB89_13 Depth=1
	s_or_b32 exec_lo, exec_lo, s20
	s_and_saveexec_b32 s20, s31
	s_cbranch_execnz .LBB89_35
.LBB89_20:                              ;   in Loop: Header=BB89_13 Depth=1
	s_or_b32 exec_lo, exec_lo, s20
	s_and_saveexec_b32 s20, s33
	s_cbranch_execnz .LBB89_36
.LBB89_21:                              ;   in Loop: Header=BB89_13 Depth=1
	s_or_b32 exec_lo, exec_lo, s20
	s_and_saveexec_b32 s20, s34
	s_cbranch_execnz .LBB89_37
.LBB89_22:                              ;   in Loop: Header=BB89_13 Depth=1
	s_or_b32 exec_lo, exec_lo, s20
	s_and_saveexec_b32 s20, s35
	s_cbranch_execnz .LBB89_38
.LBB89_23:                              ;   in Loop: Header=BB89_13 Depth=1
	s_or_b32 exec_lo, exec_lo, s20
	s_and_saveexec_b32 s20, s36
	s_cbranch_execnz .LBB89_39
.LBB89_24:                              ;   in Loop: Header=BB89_13 Depth=1
	s_or_b32 exec_lo, exec_lo, s20
	s_and_saveexec_b32 s20, s1
	s_cbranch_execnz .LBB89_40
.LBB89_25:                              ;   in Loop: Header=BB89_13 Depth=1
	s_or_b32 exec_lo, exec_lo, s20
	s_and_saveexec_b32 s20, s37
	s_cbranch_execnz .LBB89_41
.LBB89_26:                              ;   in Loop: Header=BB89_13 Depth=1
	s_or_b32 exec_lo, exec_lo, s20
	s_and_saveexec_b32 s20, s38
	s_cbranch_execnz .LBB89_42
.LBB89_27:                              ;   in Loop: Header=BB89_13 Depth=1
	s_or_b32 exec_lo, exec_lo, s20
	s_and_saveexec_b32 s20, s8
	s_cbranch_execnz .LBB89_43
.LBB89_28:                              ;   in Loop: Header=BB89_13 Depth=1
	s_or_b32 exec_lo, exec_lo, s20
	s_and_saveexec_b32 s20, s9
	s_cbranch_execz .LBB89_12
	s_branch .LBB89_44
.LBB89_29:                              ;   in Loop: Header=BB89_13 Depth=1
	v_add_co_u32 v1, s0, s16, v13
	v_add_co_ci_u32_e64 v30, null, s17, v14, s0
	v_add_co_u32 v32, s0, s16, v21
	v_add_co_ci_u32_e64 v31, null, s17, v22, s0
	v_cndmask_b32_e32 v31, v31, v30, vcc_lo
	v_cndmask_b32_e32 v30, v32, v1, vcc_lo
	v_add_co_u32 v32, s0, 0, v29
	v_add_co_ci_u32_e64 v33, null, v3, v28, s0
	global_load_dwordx2 v[30:31], v[30:31], off
	v_add_co_u32 v34, s0, s18, v0
	v_ashrrev_i64 v[32:33], 29, v[32:33]
	v_add_co_ci_u32_e64 v35, null, s19, 0, s0
	v_add_co_u32 v36, s0, s4, v32
	v_add_co_ci_u32_e64 v37, null, s5, v33, s0
	v_add_co_u32 v32, s0, s14, v32
	v_add_co_ci_u32_e64 v33, null, s15, v33, s0
	global_store_dwordx2 v[36:37], v[34:35], off
	s_waitcnt vmcnt(0)
	global_store_dwordx2 v[32:33], v[30:31], off
	s_or_b32 exec_lo, exec_lo, s20
	s_and_saveexec_b32 s20, s26
	s_cbranch_execz .LBB89_15
.LBB89_30:                              ;   in Loop: Header=BB89_13 Depth=1
	v_add_co_u32 v1, s0, s16, v13
	v_add_co_ci_u32_e64 v30, null, s17, v14, s0
	v_add_co_u32 v1, s0, 0x100, v1
	v_add_co_ci_u32_e64 v30, null, 0, v30, s0
	;; [unrolled: 2-line block ×3, first 2 shown]
	v_cndmask_b32_e32 v31, v31, v30, vcc_lo
	v_cndmask_b32_e32 v30, v32, v1, vcc_lo
	v_add_co_u32 v32, s0, 0, v29
	v_add_co_ci_u32_e64 v1, null, v3, v28, s0
	global_load_dwordx2 v[30:31], v[30:31], off
	v_add_co_u32 v34, s0, s18, v2
	v_add_nc_u32_e32 v33, 32, v1
	v_add_co_ci_u32_e64 v35, null, s19, 0, s0
	v_ashrrev_i64 v[32:33], 29, v[32:33]
	v_add_co_u32 v36, s0, s4, v32
	v_add_co_ci_u32_e64 v37, null, s5, v33, s0
	v_add_co_u32 v32, s0, s14, v32
	v_add_co_ci_u32_e64 v33, null, s15, v33, s0
	global_store_dwordx2 v[36:37], v[34:35], off
	s_waitcnt vmcnt(0)
	global_store_dwordx2 v[32:33], v[30:31], off
	s_or_b32 exec_lo, exec_lo, s20
	s_and_saveexec_b32 s20, s27
	s_cbranch_execz .LBB89_16
.LBB89_31:                              ;   in Loop: Header=BB89_13 Depth=1
	v_add_co_u32 v1, s0, s16, v13
	v_add_co_ci_u32_e64 v30, null, s17, v14, s0
	v_add_co_u32 v1, s0, 0x200, v1
	v_add_co_ci_u32_e64 v30, null, 0, v30, s0
	;; [unrolled: 2-line block ×3, first 2 shown]
	v_cndmask_b32_e32 v31, v31, v30, vcc_lo
	v_cndmask_b32_e32 v30, v32, v1, vcc_lo
	v_add_co_u32 v32, s0, 0, v29
	v_add_co_ci_u32_e64 v1, null, v3, v28, s0
	global_load_dwordx2 v[30:31], v[30:31], off
	v_add_co_u32 v34, s0, s18, v4
	v_add_nc_u32_e32 v33, 64, v1
	v_add_co_ci_u32_e64 v35, null, s19, 0, s0
	v_ashrrev_i64 v[32:33], 29, v[32:33]
	v_add_co_u32 v36, s0, s4, v32
	v_add_co_ci_u32_e64 v37, null, s5, v33, s0
	v_add_co_u32 v32, s0, s14, v32
	v_add_co_ci_u32_e64 v33, null, s15, v33, s0
	global_store_dwordx2 v[36:37], v[34:35], off
	s_waitcnt vmcnt(0)
	global_store_dwordx2 v[32:33], v[30:31], off
	s_or_b32 exec_lo, exec_lo, s20
	s_and_saveexec_b32 s20, s28
	s_cbranch_execz .LBB89_17
.LBB89_32:                              ;   in Loop: Header=BB89_13 Depth=1
	v_add_co_u32 v1, s0, s16, v13
	v_add_co_ci_u32_e64 v30, null, s17, v14, s0
	v_add_co_u32 v1, s0, 0x300, v1
	v_add_co_ci_u32_e64 v30, null, 0, v30, s0
	;; [unrolled: 2-line block ×3, first 2 shown]
	v_cndmask_b32_e32 v31, v31, v30, vcc_lo
	v_cndmask_b32_e32 v30, v32, v1, vcc_lo
	v_add_co_u32 v32, s0, 0, v29
	v_add_co_ci_u32_e64 v1, null, v3, v28, s0
	global_load_dwordx2 v[30:31], v[30:31], off
	v_add_co_u32 v34, s0, s18, v6
	v_add_nc_u32_e32 v33, 0x60, v1
	v_add_co_ci_u32_e64 v35, null, s19, 0, s0
	v_ashrrev_i64 v[32:33], 29, v[32:33]
	v_add_co_u32 v36, s0, s4, v32
	v_add_co_ci_u32_e64 v37, null, s5, v33, s0
	v_add_co_u32 v32, s0, s14, v32
	v_add_co_ci_u32_e64 v33, null, s15, v33, s0
	global_store_dwordx2 v[36:37], v[34:35], off
	s_waitcnt vmcnt(0)
	global_store_dwordx2 v[32:33], v[30:31], off
	s_or_b32 exec_lo, exec_lo, s20
	s_and_saveexec_b32 s20, s29
	s_cbranch_execz .LBB89_18
.LBB89_33:                              ;   in Loop: Header=BB89_13 Depth=1
	v_add_co_u32 v1, s0, s16, v21
	v_add_co_ci_u32_e64 v30, null, s17, v22, s0
	v_add_co_u32 v32, s0, s16, v11
	v_add_co_ci_u32_e64 v31, null, s17, v12, s0
	v_add_co_u32 v1, s0, 0x100, v1
	v_add_co_ci_u32_e64 v30, null, 0, v30, s0
	v_cndmask_b32_e32 v31, v30, v31, vcc_lo
	v_cndmask_b32_e32 v30, v1, v32, vcc_lo
	v_add_co_u32 v32, s0, 0, v27
	v_add_co_ci_u32_e64 v33, null, v3, v26, s0
	global_load_dwordx2 v[30:31], v[30:31], off
	v_add_co_u32 v34, s0, s18, v0
	v_ashrrev_i64 v[32:33], 29, v[32:33]
	v_add_co_ci_u32_e64 v35, null, s19, 0, s0
	v_add_co_u32 v36, s0, s4, v32
	v_add_co_ci_u32_e64 v37, null, s5, v33, s0
	v_add_co_u32 v32, s0, s14, v32
	v_add_co_ci_u32_e64 v33, null, s15, v33, s0
	global_store_dwordx2 v[36:37], v[34:35], off
	s_waitcnt vmcnt(0)
	global_store_dwordx2 v[32:33], v[30:31], off
	s_or_b32 exec_lo, exec_lo, s20
	s_and_saveexec_b32 s20, s30
	s_cbranch_execz .LBB89_19
.LBB89_34:                              ;   in Loop: Header=BB89_13 Depth=1
	v_add_co_u32 v1, s0, s16, v11
	v_add_co_ci_u32_e64 v30, null, s17, v12, s0
	v_add_co_u32 v32, s0, s16, v19
	v_add_co_ci_u32_e64 v31, null, s17, v20, s0
	v_cndmask_b32_e32 v31, v31, v30, vcc_lo
	v_cndmask_b32_e32 v30, v32, v1, vcc_lo
	v_add_co_u32 v32, s0, 0, v27
	v_add_co_ci_u32_e64 v1, null, v3, v26, s0
	global_load_dwordx2 v[30:31], v[30:31], off offset:256
	v_add_co_u32 v34, s0, s18, v2
	v_add_nc_u32_e32 v33, 32, v1
	v_add_co_ci_u32_e64 v35, null, s19, 0, s0
	v_ashrrev_i64 v[32:33], 29, v[32:33]
	v_add_co_u32 v36, s0, s4, v32
	v_add_co_ci_u32_e64 v37, null, s5, v33, s0
	v_add_co_u32 v32, s0, s14, v32
	v_add_co_ci_u32_e64 v33, null, s15, v33, s0
	global_store_dwordx2 v[36:37], v[34:35], off
	s_waitcnt vmcnt(0)
	global_store_dwordx2 v[32:33], v[30:31], off
	s_or_b32 exec_lo, exec_lo, s20
	s_and_saveexec_b32 s20, s31
	s_cbranch_execz .LBB89_20
.LBB89_35:                              ;   in Loop: Header=BB89_13 Depth=1
	v_add_co_u32 v1, s0, s16, v11
	v_add_co_ci_u32_e64 v30, null, s17, v12, s0
	v_add_co_u32 v31, s0, s16, v17
	v_add_co_ci_u32_e64 v32, null, s17, v18, s0
	;; [unrolled: 2-line block ×4, first 2 shown]
	v_add_co_u32 v32, s0, 0, v27
	v_cndmask_b32_e32 v31, v31, v30, vcc_lo
	v_cndmask_b32_e32 v30, v33, v1, vcc_lo
	v_add_co_ci_u32_e64 v1, null, v3, v26, s0
	v_add_co_u32 v34, s0, s18, v4
	global_load_dwordx2 v[30:31], v[30:31], off
	v_add_nc_u32_e32 v33, 64, v1
	v_add_co_ci_u32_e64 v35, null, s19, 0, s0
	v_ashrrev_i64 v[32:33], 29, v[32:33]
	v_add_co_u32 v36, s0, s4, v32
	v_add_co_ci_u32_e64 v37, null, s5, v33, s0
	v_add_co_u32 v32, s0, s14, v32
	v_add_co_ci_u32_e64 v33, null, s15, v33, s0
	global_store_dwordx2 v[36:37], v[34:35], off
	s_waitcnt vmcnt(0)
	global_store_dwordx2 v[32:33], v[30:31], off
	s_or_b32 exec_lo, exec_lo, s20
	s_and_saveexec_b32 s20, s33
	s_cbranch_execz .LBB89_21
.LBB89_36:                              ;   in Loop: Header=BB89_13 Depth=1
	v_add_co_u32 v1, s0, s16, v11
	v_add_co_ci_u32_e64 v30, null, s17, v12, s0
	v_add_co_u32 v31, s0, s16, v15
	v_add_co_ci_u32_e64 v32, null, s17, v16, s0
	;; [unrolled: 2-line block ×4, first 2 shown]
	v_add_co_u32 v32, s0, 0, v27
	v_cndmask_b32_e32 v31, v31, v30, vcc_lo
	v_cndmask_b32_e32 v30, v33, v1, vcc_lo
	v_add_co_ci_u32_e64 v1, null, v3, v26, s0
	v_add_co_u32 v34, s0, s18, v6
	global_load_dwordx2 v[30:31], v[30:31], off
	v_add_nc_u32_e32 v33, 0x60, v1
	v_add_co_ci_u32_e64 v35, null, s19, 0, s0
	v_ashrrev_i64 v[32:33], 29, v[32:33]
	v_add_co_u32 v36, s0, s4, v32
	v_add_co_ci_u32_e64 v37, null, s5, v33, s0
	v_add_co_u32 v32, s0, s14, v32
	v_add_co_ci_u32_e64 v33, null, s15, v33, s0
	global_store_dwordx2 v[36:37], v[34:35], off
	s_waitcnt vmcnt(0)
	global_store_dwordx2 v[32:33], v[30:31], off
	s_or_b32 exec_lo, exec_lo, s20
	s_and_saveexec_b32 s20, s34
	s_cbranch_execz .LBB89_22
.LBB89_37:                              ;   in Loop: Header=BB89_13 Depth=1
	v_add_co_u32 v1, s0, s16, v21
	v_add_co_ci_u32_e64 v30, null, s17, v22, s0
	v_add_co_u32 v32, s0, s16, v9
	v_add_co_ci_u32_e64 v31, null, s17, v10, s0
	;; [unrolled: 2-line block ×3, first 2 shown]
	v_cndmask_b32_e32 v31, v30, v31, vcc_lo
	v_cndmask_b32_e32 v30, v1, v32, vcc_lo
	v_add_co_u32 v32, s0, 0, v25
	v_add_co_ci_u32_e64 v33, null, v3, v24, s0
	global_load_dwordx2 v[30:31], v[30:31], off
	v_add_co_u32 v34, s0, s18, v0
	v_ashrrev_i64 v[32:33], 29, v[32:33]
	v_add_co_ci_u32_e64 v35, null, s19, 0, s0
	v_add_co_u32 v36, s0, s4, v32
	v_add_co_ci_u32_e64 v37, null, s5, v33, s0
	v_add_co_u32 v32, s0, s14, v32
	v_add_co_ci_u32_e64 v33, null, s15, v33, s0
	global_store_dwordx2 v[36:37], v[34:35], off
	s_waitcnt vmcnt(0)
	global_store_dwordx2 v[32:33], v[30:31], off
	s_or_b32 exec_lo, exec_lo, s20
	s_and_saveexec_b32 s20, s35
	s_cbranch_execz .LBB89_23
.LBB89_38:                              ;   in Loop: Header=BB89_13 Depth=1
	v_add_co_u32 v1, s0, s16, v9
	v_add_co_ci_u32_e64 v30, null, s17, v10, s0
	v_add_co_u32 v31, s0, s16, v19
	v_add_co_ci_u32_e64 v32, null, s17, v20, s0
	v_add_co_u32 v1, s0, 0x100, v1
	v_add_co_ci_u32_e64 v30, null, 0, v30, s0
	v_add_co_u32 v33, s0, 0x200, v31
	v_add_co_ci_u32_e64 v31, null, 0, v32, s0
	v_add_co_u32 v32, s0, 0, v25
	v_cndmask_b32_e32 v31, v31, v30, vcc_lo
	v_cndmask_b32_e32 v30, v33, v1, vcc_lo
	v_add_co_ci_u32_e64 v1, null, v3, v24, s0
	v_add_co_u32 v34, s0, s18, v2
	global_load_dwordx2 v[30:31], v[30:31], off
	v_add_nc_u32_e32 v33, 32, v1
	v_add_co_ci_u32_e64 v35, null, s19, 0, s0
	v_ashrrev_i64 v[32:33], 29, v[32:33]
	v_add_co_u32 v36, s0, s4, v32
	v_add_co_ci_u32_e64 v37, null, s5, v33, s0
	v_add_co_u32 v32, s0, s14, v32
	v_add_co_ci_u32_e64 v33, null, s15, v33, s0
	global_store_dwordx2 v[36:37], v[34:35], off
	s_waitcnt vmcnt(0)
	global_store_dwordx2 v[32:33], v[30:31], off
	s_or_b32 exec_lo, exec_lo, s20
	s_and_saveexec_b32 s20, s36
	s_cbranch_execz .LBB89_24
.LBB89_39:                              ;   in Loop: Header=BB89_13 Depth=1
	v_add_co_u32 v1, s0, s16, v9
	v_add_co_ci_u32_e64 v30, null, s17, v10, s0
	v_add_co_u32 v32, s0, s16, v17
	v_add_co_ci_u32_e64 v31, null, s17, v18, s0
	v_cndmask_b32_e32 v31, v31, v30, vcc_lo
	v_cndmask_b32_e32 v30, v32, v1, vcc_lo
	v_add_co_u32 v32, s0, 0, v25
	v_add_co_ci_u32_e64 v1, null, v3, v24, s0
	global_load_dwordx2 v[30:31], v[30:31], off offset:512
	v_add_co_u32 v34, s0, s18, v4
	v_add_nc_u32_e32 v33, 64, v1
	v_add_co_ci_u32_e64 v35, null, s19, 0, s0
	v_ashrrev_i64 v[32:33], 29, v[32:33]
	v_add_co_u32 v36, s0, s4, v32
	v_add_co_ci_u32_e64 v37, null, s5, v33, s0
	v_add_co_u32 v32, s0, s14, v32
	v_add_co_ci_u32_e64 v33, null, s15, v33, s0
	global_store_dwordx2 v[36:37], v[34:35], off
	s_waitcnt vmcnt(0)
	global_store_dwordx2 v[32:33], v[30:31], off
	s_or_b32 exec_lo, exec_lo, s20
	s_and_saveexec_b32 s20, s1
	s_cbranch_execz .LBB89_25
.LBB89_40:                              ;   in Loop: Header=BB89_13 Depth=1
	v_add_co_u32 v1, s0, s16, v9
	v_add_co_ci_u32_e64 v30, null, s17, v10, s0
	v_add_co_u32 v31, s0, s16, v15
	v_add_co_ci_u32_e64 v32, null, s17, v16, s0
	;; [unrolled: 2-line block ×4, first 2 shown]
	v_add_co_u32 v32, s0, 0, v25
	v_cndmask_b32_e32 v31, v31, v30, vcc_lo
	v_cndmask_b32_e32 v30, v33, v1, vcc_lo
	v_add_co_ci_u32_e64 v1, null, v3, v24, s0
	v_add_co_u32 v34, s0, s18, v6
	global_load_dwordx2 v[30:31], v[30:31], off
	v_add_nc_u32_e32 v33, 0x60, v1
	v_add_co_ci_u32_e64 v35, null, s19, 0, s0
	v_ashrrev_i64 v[32:33], 29, v[32:33]
	v_add_co_u32 v36, s0, s4, v32
	v_add_co_ci_u32_e64 v37, null, s5, v33, s0
	v_add_co_u32 v32, s0, s14, v32
	v_add_co_ci_u32_e64 v33, null, s15, v33, s0
	global_store_dwordx2 v[36:37], v[34:35], off
	s_waitcnt vmcnt(0)
	global_store_dwordx2 v[32:33], v[30:31], off
	s_or_b32 exec_lo, exec_lo, s20
	s_and_saveexec_b32 s20, s37
	s_cbranch_execz .LBB89_26
.LBB89_41:                              ;   in Loop: Header=BB89_13 Depth=1
	v_add_co_u32 v1, s0, s16, v21
	v_add_co_ci_u32_e64 v30, null, s17, v22, s0
	v_add_co_u32 v32, s0, s16, v7
	v_add_co_ci_u32_e64 v31, null, s17, v8, s0
	;; [unrolled: 2-line block ×3, first 2 shown]
	v_cndmask_b32_e32 v31, v30, v31, vcc_lo
	v_cndmask_b32_e32 v30, v1, v32, vcc_lo
	v_add_co_u32 v32, s0, 0, v5
	v_add_co_ci_u32_e64 v1, null, v3, v23, s0
	global_load_dwordx2 v[30:31], v[30:31], off
	v_add_co_u32 v34, s0, s18, v0
	v_add_nc_u32_e32 v33, 0xffffffa0, v1
	v_add_co_ci_u32_e64 v35, null, s19, 0, s0
	v_ashrrev_i64 v[32:33], 29, v[32:33]
	v_add_co_u32 v36, s0, s4, v32
	v_add_co_ci_u32_e64 v37, null, s5, v33, s0
	v_add_co_u32 v32, s0, s14, v32
	v_add_co_ci_u32_e64 v33, null, s15, v33, s0
	global_store_dwordx2 v[36:37], v[34:35], off
	s_waitcnt vmcnt(0)
	global_store_dwordx2 v[32:33], v[30:31], off
	s_or_b32 exec_lo, exec_lo, s20
	s_and_saveexec_b32 s20, s38
	s_cbranch_execz .LBB89_27
.LBB89_42:                              ;   in Loop: Header=BB89_13 Depth=1
	v_add_co_u32 v1, s0, s16, v7
	v_add_co_ci_u32_e64 v30, null, s17, v8, s0
	v_add_co_u32 v31, s0, s16, v19
	v_add_co_ci_u32_e64 v32, null, s17, v20, s0
	;; [unrolled: 2-line block ×4, first 2 shown]
	v_add_co_u32 v32, s0, 0, v5
	v_cndmask_b32_e32 v31, v31, v30, vcc_lo
	v_cndmask_b32_e32 v30, v33, v1, vcc_lo
	v_add_co_ci_u32_e64 v1, null, v3, v23, s0
	v_add_co_u32 v34, s0, s18, v2
	global_load_dwordx2 v[30:31], v[30:31], off
	v_subrev_nc_u32_e32 v33, 64, v1
	v_add_co_ci_u32_e64 v35, null, s19, 0, s0
	v_ashrrev_i64 v[32:33], 29, v[32:33]
	v_add_co_u32 v36, s0, s4, v32
	v_add_co_ci_u32_e64 v37, null, s5, v33, s0
	v_add_co_u32 v32, s0, s14, v32
	v_add_co_ci_u32_e64 v33, null, s15, v33, s0
	global_store_dwordx2 v[36:37], v[34:35], off
	s_waitcnt vmcnt(0)
	global_store_dwordx2 v[32:33], v[30:31], off
	s_or_b32 exec_lo, exec_lo, s20
	s_and_saveexec_b32 s20, s8
	s_cbranch_execz .LBB89_28
.LBB89_43:                              ;   in Loop: Header=BB89_13 Depth=1
	v_add_co_u32 v1, s0, s16, v7
	v_add_co_ci_u32_e64 v30, null, s17, v8, s0
	v_add_co_u32 v31, s0, s16, v17
	v_add_co_ci_u32_e64 v32, null, s17, v18, s0
	;; [unrolled: 2-line block ×4, first 2 shown]
	v_add_co_u32 v32, s0, 0, v5
	v_cndmask_b32_e32 v31, v31, v30, vcc_lo
	v_cndmask_b32_e32 v30, v33, v1, vcc_lo
	v_add_co_ci_u32_e64 v1, null, v3, v23, s0
	v_add_co_u32 v34, s0, s18, v4
	global_load_dwordx2 v[30:31], v[30:31], off
	v_subrev_nc_u32_e32 v33, 32, v1
	v_add_co_ci_u32_e64 v35, null, s19, 0, s0
	v_ashrrev_i64 v[32:33], 29, v[32:33]
	v_add_co_u32 v36, s0, s4, v32
	v_add_co_ci_u32_e64 v37, null, s5, v33, s0
	v_add_co_u32 v32, s0, s14, v32
	v_add_co_ci_u32_e64 v33, null, s15, v33, s0
	global_store_dwordx2 v[36:37], v[34:35], off
	s_waitcnt vmcnt(0)
	global_store_dwordx2 v[32:33], v[30:31], off
	s_or_b32 exec_lo, exec_lo, s20
	s_and_saveexec_b32 s20, s9
	s_cbranch_execz .LBB89_12
.LBB89_44:                              ;   in Loop: Header=BB89_13 Depth=1
	v_add_co_u32 v1, s0, s16, v7
	v_add_co_ci_u32_e64 v30, null, s17, v8, s0
	v_add_co_u32 v32, s0, s16, v15
	v_add_co_ci_u32_e64 v31, null, s17, v16, s0
	v_cndmask_b32_e32 v31, v31, v30, vcc_lo
	v_cndmask_b32_e32 v30, v32, v1, vcc_lo
	v_add_co_u32 v32, s0, 0, v5
	v_add_co_ci_u32_e64 v33, null, v3, v23, s0
	global_load_dwordx2 v[30:31], v[30:31], off offset:768
	v_add_co_u32 v34, s0, s18, v6
	v_ashrrev_i64 v[32:33], 29, v[32:33]
	v_add_co_ci_u32_e64 v35, null, s19, 0, s0
	v_add_co_u32 v36, s0, s4, v32
	v_add_co_ci_u32_e64 v37, null, s5, v33, s0
	v_add_co_u32 v32, s0, s14, v32
	v_add_co_ci_u32_e64 v33, null, s15, v33, s0
	global_store_dwordx2 v[36:37], v[34:35], off
	s_waitcnt vmcnt(0)
	global_store_dwordx2 v[32:33], v[30:31], off
	s_branch .LBB89_12
.LBB89_45:
	s_endpgm
	.section	.rodata,"a",@progbits
	.p2align	6, 0x0
	.amdhsa_kernel _ZN9rocsparseL35bsr2csr_block_per_row_33_256_kernelILj1024ELj128ELj32ElilEEv20rocsparse_direction_T4_S2_21rocsparse_index_base_PKT2_PKT3_PKS2_S2_S3_PS4_PS7_PS2_
		.amdhsa_group_segment_fixed_size 0
		.amdhsa_private_segment_fixed_size 0
		.amdhsa_kernarg_size 96
		.amdhsa_user_sgpr_count 6
		.amdhsa_user_sgpr_private_segment_buffer 1
		.amdhsa_user_sgpr_dispatch_ptr 0
		.amdhsa_user_sgpr_queue_ptr 0
		.amdhsa_user_sgpr_kernarg_segment_ptr 1
		.amdhsa_user_sgpr_dispatch_id 0
		.amdhsa_user_sgpr_flat_scratch_init 0
		.amdhsa_user_sgpr_private_segment_size 0
		.amdhsa_wavefront_size32 1
		.amdhsa_uses_dynamic_stack 0
		.amdhsa_system_sgpr_private_segment_wavefront_offset 0
		.amdhsa_system_sgpr_workgroup_id_x 1
		.amdhsa_system_sgpr_workgroup_id_y 0
		.amdhsa_system_sgpr_workgroup_id_z 0
		.amdhsa_system_sgpr_workgroup_info 0
		.amdhsa_system_vgpr_workitem_id 0
		.amdhsa_next_free_vgpr 46
		.amdhsa_next_free_sgpr 42
		.amdhsa_reserve_vcc 1
		.amdhsa_reserve_flat_scratch 0
		.amdhsa_float_round_mode_32 0
		.amdhsa_float_round_mode_16_64 0
		.amdhsa_float_denorm_mode_32 3
		.amdhsa_float_denorm_mode_16_64 3
		.amdhsa_dx10_clamp 1
		.amdhsa_ieee_mode 1
		.amdhsa_fp16_overflow 0
		.amdhsa_workgroup_processor_mode 1
		.amdhsa_memory_ordered 1
		.amdhsa_forward_progress 1
		.amdhsa_shared_vgpr_count 0
		.amdhsa_exception_fp_ieee_invalid_op 0
		.amdhsa_exception_fp_denorm_src 0
		.amdhsa_exception_fp_ieee_div_zero 0
		.amdhsa_exception_fp_ieee_overflow 0
		.amdhsa_exception_fp_ieee_underflow 0
		.amdhsa_exception_fp_ieee_inexact 0
		.amdhsa_exception_int_div_zero 0
	.end_amdhsa_kernel
	.section	.text._ZN9rocsparseL35bsr2csr_block_per_row_33_256_kernelILj1024ELj128ELj32ElilEEv20rocsparse_direction_T4_S2_21rocsparse_index_base_PKT2_PKT3_PKS2_S2_S3_PS4_PS7_PS2_,"axG",@progbits,_ZN9rocsparseL35bsr2csr_block_per_row_33_256_kernelILj1024ELj128ELj32ElilEEv20rocsparse_direction_T4_S2_21rocsparse_index_base_PKT2_PKT3_PKS2_S2_S3_PS4_PS7_PS2_,comdat
.Lfunc_end89:
	.size	_ZN9rocsparseL35bsr2csr_block_per_row_33_256_kernelILj1024ELj128ELj32ElilEEv20rocsparse_direction_T4_S2_21rocsparse_index_base_PKT2_PKT3_PKS2_S2_S3_PS4_PS7_PS2_, .Lfunc_end89-_ZN9rocsparseL35bsr2csr_block_per_row_33_256_kernelILj1024ELj128ELj32ElilEEv20rocsparse_direction_T4_S2_21rocsparse_index_base_PKT2_PKT3_PKS2_S2_S3_PS4_PS7_PS2_
                                        ; -- End function
	.set _ZN9rocsparseL35bsr2csr_block_per_row_33_256_kernelILj1024ELj128ELj32ElilEEv20rocsparse_direction_T4_S2_21rocsparse_index_base_PKT2_PKT3_PKS2_S2_S3_PS4_PS7_PS2_.num_vgpr, 46
	.set _ZN9rocsparseL35bsr2csr_block_per_row_33_256_kernelILj1024ELj128ELj32ElilEEv20rocsparse_direction_T4_S2_21rocsparse_index_base_PKT2_PKT3_PKS2_S2_S3_PS4_PS7_PS2_.num_agpr, 0
	.set _ZN9rocsparseL35bsr2csr_block_per_row_33_256_kernelILj1024ELj128ELj32ElilEEv20rocsparse_direction_T4_S2_21rocsparse_index_base_PKT2_PKT3_PKS2_S2_S3_PS4_PS7_PS2_.numbered_sgpr, 42
	.set _ZN9rocsparseL35bsr2csr_block_per_row_33_256_kernelILj1024ELj128ELj32ElilEEv20rocsparse_direction_T4_S2_21rocsparse_index_base_PKT2_PKT3_PKS2_S2_S3_PS4_PS7_PS2_.num_named_barrier, 0
	.set _ZN9rocsparseL35bsr2csr_block_per_row_33_256_kernelILj1024ELj128ELj32ElilEEv20rocsparse_direction_T4_S2_21rocsparse_index_base_PKT2_PKT3_PKS2_S2_S3_PS4_PS7_PS2_.private_seg_size, 0
	.set _ZN9rocsparseL35bsr2csr_block_per_row_33_256_kernelILj1024ELj128ELj32ElilEEv20rocsparse_direction_T4_S2_21rocsparse_index_base_PKT2_PKT3_PKS2_S2_S3_PS4_PS7_PS2_.uses_vcc, 1
	.set _ZN9rocsparseL35bsr2csr_block_per_row_33_256_kernelILj1024ELj128ELj32ElilEEv20rocsparse_direction_T4_S2_21rocsparse_index_base_PKT2_PKT3_PKS2_S2_S3_PS4_PS7_PS2_.uses_flat_scratch, 0
	.set _ZN9rocsparseL35bsr2csr_block_per_row_33_256_kernelILj1024ELj128ELj32ElilEEv20rocsparse_direction_T4_S2_21rocsparse_index_base_PKT2_PKT3_PKS2_S2_S3_PS4_PS7_PS2_.has_dyn_sized_stack, 0
	.set _ZN9rocsparseL35bsr2csr_block_per_row_33_256_kernelILj1024ELj128ELj32ElilEEv20rocsparse_direction_T4_S2_21rocsparse_index_base_PKT2_PKT3_PKS2_S2_S3_PS4_PS7_PS2_.has_recursion, 0
	.set _ZN9rocsparseL35bsr2csr_block_per_row_33_256_kernelILj1024ELj128ELj32ElilEEv20rocsparse_direction_T4_S2_21rocsparse_index_base_PKT2_PKT3_PKS2_S2_S3_PS4_PS7_PS2_.has_indirect_call, 0
	.section	.AMDGPU.csdata,"",@progbits
; Kernel info:
; codeLenInByte = 4364
; TotalNumSgprs: 44
; NumVgprs: 46
; ScratchSize: 0
; MemoryBound: 0
; FloatMode: 240
; IeeeMode: 1
; LDSByteSize: 0 bytes/workgroup (compile time only)
; SGPRBlocks: 0
; VGPRBlocks: 5
; NumSGPRsForWavesPerEU: 44
; NumVGPRsForWavesPerEU: 46
; Occupancy: 16
; WaveLimiterHint : 1
; COMPUTE_PGM_RSRC2:SCRATCH_EN: 0
; COMPUTE_PGM_RSRC2:USER_SGPR: 6
; COMPUTE_PGM_RSRC2:TRAP_HANDLER: 0
; COMPUTE_PGM_RSRC2:TGID_X_EN: 1
; COMPUTE_PGM_RSRC2:TGID_Y_EN: 0
; COMPUTE_PGM_RSRC2:TGID_Z_EN: 0
; COMPUTE_PGM_RSRC2:TIDIG_COMP_CNT: 0
	.section	.text._ZN9rocsparseL35bsr2csr_block_per_row_33_256_kernelILj1024ELj256ELj32ElilEEv20rocsparse_direction_T4_S2_21rocsparse_index_base_PKT2_PKT3_PKS2_S2_S3_PS4_PS7_PS2_,"axG",@progbits,_ZN9rocsparseL35bsr2csr_block_per_row_33_256_kernelILj1024ELj256ELj32ElilEEv20rocsparse_direction_T4_S2_21rocsparse_index_base_PKT2_PKT3_PKS2_S2_S3_PS4_PS7_PS2_,comdat
	.globl	_ZN9rocsparseL35bsr2csr_block_per_row_33_256_kernelILj1024ELj256ELj32ElilEEv20rocsparse_direction_T4_S2_21rocsparse_index_base_PKT2_PKT3_PKS2_S2_S3_PS4_PS7_PS2_ ; -- Begin function _ZN9rocsparseL35bsr2csr_block_per_row_33_256_kernelILj1024ELj256ELj32ElilEEv20rocsparse_direction_T4_S2_21rocsparse_index_base_PKT2_PKT3_PKS2_S2_S3_PS4_PS7_PS2_
	.p2align	8
	.type	_ZN9rocsparseL35bsr2csr_block_per_row_33_256_kernelILj1024ELj256ELj32ElilEEv20rocsparse_direction_T4_S2_21rocsparse_index_base_PKT2_PKT3_PKS2_S2_S3_PS4_PS7_PS2_,@function
_ZN9rocsparseL35bsr2csr_block_per_row_33_256_kernelILj1024ELj256ELj32ElilEEv20rocsparse_direction_T4_S2_21rocsparse_index_base_PKT2_PKT3_PKS2_S2_S3_PS4_PS7_PS2_: ; @_ZN9rocsparseL35bsr2csr_block_per_row_33_256_kernelILj1024ELj256ELj32ElilEEv20rocsparse_direction_T4_S2_21rocsparse_index_base_PKT2_PKT3_PKS2_S2_S3_PS4_PS7_PS2_
; %bb.0:
	s_load_dwordx2 s[0:1], s[4:5], 0x28
	s_mov_b32 s7, 0
	s_clause 0x1
	s_load_dword s30, s[4:5], 0x40
	s_load_dwordx2 s[2:3], s[4:5], 0x50
	s_lshl_b64 s[8:9], s[6:7], 2
	v_or_b32_e32 v1, s6, v0
	s_waitcnt lgkmcnt(0)
	s_add_u32 s0, s0, s8
	s_addc_u32 s1, s1, s9
	s_load_dwordx2 s[10:11], s[0:1], 0x0
	s_mov_b32 s0, exec_lo
	v_cmpx_eq_u32_e32 0, v1
	s_cbranch_execz .LBB90_2
; %bb.1:
	v_mov_b32_e32 v1, 0
	v_mov_b32_e32 v2, s30
	global_store_dword v1, v2, s[2:3]
.LBB90_2:
	s_or_b32 exec_lo, exec_lo, s0
	s_clause 0x1
	s_load_dword s31, s[4:5], 0x18
	s_load_dwordx2 s[18:19], s[4:5], 0x38
	v_mov_b32_e32 v17, 0
	v_lshrrev_b32_e32 v16, 5, v0
	v_lshlrev_b32_e32 v1, 2, v16
	s_waitcnt lgkmcnt(0)
	s_sub_i32 s20, s10, s31
	s_sub_i32 s33, s11, s31
	s_mul_i32 s7, s18, s19
	s_mul_hi_u32 s1, s18, s18
	s_mul_i32 s8, s19, s6
	s_mul_hi_u32 s9, s18, s6
	s_mul_i32 s0, s18, s6
	s_add_i32 s6, s1, s7
	s_sub_i32 s88, s33, s20
	s_add_i32 s1, s9, s8
	s_add_i32 s27, s6, s7
	s_mul_i32 s15, s18, s88
	s_lshl_b64 s[6:7], s[0:1], 2
	v_cmp_gt_i64_e64 s0, s[18:19], v[16:17]
	s_mul_i32 s26, s18, s18
	s_add_i32 s16, s30, s15
	s_add_u32 s12, s2, s6
	s_mul_i32 s14, s26, s20
	s_addc_u32 s13, s3, s7
	s_and_saveexec_b32 s1, s0
	s_cbranch_execz .LBB90_4
; %bb.3:
	v_mul_lo_u32 v2, v16, s15
	v_add3_u32 v2, s16, s14, v2
	global_store_dword v1, v2, s[12:13] offset:4
.LBB90_4:
	s_or_b32 exec_lo, exec_lo, s1
	v_or_b32_e32 v18, 32, v16
	v_mov_b32_e32 v19, v17
	v_cmp_gt_i64_e64 s1, s[18:19], v[18:19]
	s_and_saveexec_b32 s2, s1
	s_cbranch_execz .LBB90_6
; %bb.5:
	v_mul_lo_u32 v2, v18, s15
	v_add3_u32 v2, s16, s14, v2
	global_store_dword v1, v2, s[12:13] offset:132
.LBB90_6:
	s_or_b32 exec_lo, exec_lo, s2
	v_or_b32_e32 v19, 64, v16
	v_mov_b32_e32 v20, v17
	v_cmp_gt_i64_e64 s2, s[18:19], v[19:20]
	;; [unrolled: 11-line block ×7, first 2 shown]
	s_and_saveexec_b32 s17, s9
	s_cbranch_execz .LBB90_18
; %bb.17:
	v_mul_lo_u32 v2, v24, s15
	v_add3_u32 v2, s16, s14, v2
	global_store_dword v1, v2, s[12:13] offset:900
.LBB90_18:
	s_or_b32 exec_lo, exec_lo, s17
	s_cmp_lt_i32 s10, s11
	s_cbranch_scc0 .LBB90_149
; %bb.19:
	s_load_dword s12, s[4:5], 0x0
	v_and_b32_e32 v0, 31, v0
	v_mov_b32_e32 v1, 0
	s_clause 0x2
	s_load_dwordx2 s[28:29], s[4:5], 0x30
	s_load_dwordx2 s[22:23], s[4:5], 0x48
	;; [unrolled: 1-line block ×3, first 2 shown]
	v_lshlrev_b32_e32 v45, 3, v16
	s_load_dwordx2 s[4:5], s[4:5], 0x58
	v_or_b32_e32 v2, 32, v0
	v_mov_b32_e32 v3, v1
	v_or_b32_e32 v4, 64, v0
	v_mov_b32_e32 v5, v1
	;; [unrolled: 2-line block ×7, first 2 shown]
	v_cmp_gt_i64_e64 s10, s[18:19], v[0:1]
	v_cmp_gt_i64_e64 s11, s[18:19], v[2:3]
	s_waitcnt lgkmcnt(0)
	s_cmp_eq_u32 s12, 0
	v_cmp_gt_i64_e64 s12, s[18:19], v[4:5]
	v_cmp_gt_i64_e64 s13, s[18:19], v[6:7]
	v_cmp_gt_i64_e64 s14, s[18:19], v[8:9]
	v_cmp_gt_i64_e64 s15, s[18:19], v[10:11]
	v_cmp_gt_i64_e64 s16, s[18:19], v[12:13]
	v_cmp_gt_i64_e64 s17, s[18:19], v[14:15]
	s_cselect_b32 vcc_lo, -1, 0
	s_and_b32 s65, s6, s10
	s_and_b32 s66, s6, s11
	;; [unrolled: 1-line block ×8, first 2 shown]
	s_mul_i32 s6, s18, s20
	s_ashr_i32 s21, s20, 31
	v_mad_u64_u32 v[47:48], null, v24, s88, s[6:7]
	v_mad_u64_u32 v[48:49], null, v23, s88, s[6:7]
	;; [unrolled: 1-line block ×6, first 2 shown]
	s_and_b32 s49, s2, s10
	s_and_b32 s50, s2, s11
	;; [unrolled: 1-line block ×16, first 2 shown]
	v_mad_u64_u32 v[53:54], null, v18, s88, s[6:7]
	s_lshl_b64 s[2:3], s[20:21], 3
	s_and_b32 s34, s0, s10
	s_and_b32 s35, s0, s11
	;; [unrolled: 1-line block ×40, first 2 shown]
	v_mad_u64_u32 v[54:55], null, v16, s88, s[6:7]
	s_mul_hi_u32 s0, s18, s20
	s_mul_i32 s7, s18, s21
	s_add_u32 s2, s28, s2
	s_addc_u32 s3, s29, s3
	s_add_i32 s0, s0, s7
	s_mul_i32 s7, s19, s20
	v_lshlrev_b32_e32 v29, 3, v0
	s_add_i32 s7, s0, s7
	v_mov_b32_e32 v30, v1
	s_lshl_b64 s[6:7], s[6:7], 3
	v_mov_b32_e32 v46, v1
	v_add_co_u32 v3, s0, s6, v45
	v_add_co_ci_u32_e64 v5, null, s7, 0, s0
	v_mul_lo_u32 v63, s18, v52
	v_add_co_u32 v7, s0, 0x700, v3
	v_add_co_ci_u32_e64 v9, null, 0, v5, s0
	v_mul_lo_u32 v65, s18, v53
	v_mul_lo_u32 v11, s19, v7
	v_mad_u64_u32 v[15:16], null, s18, v7, v[29:30]
	v_add_co_u32 v7, s0, 0x600, v3
	v_add_co_ci_u32_e64 v13, null, 0, v5, s0
	v_add_co_u32 v19, s0, 0x500, v3
	v_add_co_ci_u32_e64 v20, null, 0, v5, s0
	v_mul_lo_u32 v21, s19, v7
	v_mad_u64_u32 v[17:18], null, s18, v7, v[29:30]
	v_mul_lo_u32 v7, s18, v20
	v_mul_lo_u32 v22, s19, v19
	v_mad_u64_u32 v[19:20], null, s18, v19, v[29:30]
	v_mul_lo_u32 v9, s18, v9
	v_mul_lo_u32 v13, s18, v13
	;; [unrolled: 1-line block ×3, first 2 shown]
	v_mov_b32_e32 v64, v1
	v_mov_b32_e32 v66, v1
	;; [unrolled: 1-line block ×3, first 2 shown]
	v_add3_u32 v20, v22, v20, v7
	v_add_co_u32 v7, s0, 0x400, v3
	v_add3_u32 v16, v11, v16, v9
	v_add_co_ci_u32_e64 v9, null, 0, v5, s0
	v_add_co_u32 v11, s0, 0x300, v3
	v_add3_u32 v18, v21, v18, v13
	v_add_co_ci_u32_e64 v13, null, 0, v5, s0
	v_mul_lo_u32 v31, s19, v7
	v_mad_u64_u32 v[21:22], null, s18, v7, v[29:30]
	v_mul_lo_u32 v7, s18, v13
	v_mul_lo_u32 v13, s19, v11
	v_mad_u64_u32 v[23:24], null, s18, v11, v[29:30]
	v_mul_lo_u32 v9, s18, v9
	v_add_co_u32 v11, s0, 0x200, v3
	v_add_co_ci_u32_e64 v25, null, 0, v5, s0
	v_add_co_u32 v27, s0, 0x100, v3
	v_add_co_ci_u32_e64 v28, null, 0, v5, s0
	v_add3_u32 v24, v13, v24, v7
	v_add_co_u32 v7, s0, s6, v29
	v_add3_u32 v22, v31, v22, v9
	v_add_co_ci_u32_e64 v9, null, s7, 0, s0
	v_mul_lo_u32 v33, s18, v25
	v_mul_lo_u32 v34, s19, v11
	v_mad_u64_u32 v[25:26], null, s18, v11, v[29:30]
	v_mul_lo_u32 v11, s18, v28
	v_mul_lo_u32 v35, s19, v27
	v_mad_u64_u32 v[27:28], null, s18, v27, v[29:30]
	v_mul_lo_u32 v13, s19, v3
	v_mad_u64_u32 v[29:30], null, s18, v3, v[29:30]
	v_mul_lo_u32 v3, s18, v9
	v_mul_lo_u32 v38, s19, v7
	v_mad_u64_u32 v[31:32], null, s18, v7, v[45:46]
	v_mul_lo_u32 v5, s18, v5
	v_add_co_u32 v36, s0, 0x100, v7
	v_add_co_ci_u32_e64 v37, null, 0, v9, s0
	v_add3_u32 v26, v34, v26, v33
	v_add3_u32 v32, v38, v32, v3
	v_add_co_u32 v3, s0, 0x200, v7
	v_mul_lo_u32 v37, s18, v37
	v_mul_lo_u32 v39, s19, v36
	v_mad_u64_u32 v[33:34], null, s18, v36, v[45:46]
	v_add3_u32 v28, v35, v28, v11
	v_add3_u32 v30, v13, v30, v5
	v_add_co_ci_u32_e64 v5, null, 0, v9, s0
	v_add_co_u32 v11, s0, 0x300, v7
	v_add_co_ci_u32_e64 v13, null, 0, v9, s0
	v_add3_u32 v34, v39, v34, v37
	v_mul_lo_u32 v55, s19, v3
	v_mad_u64_u32 v[35:36], null, s18, v3, v[45:46]
	v_mul_lo_u32 v3, s18, v13
	v_mul_lo_u32 v13, s19, v11
	v_mad_u64_u32 v[37:38], null, s18, v11, v[45:46]
	v_add_co_u32 v11, s0, 0x400, v7
	v_add_co_ci_u32_e64 v39, null, 0, v9, s0
	v_add_co_u32 v41, s0, 0x500, v7
	v_add_co_ci_u32_e64 v42, null, 0, v9, s0
	;; [unrolled: 2-line block ×4, first 2 shown]
	v_mul_lo_u32 v5, s18, v5
	v_mul_lo_u32 v56, s18, v39
	;; [unrolled: 1-line block ×3, first 2 shown]
	v_mad_u64_u32 v[39:40], null, s18, v11, v[45:46]
	v_mul_lo_u32 v11, s18, v42
	v_mul_lo_u32 v58, s19, v41
	v_mad_u64_u32 v[41:42], null, s18, v41, v[45:46]
	v_mul_lo_u32 v59, s18, v44
	v_mul_lo_u32 v60, s19, v43
	v_mad_u64_u32 v[43:44], null, s18, v43, v[45:46]
	v_mul_lo_u32 v9, s18, v9
	v_mad_u64_u32 v[45:46], null, s18, v7, v[45:46]
	v_mul_lo_u32 v7, s19, v7
	v_add3_u32 v36, v55, v36, v5
	v_add3_u32 v38, v13, v38, v3
	;; [unrolled: 1-line block ×3, first 2 shown]
	v_mul_lo_u32 v3, s18, v47
	v_mul_lo_u32 v5, s18, v48
	;; [unrolled: 1-line block ×3, first 2 shown]
	v_add3_u32 v40, v57, v40, v56
	v_add3_u32 v46, v7, v46, v9
	v_mul_lo_u32 v7, s18, v49
	v_mul_lo_u32 v9, s18, v50
	v_add3_u32 v44, v60, v44, v59
	v_mov_b32_e32 v13, v0
	v_mov_b32_e32 v69, v1
	;; [unrolled: 1-line block ×5, first 2 shown]
	s_mov_b32 s17, s18
	s_lshl_b64 s[6:7], s[26:27], 3
	s_branch .LBB90_21
.LBB90_20:                              ;   in Loop: Header=BB90_21 Depth=1
	s_or_b32 exec_lo, exec_lo, s21
	v_add_co_u32 v64, s0, v64, 0
	v_add_co_ci_u32_e64 v3, null, s17, v3, s0
	v_add_co_u32 v66, s0, v66, 0
	v_add_co_ci_u32_e64 v5, null, s17, v5, s0
	;; [unrolled: 2-line block ×6, first 2 shown]
	v_add_co_u32 v72, s0, v72, 0
	s_add_i32 s20, s20, 1
	v_add_co_ci_u32_e64 v65, null, s17, v65, s0
	v_add_co_u32 v1, s0, v1, 0
	s_add_u32 s2, s2, 8
	v_add_co_ci_u32_e64 v67, null, s17, v67, s0
	s_addc_u32 s3, s3, 0
	s_add_u32 s24, s24, s6
	s_addc_u32 s25, s25, s7
	s_cmp_ge_i32 s20, s33
	s_cbranch_scc1 .LBB90_149
.LBB90_21:                              ; =>This Inner Loop Header: Depth=1
	s_load_dwordx2 s[26:27], s[2:3], 0x0
	s_waitcnt lgkmcnt(0)
	s_sub_u32 s0, s26, s31
	s_subb_u32 s21, s27, 0
	s_mul_i32 s26, s0, s19
	s_mul_hi_u32 s27, s0, s18
	s_mul_i32 s21, s21, s18
	s_add_i32 s26, s27, s26
	s_mul_i32 s0, s0, s18
	s_add_i32 s26, s26, s21
	s_add_u32 s21, s0, s30
	s_addc_u32 s26, s26, 0
	v_add_co_u32 v59, s0, s21, v0
	v_add_co_ci_u32_e64 v60, null, s26, 0, s0
	s_and_saveexec_b32 s27, s34
	s_cbranch_execz .LBB90_23
; %bb.22:                               ;   in Loop: Header=BB90_21 Depth=1
	v_add_co_u32 v47, s0, s24, v29
	v_add_co_ci_u32_e64 v48, null, s25, v30, s0
	v_add_co_u32 v49, s0, s24, v31
	v_add_co_ci_u32_e64 v50, null, s25, v32, s0
	v_cndmask_b32_e32 v47, v49, v47, vcc_lo
	v_add_co_u32 v49, s0, 0, v1
	v_cndmask_b32_e32 v48, v50, v48, vcc_lo
	v_add_co_ci_u32_e64 v50, null, v13, v67, s0
	global_load_dwordx2 v[47:48], v[47:48], off
	v_ashrrev_i64 v[49:50], 29, v[49:50]
	v_add_co_u32 v51, s0, s4, v49
	v_add_co_ci_u32_e64 v52, null, s5, v50, s0
	v_add_co_u32 v49, s0, s22, v49
	v_add_co_ci_u32_e64 v50, null, s23, v50, s0
	global_store_dwordx2 v[51:52], v[59:60], off
	s_waitcnt vmcnt(0)
	global_store_dwordx2 v[49:50], v[47:48], off
.LBB90_23:                              ;   in Loop: Header=BB90_21 Depth=1
	s_or_b32 exec_lo, exec_lo, s27
	v_add_co_u32 v47, s0, s21, v2
	v_add_co_ci_u32_e64 v48, null, s26, 0, s0
	s_and_saveexec_b32 s27, s35
	s_cbranch_execz .LBB90_25
; %bb.24:                               ;   in Loop: Header=BB90_21 Depth=1
	v_add_co_u32 v49, s0, s24, v29
	v_add_co_ci_u32_e64 v50, null, s25, v30, s0
	v_add_co_u32 v49, s0, 0x100, v49
	v_add_co_ci_u32_e64 v50, null, 0, v50, s0
	v_add_co_u32 v51, s0, s24, v33
	v_add_co_ci_u32_e64 v52, null, s25, v34, s0
	v_cndmask_b32_e32 v49, v51, v49, vcc_lo
	v_add_co_u32 v51, s0, 0, v1
	v_cndmask_b32_e32 v50, v52, v50, vcc_lo
	v_add_co_ci_u32_e64 v52, null, v13, v67, s0
	global_load_dwordx2 v[49:50], v[49:50], off
	v_add_nc_u32_e32 v52, 32, v52
	v_ashrrev_i64 v[51:52], 29, v[51:52]
	v_add_co_u32 v53, s0, s4, v51
	v_add_co_ci_u32_e64 v54, null, s5, v52, s0
	v_add_co_u32 v51, s0, s22, v51
	v_add_co_ci_u32_e64 v52, null, s23, v52, s0
	global_store_dwordx2 v[53:54], v[47:48], off
	s_waitcnt vmcnt(0)
	global_store_dwordx2 v[51:52], v[49:50], off
.LBB90_25:                              ;   in Loop: Header=BB90_21 Depth=1
	s_or_b32 exec_lo, exec_lo, s27
	v_add_co_u32 v49, s0, s21, v4
	v_add_co_ci_u32_e64 v50, null, s26, 0, s0
	s_and_saveexec_b32 s27, s36
	s_cbranch_execz .LBB90_27
; %bb.26:                               ;   in Loop: Header=BB90_21 Depth=1
	v_add_co_u32 v51, s0, s24, v29
	v_add_co_ci_u32_e64 v52, null, s25, v30, s0
	v_add_co_u32 v51, s0, 0x200, v51
	v_add_co_ci_u32_e64 v52, null, 0, v52, s0
	v_add_co_u32 v53, s0, s24, v35
	v_add_co_ci_u32_e64 v54, null, s25, v36, s0
	v_cndmask_b32_e32 v51, v53, v51, vcc_lo
	v_add_co_u32 v53, s0, 0, v1
	v_cndmask_b32_e32 v52, v54, v52, vcc_lo
	v_add_co_ci_u32_e64 v54, null, v13, v67, s0
	global_load_dwordx2 v[51:52], v[51:52], off
	v_add_nc_u32_e32 v54, 64, v54
	v_ashrrev_i64 v[53:54], 29, v[53:54]
	v_add_co_u32 v55, s0, s4, v53
	v_add_co_ci_u32_e64 v56, null, s5, v54, s0
	v_add_co_u32 v53, s0, s22, v53
	v_add_co_ci_u32_e64 v54, null, s23, v54, s0
	global_store_dwordx2 v[55:56], v[49:50], off
	s_waitcnt vmcnt(0)
	global_store_dwordx2 v[53:54], v[51:52], off
.LBB90_27:                              ;   in Loop: Header=BB90_21 Depth=1
	;; [unrolled: 27-line block ×6, first 2 shown]
	s_or_b32 exec_lo, exec_lo, s27
	v_add_co_u32 v61, s0, s21, v14
	v_add_co_ci_u32_e64 v62, null, s26, 0, s0
	s_and_saveexec_b32 s21, s41
	s_cbranch_execnz .LBB90_92
; %bb.36:                               ;   in Loop: Header=BB90_21 Depth=1
	s_or_b32 exec_lo, exec_lo, s21
	s_and_saveexec_b32 s21, s42
	s_cbranch_execnz .LBB90_93
.LBB90_37:                              ;   in Loop: Header=BB90_21 Depth=1
	s_or_b32 exec_lo, exec_lo, s21
	s_and_saveexec_b32 s21, s43
	s_cbranch_execnz .LBB90_94
.LBB90_38:                              ;   in Loop: Header=BB90_21 Depth=1
	s_or_b32 exec_lo, exec_lo, s21
	s_and_saveexec_b32 s21, s44
	s_cbranch_execnz .LBB90_95
.LBB90_39:                              ;   in Loop: Header=BB90_21 Depth=1
	s_or_b32 exec_lo, exec_lo, s21
	s_and_saveexec_b32 s21, s45
	s_cbranch_execnz .LBB90_96
.LBB90_40:                              ;   in Loop: Header=BB90_21 Depth=1
	s_or_b32 exec_lo, exec_lo, s21
	s_and_saveexec_b32 s21, s46
	s_cbranch_execnz .LBB90_97
.LBB90_41:                              ;   in Loop: Header=BB90_21 Depth=1
	s_or_b32 exec_lo, exec_lo, s21
	s_and_saveexec_b32 s21, s47
	s_cbranch_execnz .LBB90_98
.LBB90_42:                              ;   in Loop: Header=BB90_21 Depth=1
	s_or_b32 exec_lo, exec_lo, s21
	s_and_saveexec_b32 s21, s48
	s_cbranch_execnz .LBB90_99
.LBB90_43:                              ;   in Loop: Header=BB90_21 Depth=1
	s_or_b32 exec_lo, exec_lo, s21
	s_and_saveexec_b32 s21, s1
	s_cbranch_execnz .LBB90_100
.LBB90_44:                              ;   in Loop: Header=BB90_21 Depth=1
	s_or_b32 exec_lo, exec_lo, s21
	s_and_saveexec_b32 s21, s49
	s_cbranch_execnz .LBB90_101
.LBB90_45:                              ;   in Loop: Header=BB90_21 Depth=1
	s_or_b32 exec_lo, exec_lo, s21
	s_and_saveexec_b32 s21, s50
	s_cbranch_execnz .LBB90_102
.LBB90_46:                              ;   in Loop: Header=BB90_21 Depth=1
	s_or_b32 exec_lo, exec_lo, s21
	s_and_saveexec_b32 s21, s51
	s_cbranch_execnz .LBB90_103
.LBB90_47:                              ;   in Loop: Header=BB90_21 Depth=1
	s_or_b32 exec_lo, exec_lo, s21
	s_and_saveexec_b32 s21, s52
	s_cbranch_execnz .LBB90_104
.LBB90_48:                              ;   in Loop: Header=BB90_21 Depth=1
	s_or_b32 exec_lo, exec_lo, s21
	s_and_saveexec_b32 s21, s53
	s_cbranch_execnz .LBB90_105
.LBB90_49:                              ;   in Loop: Header=BB90_21 Depth=1
	s_or_b32 exec_lo, exec_lo, s21
	s_and_saveexec_b32 s21, s54
	s_cbranch_execnz .LBB90_106
.LBB90_50:                              ;   in Loop: Header=BB90_21 Depth=1
	s_or_b32 exec_lo, exec_lo, s21
	s_and_saveexec_b32 s21, s55
	s_cbranch_execnz .LBB90_107
.LBB90_51:                              ;   in Loop: Header=BB90_21 Depth=1
	s_or_b32 exec_lo, exec_lo, s21
	s_and_saveexec_b32 s21, s56
	s_cbranch_execnz .LBB90_108
.LBB90_52:                              ;   in Loop: Header=BB90_21 Depth=1
	s_or_b32 exec_lo, exec_lo, s21
	s_and_saveexec_b32 s21, s57
	s_cbranch_execnz .LBB90_109
.LBB90_53:                              ;   in Loop: Header=BB90_21 Depth=1
	s_or_b32 exec_lo, exec_lo, s21
	s_and_saveexec_b32 s21, s58
	s_cbranch_execnz .LBB90_110
.LBB90_54:                              ;   in Loop: Header=BB90_21 Depth=1
	s_or_b32 exec_lo, exec_lo, s21
	s_and_saveexec_b32 s21, s59
	s_cbranch_execnz .LBB90_111
.LBB90_55:                              ;   in Loop: Header=BB90_21 Depth=1
	s_or_b32 exec_lo, exec_lo, s21
	s_and_saveexec_b32 s21, s60
	s_cbranch_execnz .LBB90_112
.LBB90_56:                              ;   in Loop: Header=BB90_21 Depth=1
	s_or_b32 exec_lo, exec_lo, s21
	s_and_saveexec_b32 s21, s61
	s_cbranch_execnz .LBB90_113
.LBB90_57:                              ;   in Loop: Header=BB90_21 Depth=1
	s_or_b32 exec_lo, exec_lo, s21
	s_and_saveexec_b32 s21, s62
	s_cbranch_execnz .LBB90_114
.LBB90_58:                              ;   in Loop: Header=BB90_21 Depth=1
	s_or_b32 exec_lo, exec_lo, s21
	s_and_saveexec_b32 s21, s63
	s_cbranch_execnz .LBB90_115
.LBB90_59:                              ;   in Loop: Header=BB90_21 Depth=1
	s_or_b32 exec_lo, exec_lo, s21
	s_and_saveexec_b32 s21, s64
	s_cbranch_execnz .LBB90_116
.LBB90_60:                              ;   in Loop: Header=BB90_21 Depth=1
	s_or_b32 exec_lo, exec_lo, s21
	s_and_saveexec_b32 s21, s65
	s_cbranch_execnz .LBB90_117
.LBB90_61:                              ;   in Loop: Header=BB90_21 Depth=1
	s_or_b32 exec_lo, exec_lo, s21
	s_and_saveexec_b32 s21, s66
	s_cbranch_execnz .LBB90_118
.LBB90_62:                              ;   in Loop: Header=BB90_21 Depth=1
	s_or_b32 exec_lo, exec_lo, s21
	s_and_saveexec_b32 s21, s67
	s_cbranch_execnz .LBB90_119
.LBB90_63:                              ;   in Loop: Header=BB90_21 Depth=1
	s_or_b32 exec_lo, exec_lo, s21
	s_and_saveexec_b32 s21, s68
	s_cbranch_execnz .LBB90_120
.LBB90_64:                              ;   in Loop: Header=BB90_21 Depth=1
	s_or_b32 exec_lo, exec_lo, s21
	s_and_saveexec_b32 s21, s69
	s_cbranch_execnz .LBB90_121
.LBB90_65:                              ;   in Loop: Header=BB90_21 Depth=1
	s_or_b32 exec_lo, exec_lo, s21
	s_and_saveexec_b32 s21, s70
	s_cbranch_execnz .LBB90_122
.LBB90_66:                              ;   in Loop: Header=BB90_21 Depth=1
	s_or_b32 exec_lo, exec_lo, s21
	s_and_saveexec_b32 s21, s71
	s_cbranch_execnz .LBB90_123
.LBB90_67:                              ;   in Loop: Header=BB90_21 Depth=1
	s_or_b32 exec_lo, exec_lo, s21
	s_and_saveexec_b32 s21, s72
	s_cbranch_execnz .LBB90_124
.LBB90_68:                              ;   in Loop: Header=BB90_21 Depth=1
	s_or_b32 exec_lo, exec_lo, s21
	s_and_saveexec_b32 s21, s73
	s_cbranch_execnz .LBB90_125
.LBB90_69:                              ;   in Loop: Header=BB90_21 Depth=1
	s_or_b32 exec_lo, exec_lo, s21
	s_and_saveexec_b32 s21, s74
	s_cbranch_execnz .LBB90_126
.LBB90_70:                              ;   in Loop: Header=BB90_21 Depth=1
	s_or_b32 exec_lo, exec_lo, s21
	s_and_saveexec_b32 s21, s75
	s_cbranch_execnz .LBB90_127
.LBB90_71:                              ;   in Loop: Header=BB90_21 Depth=1
	s_or_b32 exec_lo, exec_lo, s21
	s_and_saveexec_b32 s21, s76
	s_cbranch_execnz .LBB90_128
.LBB90_72:                              ;   in Loop: Header=BB90_21 Depth=1
	s_or_b32 exec_lo, exec_lo, s21
	s_and_saveexec_b32 s21, s77
	s_cbranch_execnz .LBB90_129
.LBB90_73:                              ;   in Loop: Header=BB90_21 Depth=1
	s_or_b32 exec_lo, exec_lo, s21
	s_and_saveexec_b32 s21, s78
	s_cbranch_execnz .LBB90_130
.LBB90_74:                              ;   in Loop: Header=BB90_21 Depth=1
	s_or_b32 exec_lo, exec_lo, s21
	s_and_saveexec_b32 s21, s79
	s_cbranch_execnz .LBB90_131
.LBB90_75:                              ;   in Loop: Header=BB90_21 Depth=1
	s_or_b32 exec_lo, exec_lo, s21
	s_and_saveexec_b32 s21, s80
	s_cbranch_execnz .LBB90_132
.LBB90_76:                              ;   in Loop: Header=BB90_21 Depth=1
	s_or_b32 exec_lo, exec_lo, s21
	s_and_saveexec_b32 s21, s81
	s_cbranch_execnz .LBB90_133
.LBB90_77:                              ;   in Loop: Header=BB90_21 Depth=1
	s_or_b32 exec_lo, exec_lo, s21
	s_and_saveexec_b32 s21, s82
	s_cbranch_execnz .LBB90_134
.LBB90_78:                              ;   in Loop: Header=BB90_21 Depth=1
	s_or_b32 exec_lo, exec_lo, s21
	s_and_saveexec_b32 s21, s83
	s_cbranch_execnz .LBB90_135
.LBB90_79:                              ;   in Loop: Header=BB90_21 Depth=1
	s_or_b32 exec_lo, exec_lo, s21
	s_and_saveexec_b32 s21, s84
	s_cbranch_execnz .LBB90_136
.LBB90_80:                              ;   in Loop: Header=BB90_21 Depth=1
	s_or_b32 exec_lo, exec_lo, s21
	s_and_saveexec_b32 s21, s85
	s_cbranch_execnz .LBB90_137
.LBB90_81:                              ;   in Loop: Header=BB90_21 Depth=1
	s_or_b32 exec_lo, exec_lo, s21
	s_and_saveexec_b32 s21, s86
	s_cbranch_execnz .LBB90_138
.LBB90_82:                              ;   in Loop: Header=BB90_21 Depth=1
	s_or_b32 exec_lo, exec_lo, s21
	s_and_saveexec_b32 s21, s87
	s_cbranch_execnz .LBB90_139
.LBB90_83:                              ;   in Loop: Header=BB90_21 Depth=1
	s_or_b32 exec_lo, exec_lo, s21
	s_and_saveexec_b32 s21, s8
	s_cbranch_execnz .LBB90_140
.LBB90_84:                              ;   in Loop: Header=BB90_21 Depth=1
	s_or_b32 exec_lo, exec_lo, s21
	s_and_saveexec_b32 s21, s10
	s_cbranch_execnz .LBB90_141
.LBB90_85:                              ;   in Loop: Header=BB90_21 Depth=1
	s_or_b32 exec_lo, exec_lo, s21
	s_and_saveexec_b32 s21, s11
	s_cbranch_execnz .LBB90_142
.LBB90_86:                              ;   in Loop: Header=BB90_21 Depth=1
	s_or_b32 exec_lo, exec_lo, s21
	s_and_saveexec_b32 s21, s12
	s_cbranch_execnz .LBB90_143
.LBB90_87:                              ;   in Loop: Header=BB90_21 Depth=1
	s_or_b32 exec_lo, exec_lo, s21
	s_and_saveexec_b32 s21, s13
	s_cbranch_execnz .LBB90_144
.LBB90_88:                              ;   in Loop: Header=BB90_21 Depth=1
	s_or_b32 exec_lo, exec_lo, s21
	s_and_saveexec_b32 s21, s14
	s_cbranch_execnz .LBB90_145
.LBB90_89:                              ;   in Loop: Header=BB90_21 Depth=1
	s_or_b32 exec_lo, exec_lo, s21
	s_and_saveexec_b32 s21, s15
	s_cbranch_execnz .LBB90_146
.LBB90_90:                              ;   in Loop: Header=BB90_21 Depth=1
	s_or_b32 exec_lo, exec_lo, s21
	s_and_saveexec_b32 s21, s16
	s_cbranch_execnz .LBB90_147
.LBB90_91:                              ;   in Loop: Header=BB90_21 Depth=1
	s_or_b32 exec_lo, exec_lo, s21
	s_and_saveexec_b32 s21, s9
	s_cbranch_execz .LBB90_20
	s_branch .LBB90_148
.LBB90_92:                              ;   in Loop: Header=BB90_21 Depth=1
	v_add_co_u32 v73, s0, s24, v29
	v_add_co_ci_u32_e64 v74, null, s25, v30, s0
	v_add_co_u32 v73, s0, 0x700, v73
	v_add_co_ci_u32_e64 v74, null, 0, v74, s0
	;; [unrolled: 2-line block ×3, first 2 shown]
	v_cndmask_b32_e32 v73, v75, v73, vcc_lo
	v_add_co_u32 v75, s0, 0, v1
	v_cndmask_b32_e32 v74, v76, v74, vcc_lo
	v_add_co_ci_u32_e64 v76, null, v13, v67, s0
	global_load_dwordx2 v[73:74], v[73:74], off
	v_add_nc_u32_e32 v76, 0xe0, v76
	v_ashrrev_i64 v[75:76], 29, v[75:76]
	v_add_co_u32 v77, s0, s4, v75
	v_add_co_ci_u32_e64 v78, null, s5, v76, s0
	v_add_co_u32 v75, s0, s22, v75
	v_add_co_ci_u32_e64 v76, null, s23, v76, s0
	global_store_dwordx2 v[77:78], v[61:62], off
	s_waitcnt vmcnt(0)
	global_store_dwordx2 v[75:76], v[73:74], off
	s_or_b32 exec_lo, exec_lo, s21
	s_and_saveexec_b32 s21, s42
	s_cbranch_execz .LBB90_37
.LBB90_93:                              ;   in Loop: Header=BB90_21 Depth=1
	v_add_co_u32 v73, s0, s24, v31
	v_add_co_ci_u32_e64 v74, null, s25, v32, s0
	v_add_co_u32 v75, s0, s24, v27
	v_add_co_ci_u32_e64 v76, null, s25, v28, s0
	;; [unrolled: 2-line block ×3, first 2 shown]
	v_cndmask_b32_e32 v73, v73, v75, vcc_lo
	v_add_co_u32 v75, s0, 0, v72
	v_cndmask_b32_e32 v74, v74, v76, vcc_lo
	v_add_co_ci_u32_e64 v76, null, v13, v65, s0
	global_load_dwordx2 v[73:74], v[73:74], off
	v_ashrrev_i64 v[75:76], 29, v[75:76]
	v_add_co_u32 v77, s0, s4, v75
	v_add_co_ci_u32_e64 v78, null, s5, v76, s0
	v_add_co_u32 v75, s0, s22, v75
	v_add_co_ci_u32_e64 v76, null, s23, v76, s0
	global_store_dwordx2 v[77:78], v[59:60], off
	s_waitcnt vmcnt(0)
	global_store_dwordx2 v[75:76], v[73:74], off
	s_or_b32 exec_lo, exec_lo, s21
	s_and_saveexec_b32 s21, s43
	s_cbranch_execz .LBB90_38
.LBB90_94:                              ;   in Loop: Header=BB90_21 Depth=1
	v_add_co_u32 v73, s0, s24, v27
	v_add_co_ci_u32_e64 v74, null, s25, v28, s0
	v_add_co_u32 v75, s0, s24, v33
	v_add_co_ci_u32_e64 v76, null, s25, v34, s0
	v_cndmask_b32_e32 v73, v75, v73, vcc_lo
	v_add_co_u32 v75, s0, 0, v72
	v_cndmask_b32_e32 v74, v76, v74, vcc_lo
	v_add_co_ci_u32_e64 v76, null, v13, v65, s0
	global_load_dwordx2 v[73:74], v[73:74], off offset:256
	v_add_nc_u32_e32 v76, 32, v76
	v_ashrrev_i64 v[75:76], 29, v[75:76]
	v_add_co_u32 v77, s0, s4, v75
	v_add_co_ci_u32_e64 v78, null, s5, v76, s0
	v_add_co_u32 v75, s0, s22, v75
	v_add_co_ci_u32_e64 v76, null, s23, v76, s0
	global_store_dwordx2 v[77:78], v[47:48], off
	s_waitcnt vmcnt(0)
	global_store_dwordx2 v[75:76], v[73:74], off
	s_or_b32 exec_lo, exec_lo, s21
	s_and_saveexec_b32 s21, s44
	s_cbranch_execz .LBB90_39
.LBB90_95:                              ;   in Loop: Header=BB90_21 Depth=1
	v_add_co_u32 v73, s0, s24, v27
	v_add_co_ci_u32_e64 v74, null, s25, v28, s0
	v_add_co_u32 v75, s0, s24, v35
	v_add_co_ci_u32_e64 v76, null, s25, v36, s0
	;; [unrolled: 2-line block ×4, first 2 shown]
	v_cndmask_b32_e32 v73, v75, v73, vcc_lo
	v_add_co_u32 v75, s0, 0, v72
	v_cndmask_b32_e32 v74, v76, v74, vcc_lo
	v_add_co_ci_u32_e64 v76, null, v13, v65, s0
	global_load_dwordx2 v[73:74], v[73:74], off
	v_add_nc_u32_e32 v76, 64, v76
	v_ashrrev_i64 v[75:76], 29, v[75:76]
	v_add_co_u32 v77, s0, s4, v75
	v_add_co_ci_u32_e64 v78, null, s5, v76, s0
	v_add_co_u32 v75, s0, s22, v75
	v_add_co_ci_u32_e64 v76, null, s23, v76, s0
	global_store_dwordx2 v[77:78], v[49:50], off
	s_waitcnt vmcnt(0)
	global_store_dwordx2 v[75:76], v[73:74], off
	s_or_b32 exec_lo, exec_lo, s21
	s_and_saveexec_b32 s21, s45
	s_cbranch_execz .LBB90_40
.LBB90_96:                              ;   in Loop: Header=BB90_21 Depth=1
	v_add_co_u32 v73, s0, s24, v27
	v_add_co_ci_u32_e64 v74, null, s25, v28, s0
	v_add_co_u32 v75, s0, s24, v37
	v_add_co_ci_u32_e64 v76, null, s25, v38, s0
	;; [unrolled: 2-line block ×4, first 2 shown]
	v_cndmask_b32_e32 v73, v75, v73, vcc_lo
	v_add_co_u32 v75, s0, 0, v72
	v_cndmask_b32_e32 v74, v76, v74, vcc_lo
	v_add_co_ci_u32_e64 v76, null, v13, v65, s0
	global_load_dwordx2 v[73:74], v[73:74], off
	v_add_nc_u32_e32 v76, 0x60, v76
	v_ashrrev_i64 v[75:76], 29, v[75:76]
	v_add_co_u32 v77, s0, s4, v75
	v_add_co_ci_u32_e64 v78, null, s5, v76, s0
	v_add_co_u32 v75, s0, s22, v75
	v_add_co_ci_u32_e64 v76, null, s23, v76, s0
	global_store_dwordx2 v[77:78], v[51:52], off
	s_waitcnt vmcnt(0)
	global_store_dwordx2 v[75:76], v[73:74], off
	s_or_b32 exec_lo, exec_lo, s21
	s_and_saveexec_b32 s21, s46
	s_cbranch_execz .LBB90_41
.LBB90_97:                              ;   in Loop: Header=BB90_21 Depth=1
	v_add_co_u32 v73, s0, s24, v27
	v_add_co_ci_u32_e64 v74, null, s25, v28, s0
	v_add_co_u32 v75, s0, s24, v39
	v_add_co_ci_u32_e64 v76, null, s25, v40, s0
	;; [unrolled: 2-line block ×4, first 2 shown]
	v_cndmask_b32_e32 v73, v75, v73, vcc_lo
	v_add_co_u32 v75, s0, 0, v72
	v_cndmask_b32_e32 v74, v76, v74, vcc_lo
	v_add_co_ci_u32_e64 v76, null, v13, v65, s0
	global_load_dwordx2 v[73:74], v[73:74], off
	v_add_nc_u32_e32 v76, 0x80, v76
	v_ashrrev_i64 v[75:76], 29, v[75:76]
	v_add_co_u32 v77, s0, s4, v75
	v_add_co_ci_u32_e64 v78, null, s5, v76, s0
	v_add_co_u32 v75, s0, s22, v75
	v_add_co_ci_u32_e64 v76, null, s23, v76, s0
	global_store_dwordx2 v[77:78], v[53:54], off
	s_waitcnt vmcnt(0)
	global_store_dwordx2 v[75:76], v[73:74], off
	s_or_b32 exec_lo, exec_lo, s21
	s_and_saveexec_b32 s21, s47
	s_cbranch_execz .LBB90_42
.LBB90_98:                              ;   in Loop: Header=BB90_21 Depth=1
	v_add_co_u32 v73, s0, s24, v27
	v_add_co_ci_u32_e64 v74, null, s25, v28, s0
	v_add_co_u32 v75, s0, s24, v41
	v_add_co_ci_u32_e64 v76, null, s25, v42, s0
	;; [unrolled: 2-line block ×4, first 2 shown]
	v_cndmask_b32_e32 v73, v75, v73, vcc_lo
	v_add_co_u32 v75, s0, 0, v72
	v_cndmask_b32_e32 v74, v76, v74, vcc_lo
	v_add_co_ci_u32_e64 v76, null, v13, v65, s0
	global_load_dwordx2 v[73:74], v[73:74], off
	v_add_nc_u32_e32 v76, 0xa0, v76
	v_ashrrev_i64 v[75:76], 29, v[75:76]
	v_add_co_u32 v77, s0, s4, v75
	v_add_co_ci_u32_e64 v78, null, s5, v76, s0
	v_add_co_u32 v75, s0, s22, v75
	v_add_co_ci_u32_e64 v76, null, s23, v76, s0
	global_store_dwordx2 v[77:78], v[55:56], off
	s_waitcnt vmcnt(0)
	global_store_dwordx2 v[75:76], v[73:74], off
	s_or_b32 exec_lo, exec_lo, s21
	s_and_saveexec_b32 s21, s48
	s_cbranch_execz .LBB90_43
.LBB90_99:                              ;   in Loop: Header=BB90_21 Depth=1
	v_add_co_u32 v73, s0, s24, v27
	v_add_co_ci_u32_e64 v74, null, s25, v28, s0
	v_add_co_u32 v75, s0, s24, v43
	v_add_co_ci_u32_e64 v76, null, s25, v44, s0
	;; [unrolled: 2-line block ×4, first 2 shown]
	v_cndmask_b32_e32 v73, v75, v73, vcc_lo
	v_add_co_u32 v75, s0, 0, v72
	v_cndmask_b32_e32 v74, v76, v74, vcc_lo
	v_add_co_ci_u32_e64 v76, null, v13, v65, s0
	global_load_dwordx2 v[73:74], v[73:74], off
	v_add_nc_u32_e32 v76, 0xc0, v76
	v_ashrrev_i64 v[75:76], 29, v[75:76]
	v_add_co_u32 v77, s0, s4, v75
	v_add_co_ci_u32_e64 v78, null, s5, v76, s0
	v_add_co_u32 v75, s0, s22, v75
	v_add_co_ci_u32_e64 v76, null, s23, v76, s0
	global_store_dwordx2 v[77:78], v[57:58], off
	s_waitcnt vmcnt(0)
	global_store_dwordx2 v[75:76], v[73:74], off
	s_or_b32 exec_lo, exec_lo, s21
	s_and_saveexec_b32 s21, s1
	s_cbranch_execz .LBB90_44
.LBB90_100:                             ;   in Loop: Header=BB90_21 Depth=1
	v_add_co_u32 v73, s0, s24, v27
	v_add_co_ci_u32_e64 v74, null, s25, v28, s0
	v_add_co_u32 v75, s0, s24, v45
	v_add_co_ci_u32_e64 v76, null, s25, v46, s0
	;; [unrolled: 2-line block ×4, first 2 shown]
	v_cndmask_b32_e32 v73, v75, v73, vcc_lo
	v_add_co_u32 v75, s0, 0, v72
	v_cndmask_b32_e32 v74, v76, v74, vcc_lo
	v_add_co_ci_u32_e64 v76, null, v13, v65, s0
	global_load_dwordx2 v[73:74], v[73:74], off
	v_add_nc_u32_e32 v76, 0xe0, v76
	v_ashrrev_i64 v[75:76], 29, v[75:76]
	v_add_co_u32 v77, s0, s4, v75
	v_add_co_ci_u32_e64 v78, null, s5, v76, s0
	v_add_co_u32 v75, s0, s22, v75
	v_add_co_ci_u32_e64 v76, null, s23, v76, s0
	global_store_dwordx2 v[77:78], v[61:62], off
	s_waitcnt vmcnt(0)
	global_store_dwordx2 v[75:76], v[73:74], off
	s_or_b32 exec_lo, exec_lo, s21
	s_and_saveexec_b32 s21, s49
	s_cbranch_execz .LBB90_45
.LBB90_101:                             ;   in Loop: Header=BB90_21 Depth=1
	v_add_co_u32 v73, s0, s24, v31
	v_add_co_ci_u32_e64 v74, null, s25, v32, s0
	v_add_co_u32 v75, s0, s24, v25
	v_add_co_ci_u32_e64 v76, null, s25, v26, s0
	;; [unrolled: 2-line block ×3, first 2 shown]
	v_cndmask_b32_e32 v73, v73, v75, vcc_lo
	v_add_co_u32 v75, s0, 0, v71
	v_cndmask_b32_e32 v74, v74, v76, vcc_lo
	v_add_co_ci_u32_e64 v76, null, v13, v63, s0
	global_load_dwordx2 v[73:74], v[73:74], off
	v_ashrrev_i64 v[75:76], 29, v[75:76]
	v_add_co_u32 v77, s0, s4, v75
	v_add_co_ci_u32_e64 v78, null, s5, v76, s0
	v_add_co_u32 v75, s0, s22, v75
	v_add_co_ci_u32_e64 v76, null, s23, v76, s0
	global_store_dwordx2 v[77:78], v[59:60], off
	s_waitcnt vmcnt(0)
	global_store_dwordx2 v[75:76], v[73:74], off
	s_or_b32 exec_lo, exec_lo, s21
	s_and_saveexec_b32 s21, s50
	s_cbranch_execz .LBB90_46
.LBB90_102:                             ;   in Loop: Header=BB90_21 Depth=1
	v_add_co_u32 v73, s0, s24, v25
	v_add_co_ci_u32_e64 v74, null, s25, v26, s0
	v_add_co_u32 v75, s0, s24, v33
	v_add_co_ci_u32_e64 v76, null, s25, v34, s0
	;; [unrolled: 2-line block ×4, first 2 shown]
	v_cndmask_b32_e32 v73, v75, v73, vcc_lo
	v_add_co_u32 v75, s0, 0, v71
	v_cndmask_b32_e32 v74, v76, v74, vcc_lo
	v_add_co_ci_u32_e64 v76, null, v13, v63, s0
	global_load_dwordx2 v[73:74], v[73:74], off
	v_add_nc_u32_e32 v76, 32, v76
	v_ashrrev_i64 v[75:76], 29, v[75:76]
	v_add_co_u32 v77, s0, s4, v75
	v_add_co_ci_u32_e64 v78, null, s5, v76, s0
	v_add_co_u32 v75, s0, s22, v75
	v_add_co_ci_u32_e64 v76, null, s23, v76, s0
	global_store_dwordx2 v[77:78], v[47:48], off
	s_waitcnt vmcnt(0)
	global_store_dwordx2 v[75:76], v[73:74], off
	s_or_b32 exec_lo, exec_lo, s21
	s_and_saveexec_b32 s21, s51
	s_cbranch_execz .LBB90_47
.LBB90_103:                             ;   in Loop: Header=BB90_21 Depth=1
	v_add_co_u32 v73, s0, s24, v25
	v_add_co_ci_u32_e64 v74, null, s25, v26, s0
	v_add_co_u32 v75, s0, s24, v35
	v_add_co_ci_u32_e64 v76, null, s25, v36, s0
	v_cndmask_b32_e32 v73, v75, v73, vcc_lo
	v_add_co_u32 v75, s0, 0, v71
	v_cndmask_b32_e32 v74, v76, v74, vcc_lo
	v_add_co_ci_u32_e64 v76, null, v13, v63, s0
	global_load_dwordx2 v[73:74], v[73:74], off offset:512
	v_add_nc_u32_e32 v76, 64, v76
	v_ashrrev_i64 v[75:76], 29, v[75:76]
	v_add_co_u32 v77, s0, s4, v75
	v_add_co_ci_u32_e64 v78, null, s5, v76, s0
	v_add_co_u32 v75, s0, s22, v75
	v_add_co_ci_u32_e64 v76, null, s23, v76, s0
	global_store_dwordx2 v[77:78], v[49:50], off
	s_waitcnt vmcnt(0)
	global_store_dwordx2 v[75:76], v[73:74], off
	s_or_b32 exec_lo, exec_lo, s21
	s_and_saveexec_b32 s21, s52
	s_cbranch_execz .LBB90_48
.LBB90_104:                             ;   in Loop: Header=BB90_21 Depth=1
	v_add_co_u32 v73, s0, s24, v25
	v_add_co_ci_u32_e64 v74, null, s25, v26, s0
	v_add_co_u32 v75, s0, s24, v37
	v_add_co_ci_u32_e64 v76, null, s25, v38, s0
	;; [unrolled: 2-line block ×4, first 2 shown]
	v_cndmask_b32_e32 v73, v75, v73, vcc_lo
	v_add_co_u32 v75, s0, 0, v71
	v_cndmask_b32_e32 v74, v76, v74, vcc_lo
	v_add_co_ci_u32_e64 v76, null, v13, v63, s0
	global_load_dwordx2 v[73:74], v[73:74], off
	v_add_nc_u32_e32 v76, 0x60, v76
	v_ashrrev_i64 v[75:76], 29, v[75:76]
	v_add_co_u32 v77, s0, s4, v75
	v_add_co_ci_u32_e64 v78, null, s5, v76, s0
	v_add_co_u32 v75, s0, s22, v75
	v_add_co_ci_u32_e64 v76, null, s23, v76, s0
	global_store_dwordx2 v[77:78], v[51:52], off
	s_waitcnt vmcnt(0)
	global_store_dwordx2 v[75:76], v[73:74], off
	s_or_b32 exec_lo, exec_lo, s21
	s_and_saveexec_b32 s21, s53
	s_cbranch_execz .LBB90_49
.LBB90_105:                             ;   in Loop: Header=BB90_21 Depth=1
	v_add_co_u32 v73, s0, s24, v25
	v_add_co_ci_u32_e64 v74, null, s25, v26, s0
	v_add_co_u32 v75, s0, s24, v39
	v_add_co_ci_u32_e64 v76, null, s25, v40, s0
	;; [unrolled: 2-line block ×4, first 2 shown]
	v_cndmask_b32_e32 v73, v75, v73, vcc_lo
	v_add_co_u32 v75, s0, 0, v71
	v_cndmask_b32_e32 v74, v76, v74, vcc_lo
	v_add_co_ci_u32_e64 v76, null, v13, v63, s0
	global_load_dwordx2 v[73:74], v[73:74], off
	v_add_nc_u32_e32 v76, 0x80, v76
	v_ashrrev_i64 v[75:76], 29, v[75:76]
	v_add_co_u32 v77, s0, s4, v75
	v_add_co_ci_u32_e64 v78, null, s5, v76, s0
	v_add_co_u32 v75, s0, s22, v75
	v_add_co_ci_u32_e64 v76, null, s23, v76, s0
	global_store_dwordx2 v[77:78], v[53:54], off
	s_waitcnt vmcnt(0)
	global_store_dwordx2 v[75:76], v[73:74], off
	s_or_b32 exec_lo, exec_lo, s21
	s_and_saveexec_b32 s21, s54
	s_cbranch_execz .LBB90_50
.LBB90_106:                             ;   in Loop: Header=BB90_21 Depth=1
	v_add_co_u32 v73, s0, s24, v25
	v_add_co_ci_u32_e64 v74, null, s25, v26, s0
	v_add_co_u32 v75, s0, s24, v41
	v_add_co_ci_u32_e64 v76, null, s25, v42, s0
	;; [unrolled: 2-line block ×4, first 2 shown]
	v_cndmask_b32_e32 v73, v75, v73, vcc_lo
	v_add_co_u32 v75, s0, 0, v71
	v_cndmask_b32_e32 v74, v76, v74, vcc_lo
	v_add_co_ci_u32_e64 v76, null, v13, v63, s0
	global_load_dwordx2 v[73:74], v[73:74], off
	v_add_nc_u32_e32 v76, 0xa0, v76
	v_ashrrev_i64 v[75:76], 29, v[75:76]
	v_add_co_u32 v77, s0, s4, v75
	v_add_co_ci_u32_e64 v78, null, s5, v76, s0
	v_add_co_u32 v75, s0, s22, v75
	v_add_co_ci_u32_e64 v76, null, s23, v76, s0
	global_store_dwordx2 v[77:78], v[55:56], off
	s_waitcnt vmcnt(0)
	global_store_dwordx2 v[75:76], v[73:74], off
	s_or_b32 exec_lo, exec_lo, s21
	s_and_saveexec_b32 s21, s55
	s_cbranch_execz .LBB90_51
.LBB90_107:                             ;   in Loop: Header=BB90_21 Depth=1
	v_add_co_u32 v73, s0, s24, v25
	v_add_co_ci_u32_e64 v74, null, s25, v26, s0
	v_add_co_u32 v75, s0, s24, v43
	v_add_co_ci_u32_e64 v76, null, s25, v44, s0
	;; [unrolled: 2-line block ×4, first 2 shown]
	v_cndmask_b32_e32 v73, v75, v73, vcc_lo
	v_add_co_u32 v75, s0, 0, v71
	v_cndmask_b32_e32 v74, v76, v74, vcc_lo
	v_add_co_ci_u32_e64 v76, null, v13, v63, s0
	global_load_dwordx2 v[73:74], v[73:74], off
	v_add_nc_u32_e32 v76, 0xc0, v76
	v_ashrrev_i64 v[75:76], 29, v[75:76]
	v_add_co_u32 v77, s0, s4, v75
	v_add_co_ci_u32_e64 v78, null, s5, v76, s0
	v_add_co_u32 v75, s0, s22, v75
	v_add_co_ci_u32_e64 v76, null, s23, v76, s0
	global_store_dwordx2 v[77:78], v[57:58], off
	s_waitcnt vmcnt(0)
	global_store_dwordx2 v[75:76], v[73:74], off
	s_or_b32 exec_lo, exec_lo, s21
	s_and_saveexec_b32 s21, s56
	s_cbranch_execz .LBB90_52
.LBB90_108:                             ;   in Loop: Header=BB90_21 Depth=1
	v_add_co_u32 v73, s0, s24, v25
	v_add_co_ci_u32_e64 v74, null, s25, v26, s0
	v_add_co_u32 v75, s0, s24, v45
	v_add_co_ci_u32_e64 v76, null, s25, v46, s0
	;; [unrolled: 2-line block ×4, first 2 shown]
	v_cndmask_b32_e32 v73, v75, v73, vcc_lo
	v_add_co_u32 v75, s0, 0, v71
	v_cndmask_b32_e32 v74, v76, v74, vcc_lo
	v_add_co_ci_u32_e64 v76, null, v13, v63, s0
	global_load_dwordx2 v[73:74], v[73:74], off
	v_add_nc_u32_e32 v76, 0xe0, v76
	v_ashrrev_i64 v[75:76], 29, v[75:76]
	v_add_co_u32 v77, s0, s4, v75
	v_add_co_ci_u32_e64 v78, null, s5, v76, s0
	v_add_co_u32 v75, s0, s22, v75
	v_add_co_ci_u32_e64 v76, null, s23, v76, s0
	global_store_dwordx2 v[77:78], v[61:62], off
	s_waitcnt vmcnt(0)
	global_store_dwordx2 v[75:76], v[73:74], off
	s_or_b32 exec_lo, exec_lo, s21
	s_and_saveexec_b32 s21, s57
	s_cbranch_execz .LBB90_53
.LBB90_109:                             ;   in Loop: Header=BB90_21 Depth=1
	v_add_co_u32 v73, s0, s24, v31
	v_add_co_ci_u32_e64 v74, null, s25, v32, s0
	v_add_co_u32 v75, s0, s24, v23
	v_add_co_ci_u32_e64 v76, null, s25, v24, s0
	;; [unrolled: 2-line block ×3, first 2 shown]
	v_cndmask_b32_e32 v73, v73, v75, vcc_lo
	v_add_co_u32 v75, s0, 0, v70
	v_cndmask_b32_e32 v74, v74, v76, vcc_lo
	v_add_co_ci_u32_e64 v76, null, v13, v11, s0
	global_load_dwordx2 v[73:74], v[73:74], off
	v_ashrrev_i64 v[75:76], 29, v[75:76]
	v_add_co_u32 v77, s0, s4, v75
	v_add_co_ci_u32_e64 v78, null, s5, v76, s0
	v_add_co_u32 v75, s0, s22, v75
	v_add_co_ci_u32_e64 v76, null, s23, v76, s0
	global_store_dwordx2 v[77:78], v[59:60], off
	s_waitcnt vmcnt(0)
	global_store_dwordx2 v[75:76], v[73:74], off
	s_or_b32 exec_lo, exec_lo, s21
	s_and_saveexec_b32 s21, s58
	s_cbranch_execz .LBB90_54
.LBB90_110:                             ;   in Loop: Header=BB90_21 Depth=1
	v_add_co_u32 v73, s0, s24, v23
	v_add_co_ci_u32_e64 v74, null, s25, v24, s0
	v_add_co_u32 v75, s0, s24, v33
	v_add_co_ci_u32_e64 v76, null, s25, v34, s0
	;; [unrolled: 2-line block ×4, first 2 shown]
	v_cndmask_b32_e32 v73, v75, v73, vcc_lo
	v_add_co_u32 v75, s0, 0, v70
	v_cndmask_b32_e32 v74, v76, v74, vcc_lo
	v_add_co_ci_u32_e64 v76, null, v13, v11, s0
	global_load_dwordx2 v[73:74], v[73:74], off
	v_add_nc_u32_e32 v76, 32, v76
	v_ashrrev_i64 v[75:76], 29, v[75:76]
	v_add_co_u32 v77, s0, s4, v75
	v_add_co_ci_u32_e64 v78, null, s5, v76, s0
	v_add_co_u32 v75, s0, s22, v75
	v_add_co_ci_u32_e64 v76, null, s23, v76, s0
	global_store_dwordx2 v[77:78], v[47:48], off
	s_waitcnt vmcnt(0)
	global_store_dwordx2 v[75:76], v[73:74], off
	s_or_b32 exec_lo, exec_lo, s21
	s_and_saveexec_b32 s21, s59
	s_cbranch_execz .LBB90_55
.LBB90_111:                             ;   in Loop: Header=BB90_21 Depth=1
	v_add_co_u32 v73, s0, s24, v23
	v_add_co_ci_u32_e64 v74, null, s25, v24, s0
	v_add_co_u32 v75, s0, s24, v35
	v_add_co_ci_u32_e64 v76, null, s25, v36, s0
	;; [unrolled: 2-line block ×4, first 2 shown]
	v_cndmask_b32_e32 v73, v75, v73, vcc_lo
	v_add_co_u32 v75, s0, 0, v70
	v_cndmask_b32_e32 v74, v76, v74, vcc_lo
	v_add_co_ci_u32_e64 v76, null, v13, v11, s0
	global_load_dwordx2 v[73:74], v[73:74], off
	v_add_nc_u32_e32 v76, 64, v76
	v_ashrrev_i64 v[75:76], 29, v[75:76]
	v_add_co_u32 v77, s0, s4, v75
	v_add_co_ci_u32_e64 v78, null, s5, v76, s0
	v_add_co_u32 v75, s0, s22, v75
	v_add_co_ci_u32_e64 v76, null, s23, v76, s0
	global_store_dwordx2 v[77:78], v[49:50], off
	s_waitcnt vmcnt(0)
	global_store_dwordx2 v[75:76], v[73:74], off
	s_or_b32 exec_lo, exec_lo, s21
	s_and_saveexec_b32 s21, s60
	s_cbranch_execz .LBB90_56
.LBB90_112:                             ;   in Loop: Header=BB90_21 Depth=1
	v_add_co_u32 v73, s0, s24, v23
	v_add_co_ci_u32_e64 v74, null, s25, v24, s0
	v_add_co_u32 v75, s0, s24, v37
	v_add_co_ci_u32_e64 v76, null, s25, v38, s0
	v_cndmask_b32_e32 v73, v75, v73, vcc_lo
	v_add_co_u32 v75, s0, 0, v70
	v_cndmask_b32_e32 v74, v76, v74, vcc_lo
	v_add_co_ci_u32_e64 v76, null, v13, v11, s0
	global_load_dwordx2 v[73:74], v[73:74], off offset:768
	v_add_nc_u32_e32 v76, 0x60, v76
	v_ashrrev_i64 v[75:76], 29, v[75:76]
	v_add_co_u32 v77, s0, s4, v75
	v_add_co_ci_u32_e64 v78, null, s5, v76, s0
	v_add_co_u32 v75, s0, s22, v75
	v_add_co_ci_u32_e64 v76, null, s23, v76, s0
	global_store_dwordx2 v[77:78], v[51:52], off
	s_waitcnt vmcnt(0)
	global_store_dwordx2 v[75:76], v[73:74], off
	s_or_b32 exec_lo, exec_lo, s21
	s_and_saveexec_b32 s21, s61
	s_cbranch_execz .LBB90_57
.LBB90_113:                             ;   in Loop: Header=BB90_21 Depth=1
	v_add_co_u32 v73, s0, s24, v23
	v_add_co_ci_u32_e64 v74, null, s25, v24, s0
	v_add_co_u32 v75, s0, s24, v39
	v_add_co_ci_u32_e64 v76, null, s25, v40, s0
	;; [unrolled: 2-line block ×4, first 2 shown]
	v_cndmask_b32_e32 v73, v75, v73, vcc_lo
	v_add_co_u32 v75, s0, 0, v70
	v_cndmask_b32_e32 v74, v76, v74, vcc_lo
	v_add_co_ci_u32_e64 v76, null, v13, v11, s0
	global_load_dwordx2 v[73:74], v[73:74], off
	v_add_nc_u32_e32 v76, 0x80, v76
	v_ashrrev_i64 v[75:76], 29, v[75:76]
	v_add_co_u32 v77, s0, s4, v75
	v_add_co_ci_u32_e64 v78, null, s5, v76, s0
	v_add_co_u32 v75, s0, s22, v75
	v_add_co_ci_u32_e64 v76, null, s23, v76, s0
	global_store_dwordx2 v[77:78], v[53:54], off
	s_waitcnt vmcnt(0)
	global_store_dwordx2 v[75:76], v[73:74], off
	s_or_b32 exec_lo, exec_lo, s21
	s_and_saveexec_b32 s21, s62
	s_cbranch_execz .LBB90_58
.LBB90_114:                             ;   in Loop: Header=BB90_21 Depth=1
	v_add_co_u32 v73, s0, s24, v23
	v_add_co_ci_u32_e64 v74, null, s25, v24, s0
	v_add_co_u32 v75, s0, s24, v41
	v_add_co_ci_u32_e64 v76, null, s25, v42, s0
	;; [unrolled: 2-line block ×4, first 2 shown]
	v_cndmask_b32_e32 v73, v75, v73, vcc_lo
	v_add_co_u32 v75, s0, 0, v70
	v_cndmask_b32_e32 v74, v76, v74, vcc_lo
	v_add_co_ci_u32_e64 v76, null, v13, v11, s0
	global_load_dwordx2 v[73:74], v[73:74], off
	v_add_nc_u32_e32 v76, 0xa0, v76
	v_ashrrev_i64 v[75:76], 29, v[75:76]
	v_add_co_u32 v77, s0, s4, v75
	v_add_co_ci_u32_e64 v78, null, s5, v76, s0
	v_add_co_u32 v75, s0, s22, v75
	v_add_co_ci_u32_e64 v76, null, s23, v76, s0
	global_store_dwordx2 v[77:78], v[55:56], off
	s_waitcnt vmcnt(0)
	global_store_dwordx2 v[75:76], v[73:74], off
	s_or_b32 exec_lo, exec_lo, s21
	s_and_saveexec_b32 s21, s63
	s_cbranch_execz .LBB90_59
.LBB90_115:                             ;   in Loop: Header=BB90_21 Depth=1
	v_add_co_u32 v73, s0, s24, v23
	v_add_co_ci_u32_e64 v74, null, s25, v24, s0
	v_add_co_u32 v75, s0, s24, v43
	v_add_co_ci_u32_e64 v76, null, s25, v44, s0
	;; [unrolled: 2-line block ×4, first 2 shown]
	v_cndmask_b32_e32 v73, v75, v73, vcc_lo
	v_add_co_u32 v75, s0, 0, v70
	v_cndmask_b32_e32 v74, v76, v74, vcc_lo
	v_add_co_ci_u32_e64 v76, null, v13, v11, s0
	global_load_dwordx2 v[73:74], v[73:74], off
	v_add_nc_u32_e32 v76, 0xc0, v76
	v_ashrrev_i64 v[75:76], 29, v[75:76]
	v_add_co_u32 v77, s0, s4, v75
	v_add_co_ci_u32_e64 v78, null, s5, v76, s0
	v_add_co_u32 v75, s0, s22, v75
	v_add_co_ci_u32_e64 v76, null, s23, v76, s0
	global_store_dwordx2 v[77:78], v[57:58], off
	s_waitcnt vmcnt(0)
	global_store_dwordx2 v[75:76], v[73:74], off
	s_or_b32 exec_lo, exec_lo, s21
	s_and_saveexec_b32 s21, s64
	s_cbranch_execz .LBB90_60
.LBB90_116:                             ;   in Loop: Header=BB90_21 Depth=1
	v_add_co_u32 v73, s0, s24, v23
	v_add_co_ci_u32_e64 v74, null, s25, v24, s0
	v_add_co_u32 v75, s0, s24, v45
	v_add_co_ci_u32_e64 v76, null, s25, v46, s0
	v_add_co_u32 v73, s0, 0x700, v73
	v_add_co_ci_u32_e64 v74, null, 0, v74, s0
	v_add_co_u32 v75, s0, 0x300, v75
	v_add_co_ci_u32_e64 v76, null, 0, v76, s0
	v_cndmask_b32_e32 v73, v75, v73, vcc_lo
	v_add_co_u32 v75, s0, 0, v70
	v_cndmask_b32_e32 v74, v76, v74, vcc_lo
	v_add_co_ci_u32_e64 v76, null, v13, v11, s0
	global_load_dwordx2 v[73:74], v[73:74], off
	v_add_nc_u32_e32 v76, 0xe0, v76
	v_ashrrev_i64 v[75:76], 29, v[75:76]
	v_add_co_u32 v77, s0, s4, v75
	v_add_co_ci_u32_e64 v78, null, s5, v76, s0
	v_add_co_u32 v75, s0, s22, v75
	v_add_co_ci_u32_e64 v76, null, s23, v76, s0
	global_store_dwordx2 v[77:78], v[61:62], off
	s_waitcnt vmcnt(0)
	global_store_dwordx2 v[75:76], v[73:74], off
	s_or_b32 exec_lo, exec_lo, s21
	s_and_saveexec_b32 s21, s65
	s_cbranch_execz .LBB90_61
.LBB90_117:                             ;   in Loop: Header=BB90_21 Depth=1
	v_add_co_u32 v73, s0, s24, v31
	v_add_co_ci_u32_e64 v74, null, s25, v32, s0
	v_add_co_u32 v75, s0, s24, v21
	v_add_co_ci_u32_e64 v76, null, s25, v22, s0
	;; [unrolled: 2-line block ×3, first 2 shown]
	v_cndmask_b32_e32 v73, v73, v75, vcc_lo
	v_add_co_u32 v75, s0, 0, v69
	v_cndmask_b32_e32 v74, v74, v76, vcc_lo
	v_add_co_ci_u32_e64 v76, null, v13, v9, s0
	global_load_dwordx2 v[73:74], v[73:74], off
	v_ashrrev_i64 v[75:76], 29, v[75:76]
	v_add_co_u32 v77, s0, s4, v75
	v_add_co_ci_u32_e64 v78, null, s5, v76, s0
	v_add_co_u32 v75, s0, s22, v75
	v_add_co_ci_u32_e64 v76, null, s23, v76, s0
	global_store_dwordx2 v[77:78], v[59:60], off
	s_waitcnt vmcnt(0)
	global_store_dwordx2 v[75:76], v[73:74], off
	s_or_b32 exec_lo, exec_lo, s21
	s_and_saveexec_b32 s21, s66
	s_cbranch_execz .LBB90_62
.LBB90_118:                             ;   in Loop: Header=BB90_21 Depth=1
	v_add_co_u32 v73, s0, s24, v21
	v_add_co_ci_u32_e64 v74, null, s25, v22, s0
	v_add_co_u32 v75, s0, s24, v33
	v_add_co_ci_u32_e64 v76, null, s25, v34, s0
	;; [unrolled: 2-line block ×4, first 2 shown]
	v_cndmask_b32_e32 v73, v75, v73, vcc_lo
	v_add_co_u32 v75, s0, 0, v69
	v_cndmask_b32_e32 v74, v76, v74, vcc_lo
	v_add_co_ci_u32_e64 v76, null, v13, v9, s0
	global_load_dwordx2 v[73:74], v[73:74], off
	v_add_nc_u32_e32 v76, 32, v76
	v_ashrrev_i64 v[75:76], 29, v[75:76]
	v_add_co_u32 v77, s0, s4, v75
	v_add_co_ci_u32_e64 v78, null, s5, v76, s0
	v_add_co_u32 v75, s0, s22, v75
	v_add_co_ci_u32_e64 v76, null, s23, v76, s0
	global_store_dwordx2 v[77:78], v[47:48], off
	s_waitcnt vmcnt(0)
	global_store_dwordx2 v[75:76], v[73:74], off
	s_or_b32 exec_lo, exec_lo, s21
	s_and_saveexec_b32 s21, s67
	s_cbranch_execz .LBB90_63
.LBB90_119:                             ;   in Loop: Header=BB90_21 Depth=1
	v_add_co_u32 v73, s0, s24, v21
	v_add_co_ci_u32_e64 v74, null, s25, v22, s0
	v_add_co_u32 v75, s0, s24, v35
	v_add_co_ci_u32_e64 v76, null, s25, v36, s0
	;; [unrolled: 2-line block ×4, first 2 shown]
	v_cndmask_b32_e32 v73, v75, v73, vcc_lo
	v_add_co_u32 v75, s0, 0, v69
	v_cndmask_b32_e32 v74, v76, v74, vcc_lo
	v_add_co_ci_u32_e64 v76, null, v13, v9, s0
	global_load_dwordx2 v[73:74], v[73:74], off
	v_add_nc_u32_e32 v76, 64, v76
	v_ashrrev_i64 v[75:76], 29, v[75:76]
	v_add_co_u32 v77, s0, s4, v75
	v_add_co_ci_u32_e64 v78, null, s5, v76, s0
	v_add_co_u32 v75, s0, s22, v75
	v_add_co_ci_u32_e64 v76, null, s23, v76, s0
	global_store_dwordx2 v[77:78], v[49:50], off
	s_waitcnt vmcnt(0)
	global_store_dwordx2 v[75:76], v[73:74], off
	s_or_b32 exec_lo, exec_lo, s21
	s_and_saveexec_b32 s21, s68
	s_cbranch_execz .LBB90_64
.LBB90_120:                             ;   in Loop: Header=BB90_21 Depth=1
	v_add_co_u32 v73, s0, s24, v21
	v_add_co_ci_u32_e64 v74, null, s25, v22, s0
	v_add_co_u32 v75, s0, s24, v37
	v_add_co_ci_u32_e64 v76, null, s25, v38, s0
	;; [unrolled: 2-line block ×4, first 2 shown]
	v_cndmask_b32_e32 v73, v75, v73, vcc_lo
	v_add_co_u32 v75, s0, 0, v69
	v_cndmask_b32_e32 v74, v76, v74, vcc_lo
	v_add_co_ci_u32_e64 v76, null, v13, v9, s0
	global_load_dwordx2 v[73:74], v[73:74], off
	v_add_nc_u32_e32 v76, 0x60, v76
	v_ashrrev_i64 v[75:76], 29, v[75:76]
	v_add_co_u32 v77, s0, s4, v75
	v_add_co_ci_u32_e64 v78, null, s5, v76, s0
	v_add_co_u32 v75, s0, s22, v75
	v_add_co_ci_u32_e64 v76, null, s23, v76, s0
	global_store_dwordx2 v[77:78], v[51:52], off
	s_waitcnt vmcnt(0)
	global_store_dwordx2 v[75:76], v[73:74], off
	s_or_b32 exec_lo, exec_lo, s21
	s_and_saveexec_b32 s21, s69
	s_cbranch_execz .LBB90_65
.LBB90_121:                             ;   in Loop: Header=BB90_21 Depth=1
	v_add_co_u32 v73, s0, s24, v21
	v_add_co_ci_u32_e64 v74, null, s25, v22, s0
	v_add_co_u32 v75, s0, s24, v39
	v_add_co_ci_u32_e64 v76, null, s25, v40, s0
	v_cndmask_b32_e32 v73, v75, v73, vcc_lo
	v_add_co_u32 v75, s0, 0, v69
	v_cndmask_b32_e32 v74, v76, v74, vcc_lo
	v_add_co_ci_u32_e64 v76, null, v13, v9, s0
	global_load_dwordx2 v[73:74], v[73:74], off offset:1024
	v_add_nc_u32_e32 v76, 0x80, v76
	v_ashrrev_i64 v[75:76], 29, v[75:76]
	v_add_co_u32 v77, s0, s4, v75
	v_add_co_ci_u32_e64 v78, null, s5, v76, s0
	v_add_co_u32 v75, s0, s22, v75
	v_add_co_ci_u32_e64 v76, null, s23, v76, s0
	global_store_dwordx2 v[77:78], v[53:54], off
	s_waitcnt vmcnt(0)
	global_store_dwordx2 v[75:76], v[73:74], off
	s_or_b32 exec_lo, exec_lo, s21
	s_and_saveexec_b32 s21, s70
	s_cbranch_execz .LBB90_66
.LBB90_122:                             ;   in Loop: Header=BB90_21 Depth=1
	v_add_co_u32 v73, s0, s24, v21
	v_add_co_ci_u32_e64 v74, null, s25, v22, s0
	v_add_co_u32 v75, s0, s24, v41
	v_add_co_ci_u32_e64 v76, null, s25, v42, s0
	;; [unrolled: 2-line block ×4, first 2 shown]
	v_cndmask_b32_e32 v73, v75, v73, vcc_lo
	v_add_co_u32 v75, s0, 0, v69
	v_cndmask_b32_e32 v74, v76, v74, vcc_lo
	v_add_co_ci_u32_e64 v76, null, v13, v9, s0
	global_load_dwordx2 v[73:74], v[73:74], off
	v_add_nc_u32_e32 v76, 0xa0, v76
	v_ashrrev_i64 v[75:76], 29, v[75:76]
	v_add_co_u32 v77, s0, s4, v75
	v_add_co_ci_u32_e64 v78, null, s5, v76, s0
	v_add_co_u32 v75, s0, s22, v75
	v_add_co_ci_u32_e64 v76, null, s23, v76, s0
	global_store_dwordx2 v[77:78], v[55:56], off
	s_waitcnt vmcnt(0)
	global_store_dwordx2 v[75:76], v[73:74], off
	s_or_b32 exec_lo, exec_lo, s21
	s_and_saveexec_b32 s21, s71
	s_cbranch_execz .LBB90_67
.LBB90_123:                             ;   in Loop: Header=BB90_21 Depth=1
	v_add_co_u32 v73, s0, s24, v21
	v_add_co_ci_u32_e64 v74, null, s25, v22, s0
	v_add_co_u32 v75, s0, s24, v43
	v_add_co_ci_u32_e64 v76, null, s25, v44, s0
	;; [unrolled: 2-line block ×4, first 2 shown]
	v_cndmask_b32_e32 v73, v75, v73, vcc_lo
	v_add_co_u32 v75, s0, 0, v69
	v_cndmask_b32_e32 v74, v76, v74, vcc_lo
	v_add_co_ci_u32_e64 v76, null, v13, v9, s0
	global_load_dwordx2 v[73:74], v[73:74], off
	v_add_nc_u32_e32 v76, 0xc0, v76
	v_ashrrev_i64 v[75:76], 29, v[75:76]
	v_add_co_u32 v77, s0, s4, v75
	v_add_co_ci_u32_e64 v78, null, s5, v76, s0
	v_add_co_u32 v75, s0, s22, v75
	v_add_co_ci_u32_e64 v76, null, s23, v76, s0
	global_store_dwordx2 v[77:78], v[57:58], off
	s_waitcnt vmcnt(0)
	global_store_dwordx2 v[75:76], v[73:74], off
	s_or_b32 exec_lo, exec_lo, s21
	s_and_saveexec_b32 s21, s72
	s_cbranch_execz .LBB90_68
.LBB90_124:                             ;   in Loop: Header=BB90_21 Depth=1
	v_add_co_u32 v73, s0, s24, v21
	v_add_co_ci_u32_e64 v74, null, s25, v22, s0
	v_add_co_u32 v75, s0, s24, v45
	v_add_co_ci_u32_e64 v76, null, s25, v46, s0
	;; [unrolled: 2-line block ×4, first 2 shown]
	v_cndmask_b32_e32 v73, v75, v73, vcc_lo
	v_add_co_u32 v75, s0, 0, v69
	v_cndmask_b32_e32 v74, v76, v74, vcc_lo
	v_add_co_ci_u32_e64 v76, null, v13, v9, s0
	global_load_dwordx2 v[73:74], v[73:74], off
	v_add_nc_u32_e32 v76, 0xe0, v76
	v_ashrrev_i64 v[75:76], 29, v[75:76]
	v_add_co_u32 v77, s0, s4, v75
	v_add_co_ci_u32_e64 v78, null, s5, v76, s0
	v_add_co_u32 v75, s0, s22, v75
	v_add_co_ci_u32_e64 v76, null, s23, v76, s0
	global_store_dwordx2 v[77:78], v[61:62], off
	s_waitcnt vmcnt(0)
	global_store_dwordx2 v[75:76], v[73:74], off
	s_or_b32 exec_lo, exec_lo, s21
	s_and_saveexec_b32 s21, s73
	s_cbranch_execz .LBB90_69
.LBB90_125:                             ;   in Loop: Header=BB90_21 Depth=1
	v_add_co_u32 v73, s0, s24, v31
	v_add_co_ci_u32_e64 v74, null, s25, v32, s0
	v_add_co_u32 v75, s0, s24, v19
	v_add_co_ci_u32_e64 v76, null, s25, v20, s0
	;; [unrolled: 2-line block ×3, first 2 shown]
	v_cndmask_b32_e32 v73, v73, v75, vcc_lo
	v_add_co_u32 v75, s0, 0, v68
	v_cndmask_b32_e32 v74, v74, v76, vcc_lo
	v_add_co_ci_u32_e64 v76, null, v13, v7, s0
	global_load_dwordx2 v[73:74], v[73:74], off
	v_ashrrev_i64 v[75:76], 29, v[75:76]
	v_add_co_u32 v77, s0, s4, v75
	v_add_co_ci_u32_e64 v78, null, s5, v76, s0
	v_add_co_u32 v75, s0, s22, v75
	v_add_co_ci_u32_e64 v76, null, s23, v76, s0
	global_store_dwordx2 v[77:78], v[59:60], off
	s_waitcnt vmcnt(0)
	global_store_dwordx2 v[75:76], v[73:74], off
	s_or_b32 exec_lo, exec_lo, s21
	s_and_saveexec_b32 s21, s74
	s_cbranch_execz .LBB90_70
.LBB90_126:                             ;   in Loop: Header=BB90_21 Depth=1
	v_add_co_u32 v73, s0, s24, v19
	v_add_co_ci_u32_e64 v74, null, s25, v20, s0
	v_add_co_u32 v75, s0, s24, v33
	v_add_co_ci_u32_e64 v76, null, s25, v34, s0
	;; [unrolled: 2-line block ×4, first 2 shown]
	v_cndmask_b32_e32 v73, v75, v73, vcc_lo
	v_add_co_u32 v75, s0, 0, v68
	v_cndmask_b32_e32 v74, v76, v74, vcc_lo
	v_add_co_ci_u32_e64 v76, null, v13, v7, s0
	global_load_dwordx2 v[73:74], v[73:74], off
	v_add_nc_u32_e32 v76, 32, v76
	v_ashrrev_i64 v[75:76], 29, v[75:76]
	v_add_co_u32 v77, s0, s4, v75
	v_add_co_ci_u32_e64 v78, null, s5, v76, s0
	v_add_co_u32 v75, s0, s22, v75
	v_add_co_ci_u32_e64 v76, null, s23, v76, s0
	global_store_dwordx2 v[77:78], v[47:48], off
	s_waitcnt vmcnt(0)
	global_store_dwordx2 v[75:76], v[73:74], off
	s_or_b32 exec_lo, exec_lo, s21
	s_and_saveexec_b32 s21, s75
	s_cbranch_execz .LBB90_71
.LBB90_127:                             ;   in Loop: Header=BB90_21 Depth=1
	v_add_co_u32 v73, s0, s24, v19
	v_add_co_ci_u32_e64 v74, null, s25, v20, s0
	v_add_co_u32 v75, s0, s24, v35
	v_add_co_ci_u32_e64 v76, null, s25, v36, s0
	v_add_co_u32 v73, s0, 0x200, v73
	v_add_co_ci_u32_e64 v74, null, 0, v74, s0
	v_add_co_u32 v75, s0, 0x500, v75
	v_add_co_ci_u32_e64 v76, null, 0, v76, s0
	v_cndmask_b32_e32 v73, v75, v73, vcc_lo
	v_add_co_u32 v75, s0, 0, v68
	v_cndmask_b32_e32 v74, v76, v74, vcc_lo
	v_add_co_ci_u32_e64 v76, null, v13, v7, s0
	global_load_dwordx2 v[73:74], v[73:74], off
	v_add_nc_u32_e32 v76, 64, v76
	v_ashrrev_i64 v[75:76], 29, v[75:76]
	v_add_co_u32 v77, s0, s4, v75
	v_add_co_ci_u32_e64 v78, null, s5, v76, s0
	v_add_co_u32 v75, s0, s22, v75
	v_add_co_ci_u32_e64 v76, null, s23, v76, s0
	global_store_dwordx2 v[77:78], v[49:50], off
	s_waitcnt vmcnt(0)
	global_store_dwordx2 v[75:76], v[73:74], off
	s_or_b32 exec_lo, exec_lo, s21
	s_and_saveexec_b32 s21, s76
	s_cbranch_execz .LBB90_72
.LBB90_128:                             ;   in Loop: Header=BB90_21 Depth=1
	v_add_co_u32 v73, s0, s24, v19
	v_add_co_ci_u32_e64 v74, null, s25, v20, s0
	v_add_co_u32 v75, s0, s24, v37
	v_add_co_ci_u32_e64 v76, null, s25, v38, s0
	;; [unrolled: 2-line block ×4, first 2 shown]
	v_cndmask_b32_e32 v73, v75, v73, vcc_lo
	v_add_co_u32 v75, s0, 0, v68
	v_cndmask_b32_e32 v74, v76, v74, vcc_lo
	v_add_co_ci_u32_e64 v76, null, v13, v7, s0
	global_load_dwordx2 v[73:74], v[73:74], off
	v_add_nc_u32_e32 v76, 0x60, v76
	v_ashrrev_i64 v[75:76], 29, v[75:76]
	v_add_co_u32 v77, s0, s4, v75
	v_add_co_ci_u32_e64 v78, null, s5, v76, s0
	v_add_co_u32 v75, s0, s22, v75
	v_add_co_ci_u32_e64 v76, null, s23, v76, s0
	global_store_dwordx2 v[77:78], v[51:52], off
	s_waitcnt vmcnt(0)
	global_store_dwordx2 v[75:76], v[73:74], off
	s_or_b32 exec_lo, exec_lo, s21
	s_and_saveexec_b32 s21, s77
	s_cbranch_execz .LBB90_73
.LBB90_129:                             ;   in Loop: Header=BB90_21 Depth=1
	v_add_co_u32 v73, s0, s24, v19
	v_add_co_ci_u32_e64 v74, null, s25, v20, s0
	v_add_co_u32 v75, s0, s24, v39
	v_add_co_ci_u32_e64 v76, null, s25, v40, s0
	;; [unrolled: 2-line block ×4, first 2 shown]
	v_cndmask_b32_e32 v73, v75, v73, vcc_lo
	v_add_co_u32 v75, s0, 0, v68
	v_cndmask_b32_e32 v74, v76, v74, vcc_lo
	v_add_co_ci_u32_e64 v76, null, v13, v7, s0
	global_load_dwordx2 v[73:74], v[73:74], off
	v_add_nc_u32_e32 v76, 0x80, v76
	v_ashrrev_i64 v[75:76], 29, v[75:76]
	v_add_co_u32 v77, s0, s4, v75
	v_add_co_ci_u32_e64 v78, null, s5, v76, s0
	v_add_co_u32 v75, s0, s22, v75
	v_add_co_ci_u32_e64 v76, null, s23, v76, s0
	global_store_dwordx2 v[77:78], v[53:54], off
	s_waitcnt vmcnt(0)
	global_store_dwordx2 v[75:76], v[73:74], off
	s_or_b32 exec_lo, exec_lo, s21
	s_and_saveexec_b32 s21, s78
	s_cbranch_execz .LBB90_74
.LBB90_130:                             ;   in Loop: Header=BB90_21 Depth=1
	v_add_co_u32 v73, s0, s24, v19
	v_add_co_ci_u32_e64 v74, null, s25, v20, s0
	v_add_co_u32 v75, s0, s24, v41
	v_add_co_ci_u32_e64 v76, null, s25, v42, s0
	v_cndmask_b32_e32 v73, v75, v73, vcc_lo
	v_add_co_u32 v75, s0, 0, v68
	v_cndmask_b32_e32 v74, v76, v74, vcc_lo
	v_add_co_ci_u32_e64 v76, null, v13, v7, s0
	global_load_dwordx2 v[73:74], v[73:74], off offset:1280
	v_add_nc_u32_e32 v76, 0xa0, v76
	v_ashrrev_i64 v[75:76], 29, v[75:76]
	v_add_co_u32 v77, s0, s4, v75
	v_add_co_ci_u32_e64 v78, null, s5, v76, s0
	v_add_co_u32 v75, s0, s22, v75
	v_add_co_ci_u32_e64 v76, null, s23, v76, s0
	global_store_dwordx2 v[77:78], v[55:56], off
	s_waitcnt vmcnt(0)
	global_store_dwordx2 v[75:76], v[73:74], off
	s_or_b32 exec_lo, exec_lo, s21
	s_and_saveexec_b32 s21, s79
	s_cbranch_execz .LBB90_75
.LBB90_131:                             ;   in Loop: Header=BB90_21 Depth=1
	v_add_co_u32 v73, s0, s24, v19
	v_add_co_ci_u32_e64 v74, null, s25, v20, s0
	v_add_co_u32 v75, s0, s24, v43
	v_add_co_ci_u32_e64 v76, null, s25, v44, s0
	;; [unrolled: 2-line block ×4, first 2 shown]
	v_cndmask_b32_e32 v73, v75, v73, vcc_lo
	v_add_co_u32 v75, s0, 0, v68
	v_cndmask_b32_e32 v74, v76, v74, vcc_lo
	v_add_co_ci_u32_e64 v76, null, v13, v7, s0
	global_load_dwordx2 v[73:74], v[73:74], off
	v_add_nc_u32_e32 v76, 0xc0, v76
	v_ashrrev_i64 v[75:76], 29, v[75:76]
	v_add_co_u32 v77, s0, s4, v75
	v_add_co_ci_u32_e64 v78, null, s5, v76, s0
	v_add_co_u32 v75, s0, s22, v75
	v_add_co_ci_u32_e64 v76, null, s23, v76, s0
	global_store_dwordx2 v[77:78], v[57:58], off
	s_waitcnt vmcnt(0)
	global_store_dwordx2 v[75:76], v[73:74], off
	s_or_b32 exec_lo, exec_lo, s21
	s_and_saveexec_b32 s21, s80
	s_cbranch_execz .LBB90_76
.LBB90_132:                             ;   in Loop: Header=BB90_21 Depth=1
	v_add_co_u32 v73, s0, s24, v19
	v_add_co_ci_u32_e64 v74, null, s25, v20, s0
	v_add_co_u32 v75, s0, s24, v45
	v_add_co_ci_u32_e64 v76, null, s25, v46, s0
	;; [unrolled: 2-line block ×4, first 2 shown]
	v_cndmask_b32_e32 v73, v75, v73, vcc_lo
	v_add_co_u32 v75, s0, 0, v68
	v_cndmask_b32_e32 v74, v76, v74, vcc_lo
	v_add_co_ci_u32_e64 v76, null, v13, v7, s0
	global_load_dwordx2 v[73:74], v[73:74], off
	v_add_nc_u32_e32 v76, 0xe0, v76
	v_ashrrev_i64 v[75:76], 29, v[75:76]
	v_add_co_u32 v77, s0, s4, v75
	v_add_co_ci_u32_e64 v78, null, s5, v76, s0
	v_add_co_u32 v75, s0, s22, v75
	v_add_co_ci_u32_e64 v76, null, s23, v76, s0
	global_store_dwordx2 v[77:78], v[61:62], off
	s_waitcnt vmcnt(0)
	global_store_dwordx2 v[75:76], v[73:74], off
	s_or_b32 exec_lo, exec_lo, s21
	s_and_saveexec_b32 s21, s81
	s_cbranch_execz .LBB90_77
.LBB90_133:                             ;   in Loop: Header=BB90_21 Depth=1
	v_add_co_u32 v73, s0, s24, v31
	v_add_co_ci_u32_e64 v74, null, s25, v32, s0
	v_add_co_u32 v75, s0, s24, v17
	v_add_co_ci_u32_e64 v76, null, s25, v18, s0
	;; [unrolled: 2-line block ×3, first 2 shown]
	v_cndmask_b32_e32 v73, v73, v75, vcc_lo
	v_add_co_u32 v75, s0, 0, v66
	v_cndmask_b32_e32 v74, v74, v76, vcc_lo
	v_add_co_ci_u32_e64 v76, null, v13, v5, s0
	global_load_dwordx2 v[73:74], v[73:74], off
	v_ashrrev_i64 v[75:76], 29, v[75:76]
	v_add_co_u32 v77, s0, s4, v75
	v_add_co_ci_u32_e64 v78, null, s5, v76, s0
	v_add_co_u32 v75, s0, s22, v75
	v_add_co_ci_u32_e64 v76, null, s23, v76, s0
	global_store_dwordx2 v[77:78], v[59:60], off
	s_waitcnt vmcnt(0)
	global_store_dwordx2 v[75:76], v[73:74], off
	s_or_b32 exec_lo, exec_lo, s21
	s_and_saveexec_b32 s21, s82
	s_cbranch_execz .LBB90_78
.LBB90_134:                             ;   in Loop: Header=BB90_21 Depth=1
	v_add_co_u32 v73, s0, s24, v17
	v_add_co_ci_u32_e64 v74, null, s25, v18, s0
	v_add_co_u32 v75, s0, s24, v33
	v_add_co_ci_u32_e64 v76, null, s25, v34, s0
	;; [unrolled: 2-line block ×4, first 2 shown]
	v_cndmask_b32_e32 v73, v75, v73, vcc_lo
	v_add_co_u32 v75, s0, 0, v66
	v_cndmask_b32_e32 v74, v76, v74, vcc_lo
	v_add_co_ci_u32_e64 v76, null, v13, v5, s0
	global_load_dwordx2 v[73:74], v[73:74], off
	v_add_nc_u32_e32 v76, 32, v76
	v_ashrrev_i64 v[75:76], 29, v[75:76]
	v_add_co_u32 v77, s0, s4, v75
	v_add_co_ci_u32_e64 v78, null, s5, v76, s0
	v_add_co_u32 v75, s0, s22, v75
	v_add_co_ci_u32_e64 v76, null, s23, v76, s0
	global_store_dwordx2 v[77:78], v[47:48], off
	s_waitcnt vmcnt(0)
	global_store_dwordx2 v[75:76], v[73:74], off
	s_or_b32 exec_lo, exec_lo, s21
	s_and_saveexec_b32 s21, s83
	s_cbranch_execz .LBB90_79
.LBB90_135:                             ;   in Loop: Header=BB90_21 Depth=1
	v_add_co_u32 v73, s0, s24, v17
	v_add_co_ci_u32_e64 v74, null, s25, v18, s0
	v_add_co_u32 v75, s0, s24, v35
	v_add_co_ci_u32_e64 v76, null, s25, v36, s0
	;; [unrolled: 2-line block ×4, first 2 shown]
	v_cndmask_b32_e32 v73, v75, v73, vcc_lo
	v_add_co_u32 v75, s0, 0, v66
	v_cndmask_b32_e32 v74, v76, v74, vcc_lo
	v_add_co_ci_u32_e64 v76, null, v13, v5, s0
	global_load_dwordx2 v[73:74], v[73:74], off
	v_add_nc_u32_e32 v76, 64, v76
	v_ashrrev_i64 v[75:76], 29, v[75:76]
	v_add_co_u32 v77, s0, s4, v75
	v_add_co_ci_u32_e64 v78, null, s5, v76, s0
	v_add_co_u32 v75, s0, s22, v75
	v_add_co_ci_u32_e64 v76, null, s23, v76, s0
	global_store_dwordx2 v[77:78], v[49:50], off
	s_waitcnt vmcnt(0)
	global_store_dwordx2 v[75:76], v[73:74], off
	s_or_b32 exec_lo, exec_lo, s21
	s_and_saveexec_b32 s21, s84
	s_cbranch_execz .LBB90_80
.LBB90_136:                             ;   in Loop: Header=BB90_21 Depth=1
	v_add_co_u32 v73, s0, s24, v17
	v_add_co_ci_u32_e64 v74, null, s25, v18, s0
	v_add_co_u32 v75, s0, s24, v37
	v_add_co_ci_u32_e64 v76, null, s25, v38, s0
	v_add_co_u32 v73, s0, 0x300, v73
	v_add_co_ci_u32_e64 v74, null, 0, v74, s0
	v_add_co_u32 v75, s0, 0x600, v75
	v_add_co_ci_u32_e64 v76, null, 0, v76, s0
	v_cndmask_b32_e32 v73, v75, v73, vcc_lo
	v_add_co_u32 v75, s0, 0, v66
	v_cndmask_b32_e32 v74, v76, v74, vcc_lo
	v_add_co_ci_u32_e64 v76, null, v13, v5, s0
	global_load_dwordx2 v[73:74], v[73:74], off
	v_add_nc_u32_e32 v76, 0x60, v76
	v_ashrrev_i64 v[75:76], 29, v[75:76]
	v_add_co_u32 v77, s0, s4, v75
	v_add_co_ci_u32_e64 v78, null, s5, v76, s0
	v_add_co_u32 v75, s0, s22, v75
	v_add_co_ci_u32_e64 v76, null, s23, v76, s0
	global_store_dwordx2 v[77:78], v[51:52], off
	s_waitcnt vmcnt(0)
	global_store_dwordx2 v[75:76], v[73:74], off
	s_or_b32 exec_lo, exec_lo, s21
	s_and_saveexec_b32 s21, s85
	s_cbranch_execz .LBB90_81
.LBB90_137:                             ;   in Loop: Header=BB90_21 Depth=1
	v_add_co_u32 v73, s0, s24, v17
	v_add_co_ci_u32_e64 v74, null, s25, v18, s0
	v_add_co_u32 v75, s0, s24, v39
	v_add_co_ci_u32_e64 v76, null, s25, v40, s0
	;; [unrolled: 2-line block ×4, first 2 shown]
	v_cndmask_b32_e32 v73, v75, v73, vcc_lo
	v_add_co_u32 v75, s0, 0, v66
	v_cndmask_b32_e32 v74, v76, v74, vcc_lo
	v_add_co_ci_u32_e64 v76, null, v13, v5, s0
	global_load_dwordx2 v[73:74], v[73:74], off
	v_add_nc_u32_e32 v76, 0x80, v76
	v_ashrrev_i64 v[75:76], 29, v[75:76]
	v_add_co_u32 v77, s0, s4, v75
	v_add_co_ci_u32_e64 v78, null, s5, v76, s0
	v_add_co_u32 v75, s0, s22, v75
	v_add_co_ci_u32_e64 v76, null, s23, v76, s0
	global_store_dwordx2 v[77:78], v[53:54], off
	s_waitcnt vmcnt(0)
	global_store_dwordx2 v[75:76], v[73:74], off
	s_or_b32 exec_lo, exec_lo, s21
	s_and_saveexec_b32 s21, s86
	s_cbranch_execz .LBB90_82
.LBB90_138:                             ;   in Loop: Header=BB90_21 Depth=1
	v_add_co_u32 v73, s0, s24, v17
	v_add_co_ci_u32_e64 v74, null, s25, v18, s0
	v_add_co_u32 v75, s0, s24, v41
	v_add_co_ci_u32_e64 v76, null, s25, v42, s0
	;; [unrolled: 2-line block ×4, first 2 shown]
	v_cndmask_b32_e32 v73, v75, v73, vcc_lo
	v_add_co_u32 v75, s0, 0, v66
	v_cndmask_b32_e32 v74, v76, v74, vcc_lo
	v_add_co_ci_u32_e64 v76, null, v13, v5, s0
	global_load_dwordx2 v[73:74], v[73:74], off
	v_add_nc_u32_e32 v76, 0xa0, v76
	v_ashrrev_i64 v[75:76], 29, v[75:76]
	v_add_co_u32 v77, s0, s4, v75
	v_add_co_ci_u32_e64 v78, null, s5, v76, s0
	v_add_co_u32 v75, s0, s22, v75
	v_add_co_ci_u32_e64 v76, null, s23, v76, s0
	global_store_dwordx2 v[77:78], v[55:56], off
	s_waitcnt vmcnt(0)
	global_store_dwordx2 v[75:76], v[73:74], off
	s_or_b32 exec_lo, exec_lo, s21
	s_and_saveexec_b32 s21, s87
	s_cbranch_execz .LBB90_83
.LBB90_139:                             ;   in Loop: Header=BB90_21 Depth=1
	v_add_co_u32 v73, s0, s24, v17
	v_add_co_ci_u32_e64 v74, null, s25, v18, s0
	v_add_co_u32 v75, s0, s24, v43
	v_add_co_ci_u32_e64 v76, null, s25, v44, s0
	v_cndmask_b32_e32 v73, v75, v73, vcc_lo
	v_add_co_u32 v75, s0, 0, v66
	v_cndmask_b32_e32 v74, v76, v74, vcc_lo
	v_add_co_ci_u32_e64 v76, null, v13, v5, s0
	global_load_dwordx2 v[73:74], v[73:74], off offset:1536
	v_add_nc_u32_e32 v76, 0xc0, v76
	v_ashrrev_i64 v[75:76], 29, v[75:76]
	v_add_co_u32 v77, s0, s4, v75
	v_add_co_ci_u32_e64 v78, null, s5, v76, s0
	v_add_co_u32 v75, s0, s22, v75
	v_add_co_ci_u32_e64 v76, null, s23, v76, s0
	global_store_dwordx2 v[77:78], v[57:58], off
	s_waitcnt vmcnt(0)
	global_store_dwordx2 v[75:76], v[73:74], off
	s_or_b32 exec_lo, exec_lo, s21
	s_and_saveexec_b32 s21, s8
	s_cbranch_execz .LBB90_84
.LBB90_140:                             ;   in Loop: Header=BB90_21 Depth=1
	v_add_co_u32 v73, s0, s24, v17
	v_add_co_ci_u32_e64 v74, null, s25, v18, s0
	v_add_co_u32 v75, s0, s24, v45
	v_add_co_ci_u32_e64 v76, null, s25, v46, s0
	;; [unrolled: 2-line block ×4, first 2 shown]
	v_cndmask_b32_e32 v73, v75, v73, vcc_lo
	v_add_co_u32 v75, s0, 0, v66
	v_cndmask_b32_e32 v74, v76, v74, vcc_lo
	v_add_co_ci_u32_e64 v76, null, v13, v5, s0
	global_load_dwordx2 v[73:74], v[73:74], off
	v_add_nc_u32_e32 v76, 0xe0, v76
	v_ashrrev_i64 v[75:76], 29, v[75:76]
	v_add_co_u32 v77, s0, s4, v75
	v_add_co_ci_u32_e64 v78, null, s5, v76, s0
	v_add_co_u32 v75, s0, s22, v75
	v_add_co_ci_u32_e64 v76, null, s23, v76, s0
	global_store_dwordx2 v[77:78], v[61:62], off
	s_waitcnt vmcnt(0)
	global_store_dwordx2 v[75:76], v[73:74], off
	s_or_b32 exec_lo, exec_lo, s21
	s_and_saveexec_b32 s21, s10
	s_cbranch_execz .LBB90_85
.LBB90_141:                             ;   in Loop: Header=BB90_21 Depth=1
	v_add_co_u32 v73, s0, s24, v31
	v_add_co_ci_u32_e64 v74, null, s25, v32, s0
	v_add_co_u32 v75, s0, s24, v15
	v_add_co_ci_u32_e64 v76, null, s25, v16, s0
	;; [unrolled: 2-line block ×3, first 2 shown]
	v_cndmask_b32_e32 v73, v73, v75, vcc_lo
	v_add_co_u32 v75, s0, 0, v64
	v_cndmask_b32_e32 v74, v74, v76, vcc_lo
	v_add_co_ci_u32_e64 v76, null, v13, v3, s0
	global_load_dwordx2 v[73:74], v[73:74], off
	v_ashrrev_i64 v[75:76], 29, v[75:76]
	v_add_co_u32 v77, s0, s4, v75
	v_add_co_ci_u32_e64 v78, null, s5, v76, s0
	v_add_co_u32 v75, s0, s22, v75
	v_add_co_ci_u32_e64 v76, null, s23, v76, s0
	global_store_dwordx2 v[77:78], v[59:60], off
	s_waitcnt vmcnt(0)
	global_store_dwordx2 v[75:76], v[73:74], off
	s_or_b32 exec_lo, exec_lo, s21
	s_and_saveexec_b32 s21, s11
	s_cbranch_execz .LBB90_86
.LBB90_142:                             ;   in Loop: Header=BB90_21 Depth=1
	v_add_co_u32 v59, s0, s24, v15
	v_add_co_ci_u32_e64 v60, null, s25, v16, s0
	v_add_co_u32 v73, s0, s24, v33
	v_add_co_ci_u32_e64 v74, null, s25, v34, s0
	;; [unrolled: 2-line block ×4, first 2 shown]
	v_cndmask_b32_e32 v59, v73, v59, vcc_lo
	v_add_co_u32 v73, s0, 0, v64
	v_cndmask_b32_e32 v60, v74, v60, vcc_lo
	v_add_co_ci_u32_e64 v74, null, v13, v3, s0
	global_load_dwordx2 v[59:60], v[59:60], off
	v_add_nc_u32_e32 v74, 32, v74
	v_ashrrev_i64 v[73:74], 29, v[73:74]
	v_add_co_u32 v75, s0, s4, v73
	v_add_co_ci_u32_e64 v76, null, s5, v74, s0
	v_add_co_u32 v73, s0, s22, v73
	v_add_co_ci_u32_e64 v74, null, s23, v74, s0
	global_store_dwordx2 v[75:76], v[47:48], off
	s_waitcnt vmcnt(0)
	global_store_dwordx2 v[73:74], v[59:60], off
	s_or_b32 exec_lo, exec_lo, s21
	s_and_saveexec_b32 s21, s12
	s_cbranch_execz .LBB90_87
.LBB90_143:                             ;   in Loop: Header=BB90_21 Depth=1
	v_add_co_u32 v47, s0, s24, v15
	v_add_co_ci_u32_e64 v48, null, s25, v16, s0
	v_add_co_u32 v59, s0, s24, v35
	v_add_co_ci_u32_e64 v60, null, s25, v36, s0
	;; [unrolled: 2-line block ×4, first 2 shown]
	v_cndmask_b32_e32 v47, v59, v47, vcc_lo
	v_add_co_u32 v59, s0, 0, v64
	v_cndmask_b32_e32 v48, v60, v48, vcc_lo
	v_add_co_ci_u32_e64 v60, null, v13, v3, s0
	global_load_dwordx2 v[47:48], v[47:48], off
	v_add_nc_u32_e32 v60, 64, v60
	v_ashrrev_i64 v[59:60], 29, v[59:60]
	v_add_co_u32 v73, s0, s4, v59
	v_add_co_ci_u32_e64 v74, null, s5, v60, s0
	v_add_co_u32 v59, s0, s22, v59
	v_add_co_ci_u32_e64 v60, null, s23, v60, s0
	global_store_dwordx2 v[73:74], v[49:50], off
	s_waitcnt vmcnt(0)
	global_store_dwordx2 v[59:60], v[47:48], off
	s_or_b32 exec_lo, exec_lo, s21
	s_and_saveexec_b32 s21, s13
	s_cbranch_execz .LBB90_88
.LBB90_144:                             ;   in Loop: Header=BB90_21 Depth=1
	v_add_co_u32 v47, s0, s24, v15
	v_add_co_ci_u32_e64 v48, null, s25, v16, s0
	v_add_co_u32 v49, s0, s24, v37
	v_add_co_ci_u32_e64 v50, null, s25, v38, s0
	v_add_co_u32 v47, s0, 0x300, v47
	v_add_co_ci_u32_e64 v48, null, 0, v48, s0
	v_add_co_u32 v49, s0, 0x700, v49
	v_add_co_ci_u32_e64 v50, null, 0, v50, s0
	v_cndmask_b32_e32 v47, v49, v47, vcc_lo
	v_add_co_u32 v49, s0, 0, v64
	v_cndmask_b32_e32 v48, v50, v48, vcc_lo
	v_add_co_ci_u32_e64 v50, null, v13, v3, s0
	global_load_dwordx2 v[47:48], v[47:48], off
	v_add_nc_u32_e32 v50, 0x60, v50
	v_ashrrev_i64 v[49:50], 29, v[49:50]
	v_add_co_u32 v59, s0, s4, v49
	v_add_co_ci_u32_e64 v60, null, s5, v50, s0
	v_add_co_u32 v49, s0, s22, v49
	v_add_co_ci_u32_e64 v50, null, s23, v50, s0
	global_store_dwordx2 v[59:60], v[51:52], off
	s_waitcnt vmcnt(0)
	global_store_dwordx2 v[49:50], v[47:48], off
	s_or_b32 exec_lo, exec_lo, s21
	s_and_saveexec_b32 s21, s14
	s_cbranch_execz .LBB90_89
.LBB90_145:                             ;   in Loop: Header=BB90_21 Depth=1
	v_add_co_u32 v47, s0, s24, v15
	v_add_co_ci_u32_e64 v48, null, s25, v16, s0
	v_add_co_u32 v49, s0, s24, v39
	v_add_co_ci_u32_e64 v50, null, s25, v40, s0
	;; [unrolled: 2-line block ×4, first 2 shown]
	v_cndmask_b32_e32 v47, v49, v47, vcc_lo
	v_add_co_u32 v49, s0, 0, v64
	v_cndmask_b32_e32 v48, v50, v48, vcc_lo
	v_add_co_ci_u32_e64 v50, null, v13, v3, s0
	global_load_dwordx2 v[47:48], v[47:48], off
	v_add_nc_u32_e32 v50, 0x80, v50
	v_ashrrev_i64 v[49:50], 29, v[49:50]
	v_add_co_u32 v51, s0, s4, v49
	v_add_co_ci_u32_e64 v52, null, s5, v50, s0
	v_add_co_u32 v49, s0, s22, v49
	v_add_co_ci_u32_e64 v50, null, s23, v50, s0
	global_store_dwordx2 v[51:52], v[53:54], off
	s_waitcnt vmcnt(0)
	global_store_dwordx2 v[49:50], v[47:48], off
	s_or_b32 exec_lo, exec_lo, s21
	s_and_saveexec_b32 s21, s15
	s_cbranch_execz .LBB90_90
.LBB90_146:                             ;   in Loop: Header=BB90_21 Depth=1
	v_add_co_u32 v47, s0, s24, v15
	v_add_co_ci_u32_e64 v48, null, s25, v16, s0
	v_add_co_u32 v49, s0, s24, v41
	v_add_co_ci_u32_e64 v50, null, s25, v42, s0
	;; [unrolled: 2-line block ×4, first 2 shown]
	v_cndmask_b32_e32 v47, v49, v47, vcc_lo
	v_add_co_u32 v49, s0, 0, v64
	v_cndmask_b32_e32 v48, v50, v48, vcc_lo
	v_add_co_ci_u32_e64 v50, null, v13, v3, s0
	global_load_dwordx2 v[47:48], v[47:48], off
	v_add_nc_u32_e32 v50, 0xa0, v50
	v_ashrrev_i64 v[49:50], 29, v[49:50]
	v_add_co_u32 v51, s0, s4, v49
	v_add_co_ci_u32_e64 v52, null, s5, v50, s0
	v_add_co_u32 v49, s0, s22, v49
	v_add_co_ci_u32_e64 v50, null, s23, v50, s0
	global_store_dwordx2 v[51:52], v[55:56], off
	s_waitcnt vmcnt(0)
	global_store_dwordx2 v[49:50], v[47:48], off
	s_or_b32 exec_lo, exec_lo, s21
	s_and_saveexec_b32 s21, s16
	s_cbranch_execz .LBB90_91
.LBB90_147:                             ;   in Loop: Header=BB90_21 Depth=1
	v_add_co_u32 v47, s0, s24, v15
	v_add_co_ci_u32_e64 v48, null, s25, v16, s0
	v_add_co_u32 v49, s0, s24, v43
	v_add_co_ci_u32_e64 v50, null, s25, v44, s0
	;; [unrolled: 2-line block ×4, first 2 shown]
	v_cndmask_b32_e32 v47, v49, v47, vcc_lo
	v_add_co_u32 v49, s0, 0, v64
	v_cndmask_b32_e32 v48, v50, v48, vcc_lo
	v_add_co_ci_u32_e64 v50, null, v13, v3, s0
	global_load_dwordx2 v[47:48], v[47:48], off
	v_add_nc_u32_e32 v50, 0xc0, v50
	v_ashrrev_i64 v[49:50], 29, v[49:50]
	v_add_co_u32 v51, s0, s4, v49
	v_add_co_ci_u32_e64 v52, null, s5, v50, s0
	v_add_co_u32 v49, s0, s22, v49
	v_add_co_ci_u32_e64 v50, null, s23, v50, s0
	global_store_dwordx2 v[51:52], v[57:58], off
	s_waitcnt vmcnt(0)
	global_store_dwordx2 v[49:50], v[47:48], off
	s_or_b32 exec_lo, exec_lo, s21
	s_and_saveexec_b32 s21, s9
	s_cbranch_execz .LBB90_20
.LBB90_148:                             ;   in Loop: Header=BB90_21 Depth=1
	v_add_co_u32 v47, s0, s24, v15
	v_add_co_ci_u32_e64 v48, null, s25, v16, s0
	v_add_co_u32 v49, s0, s24, v45
	v_add_co_ci_u32_e64 v50, null, s25, v46, s0
	v_cndmask_b32_e32 v47, v49, v47, vcc_lo
	v_add_co_u32 v49, s0, 0, v64
	v_cndmask_b32_e32 v48, v50, v48, vcc_lo
	v_add_co_ci_u32_e64 v50, null, v13, v3, s0
	global_load_dwordx2 v[47:48], v[47:48], off offset:1792
	v_add_nc_u32_e32 v50, 0xe0, v50
	v_ashrrev_i64 v[49:50], 29, v[49:50]
	v_add_co_u32 v51, s0, s4, v49
	v_add_co_ci_u32_e64 v52, null, s5, v50, s0
	v_add_co_u32 v49, s0, s22, v49
	v_add_co_ci_u32_e64 v50, null, s23, v50, s0
	global_store_dwordx2 v[51:52], v[61:62], off
	s_waitcnt vmcnt(0)
	global_store_dwordx2 v[49:50], v[47:48], off
	s_branch .LBB90_20
.LBB90_149:
	s_endpgm
	.section	.rodata,"a",@progbits
	.p2align	6, 0x0
	.amdhsa_kernel _ZN9rocsparseL35bsr2csr_block_per_row_33_256_kernelILj1024ELj256ELj32ElilEEv20rocsparse_direction_T4_S2_21rocsparse_index_base_PKT2_PKT3_PKS2_S2_S3_PS4_PS7_PS2_
		.amdhsa_group_segment_fixed_size 0
		.amdhsa_private_segment_fixed_size 0
		.amdhsa_kernarg_size 96
		.amdhsa_user_sgpr_count 6
		.amdhsa_user_sgpr_private_segment_buffer 1
		.amdhsa_user_sgpr_dispatch_ptr 0
		.amdhsa_user_sgpr_queue_ptr 0
		.amdhsa_user_sgpr_kernarg_segment_ptr 1
		.amdhsa_user_sgpr_dispatch_id 0
		.amdhsa_user_sgpr_flat_scratch_init 0
		.amdhsa_user_sgpr_private_segment_size 0
		.amdhsa_wavefront_size32 1
		.amdhsa_uses_dynamic_stack 0
		.amdhsa_system_sgpr_private_segment_wavefront_offset 0
		.amdhsa_system_sgpr_workgroup_id_x 1
		.amdhsa_system_sgpr_workgroup_id_y 0
		.amdhsa_system_sgpr_workgroup_id_z 0
		.amdhsa_system_sgpr_workgroup_info 0
		.amdhsa_system_vgpr_workitem_id 0
		.amdhsa_next_free_vgpr 79
		.amdhsa_next_free_sgpr 89
		.amdhsa_reserve_vcc 1
		.amdhsa_reserve_flat_scratch 0
		.amdhsa_float_round_mode_32 0
		.amdhsa_float_round_mode_16_64 0
		.amdhsa_float_denorm_mode_32 3
		.amdhsa_float_denorm_mode_16_64 3
		.amdhsa_dx10_clamp 1
		.amdhsa_ieee_mode 1
		.amdhsa_fp16_overflow 0
		.amdhsa_workgroup_processor_mode 1
		.amdhsa_memory_ordered 1
		.amdhsa_forward_progress 1
		.amdhsa_shared_vgpr_count 0
		.amdhsa_exception_fp_ieee_invalid_op 0
		.amdhsa_exception_fp_denorm_src 0
		.amdhsa_exception_fp_ieee_div_zero 0
		.amdhsa_exception_fp_ieee_overflow 0
		.amdhsa_exception_fp_ieee_underflow 0
		.amdhsa_exception_fp_ieee_inexact 0
		.amdhsa_exception_int_div_zero 0
	.end_amdhsa_kernel
	.section	.text._ZN9rocsparseL35bsr2csr_block_per_row_33_256_kernelILj1024ELj256ELj32ElilEEv20rocsparse_direction_T4_S2_21rocsparse_index_base_PKT2_PKT3_PKS2_S2_S3_PS4_PS7_PS2_,"axG",@progbits,_ZN9rocsparseL35bsr2csr_block_per_row_33_256_kernelILj1024ELj256ELj32ElilEEv20rocsparse_direction_T4_S2_21rocsparse_index_base_PKT2_PKT3_PKS2_S2_S3_PS4_PS7_PS2_,comdat
.Lfunc_end90:
	.size	_ZN9rocsparseL35bsr2csr_block_per_row_33_256_kernelILj1024ELj256ELj32ElilEEv20rocsparse_direction_T4_S2_21rocsparse_index_base_PKT2_PKT3_PKS2_S2_S3_PS4_PS7_PS2_, .Lfunc_end90-_ZN9rocsparseL35bsr2csr_block_per_row_33_256_kernelILj1024ELj256ELj32ElilEEv20rocsparse_direction_T4_S2_21rocsparse_index_base_PKT2_PKT3_PKS2_S2_S3_PS4_PS7_PS2_
                                        ; -- End function
	.set _ZN9rocsparseL35bsr2csr_block_per_row_33_256_kernelILj1024ELj256ELj32ElilEEv20rocsparse_direction_T4_S2_21rocsparse_index_base_PKT2_PKT3_PKS2_S2_S3_PS4_PS7_PS2_.num_vgpr, 79
	.set _ZN9rocsparseL35bsr2csr_block_per_row_33_256_kernelILj1024ELj256ELj32ElilEEv20rocsparse_direction_T4_S2_21rocsparse_index_base_PKT2_PKT3_PKS2_S2_S3_PS4_PS7_PS2_.num_agpr, 0
	.set _ZN9rocsparseL35bsr2csr_block_per_row_33_256_kernelILj1024ELj256ELj32ElilEEv20rocsparse_direction_T4_S2_21rocsparse_index_base_PKT2_PKT3_PKS2_S2_S3_PS4_PS7_PS2_.numbered_sgpr, 89
	.set _ZN9rocsparseL35bsr2csr_block_per_row_33_256_kernelILj1024ELj256ELj32ElilEEv20rocsparse_direction_T4_S2_21rocsparse_index_base_PKT2_PKT3_PKS2_S2_S3_PS4_PS7_PS2_.num_named_barrier, 0
	.set _ZN9rocsparseL35bsr2csr_block_per_row_33_256_kernelILj1024ELj256ELj32ElilEEv20rocsparse_direction_T4_S2_21rocsparse_index_base_PKT2_PKT3_PKS2_S2_S3_PS4_PS7_PS2_.private_seg_size, 0
	.set _ZN9rocsparseL35bsr2csr_block_per_row_33_256_kernelILj1024ELj256ELj32ElilEEv20rocsparse_direction_T4_S2_21rocsparse_index_base_PKT2_PKT3_PKS2_S2_S3_PS4_PS7_PS2_.uses_vcc, 1
	.set _ZN9rocsparseL35bsr2csr_block_per_row_33_256_kernelILj1024ELj256ELj32ElilEEv20rocsparse_direction_T4_S2_21rocsparse_index_base_PKT2_PKT3_PKS2_S2_S3_PS4_PS7_PS2_.uses_flat_scratch, 0
	.set _ZN9rocsparseL35bsr2csr_block_per_row_33_256_kernelILj1024ELj256ELj32ElilEEv20rocsparse_direction_T4_S2_21rocsparse_index_base_PKT2_PKT3_PKS2_S2_S3_PS4_PS7_PS2_.has_dyn_sized_stack, 0
	.set _ZN9rocsparseL35bsr2csr_block_per_row_33_256_kernelILj1024ELj256ELj32ElilEEv20rocsparse_direction_T4_S2_21rocsparse_index_base_PKT2_PKT3_PKS2_S2_S3_PS4_PS7_PS2_.has_recursion, 0
	.set _ZN9rocsparseL35bsr2csr_block_per_row_33_256_kernelILj1024ELj256ELj32ElilEEv20rocsparse_direction_T4_S2_21rocsparse_index_base_PKT2_PKT3_PKS2_S2_S3_PS4_PS7_PS2_.has_indirect_call, 0
	.section	.AMDGPU.csdata,"",@progbits
; Kernel info:
; codeLenInByte = 14220
; TotalNumSgprs: 91
; NumVgprs: 79
; ScratchSize: 0
; MemoryBound: 0
; FloatMode: 240
; IeeeMode: 1
; LDSByteSize: 0 bytes/workgroup (compile time only)
; SGPRBlocks: 0
; VGPRBlocks: 9
; NumSGPRsForWavesPerEU: 91
; NumVGPRsForWavesPerEU: 79
; Occupancy: 12
; WaveLimiterHint : 1
; COMPUTE_PGM_RSRC2:SCRATCH_EN: 0
; COMPUTE_PGM_RSRC2:USER_SGPR: 6
; COMPUTE_PGM_RSRC2:TRAP_HANDLER: 0
; COMPUTE_PGM_RSRC2:TGID_X_EN: 1
; COMPUTE_PGM_RSRC2:TGID_Y_EN: 0
; COMPUTE_PGM_RSRC2:TGID_Z_EN: 0
; COMPUTE_PGM_RSRC2:TIDIG_COMP_CNT: 0
	.section	.text._ZN9rocsparseL35bsr2csr_block_dim_equals_one_kernelILj1024ElllEEvT2_S1_21rocsparse_index_base_PKT0_PKT1_PKS1_S2_PS3_PS6_PS1_,"axG",@progbits,_ZN9rocsparseL35bsr2csr_block_dim_equals_one_kernelILj1024ElllEEvT2_S1_21rocsparse_index_base_PKT0_PKT1_PKS1_S2_PS3_PS6_PS1_,comdat
	.globl	_ZN9rocsparseL35bsr2csr_block_dim_equals_one_kernelILj1024ElllEEvT2_S1_21rocsparse_index_base_PKT0_PKT1_PKS1_S2_PS3_PS6_PS1_ ; -- Begin function _ZN9rocsparseL35bsr2csr_block_dim_equals_one_kernelILj1024ElllEEvT2_S1_21rocsparse_index_base_PKT0_PKT1_PKS1_S2_PS3_PS6_PS1_
	.p2align	8
	.type	_ZN9rocsparseL35bsr2csr_block_dim_equals_one_kernelILj1024ElllEEvT2_S1_21rocsparse_index_base_PKT0_PKT1_PKS1_S2_PS3_PS6_PS1_,@function
_ZN9rocsparseL35bsr2csr_block_dim_equals_one_kernelILj1024ElllEEvT2_S1_21rocsparse_index_base_PKT0_PKT1_PKS1_S2_PS3_PS6_PS1_: ; @_ZN9rocsparseL35bsr2csr_block_dim_equals_one_kernelILj1024ElllEEvT2_S1_21rocsparse_index_base_PKT0_PKT1_PKS1_S2_PS3_PS6_PS1_
; %bb.0:
	s_clause 0x6
	s_load_dwordx2 s[0:1], s[4:5], 0x0
	s_load_dword s18, s[4:5], 0x10
	s_load_dwordx4 s[8:11], s[4:5], 0x18
	s_load_dwordx2 s[2:3], s[4:5], 0x28
	s_load_dwordx2 s[12:13], s[4:5], 0x48
	s_load_dword s19, s[4:5], 0x30
	s_load_dwordx2 s[14:15], s[4:5], 0x38
	v_lshl_or_b32 v0, s6, 10, v0
	v_mov_b32_e32 v1, 0
	s_mov_b32 s20, exec_lo
	s_waitcnt lgkmcnt(0)
	v_cmpx_gt_i64_e64 s[0:1], v[0:1]
	s_cbranch_execz .LBB91_6
; %bb.1:
	s_load_dwordx2 s[6:7], s[4:5], 0x40
	s_mov_b32 s21, exec_lo
                                        ; implicit-def: $sgpr16_sgpr17
	v_cmpx_ne_u32_e32 0, v0
	s_xor_b32 s21, exec_lo, s21
; %bb.2:
	s_sub_u32 s16, s19, s18
	s_subb_u32 s17, 0, 0
; %bb.3:
	s_or_saveexec_b32 s21, s21
	v_mov_b32_e32 v2, s16
	v_mov_b32_e32 v3, s17
	s_xor_b32 exec_lo, exec_lo, s21
	s_cbranch_execz .LBB91_5
; %bb.4:
	s_load_dwordx2 s[16:17], s[10:11], 0x0
	s_sub_u32 s22, s19, s18
	s_subb_u32 s23, 0, 0
	v_mov_b32_e32 v2, s22
	v_mov_b32_e32 v6, 0
	v_mov_b32_e32 v3, s23
	s_waitcnt lgkmcnt(0)
	s_add_u32 s16, s22, s16
	s_addc_u32 s17, s23, s17
	v_mov_b32_e32 v4, s16
	v_mov_b32_e32 v5, s17
	global_store_dwordx2 v6, v[4:5], s[6:7]
.LBB91_5:
	s_or_b32 exec_lo, exec_lo, s21
	v_lshlrev_b64 v[4:5], 3, v[0:1]
	v_add_co_u32 v6, vcc_lo, s10, v4
	v_add_co_ci_u32_e64 v7, null, s11, v5, vcc_lo
	global_load_dwordx2 v[6:7], v[6:7], off offset:8
	s_waitcnt vmcnt(0)
	v_add_co_u32 v2, vcc_lo, v2, v6
	v_add_co_ci_u32_e64 v3, null, v3, v7, vcc_lo
	s_waitcnt lgkmcnt(0)
	v_add_co_u32 v4, vcc_lo, s6, v4
	v_add_co_ci_u32_e64 v5, null, s7, v5, vcc_lo
	global_store_dwordx2 v[4:5], v[2:3], off offset:8
.LBB91_6:
	s_or_b32 exec_lo, exec_lo, s20
	s_lshl_b64 s[0:1], s[0:1], 3
	s_add_u32 s0, s10, s0
	s_addc_u32 s1, s11, s1
	s_clause 0x1
	s_load_dwordx2 s[0:1], s[0:1], 0x0
	s_load_dwordx2 s[6:7], s[10:11], 0x0
	s_waitcnt lgkmcnt(0)
	s_sub_u32 s6, s0, s6
	s_subb_u32 s7, s1, s7
	s_mov_b32 s0, exec_lo
	v_cmpx_gt_i64_e64 s[6:7], v[0:1]
	s_cbranch_execz .LBB91_9
; %bb.7:
	s_load_dword s0, s[4:5], 0x50
	v_lshlrev_b64 v[2:3], 3, v[0:1]
	s_sub_u32 s16, s19, s18
	s_mov_b32 s5, 0
	s_subb_u32 s17, 0, 0
	s_waitcnt lgkmcnt(0)
	s_lshl_b32 s4, s0, 10
	s_lshl_b64 s[10:11], s[4:5], 3
	s_inst_prefetch 0x1
	.p2align	6
.LBB91_8:                               ; =>This Inner Loop Header: Depth=1
	v_add_co_u32 v4, vcc_lo, s2, v2
	v_add_co_ci_u32_e64 v5, null, s3, v3, vcc_lo
	v_add_co_u32 v6, vcc_lo, s8, v2
	v_add_co_ci_u32_e64 v7, null, s9, v3, vcc_lo
	global_load_dwordx2 v[4:5], v[4:5], off
	global_load_dwordx2 v[6:7], v[6:7], off
	v_add_co_u32 v8, vcc_lo, s12, v2
	v_add_co_ci_u32_e64 v9, null, s13, v3, vcc_lo
	v_add_co_u32 v0, vcc_lo, v0, s4
	v_add_co_ci_u32_e64 v1, null, 0, v1, vcc_lo
	;; [unrolled: 2-line block ×3, first 2 shown]
	v_cmp_le_i64_e64 s0, s[6:7], v[0:1]
	v_add_co_u32 v2, vcc_lo, v2, s10
	v_add_co_ci_u32_e64 v3, null, s11, v3, vcc_lo
	s_or_b32 s5, s0, s5
	s_waitcnt vmcnt(1)
	v_add_co_u32 v4, s1, s16, v4
	v_add_co_ci_u32_e64 v5, null, s17, v5, s1
	s_waitcnt vmcnt(0)
	global_store_dwordx2 v[10:11], v[6:7], off
	global_store_dwordx2 v[8:9], v[4:5], off
	s_andn2_b32 exec_lo, exec_lo, s5
	s_cbranch_execnz .LBB91_8
.LBB91_9:
	s_inst_prefetch 0x2
	s_endpgm
	.section	.rodata,"a",@progbits
	.p2align	6, 0x0
	.amdhsa_kernel _ZN9rocsparseL35bsr2csr_block_dim_equals_one_kernelILj1024ElllEEvT2_S1_21rocsparse_index_base_PKT0_PKT1_PKS1_S2_PS3_PS6_PS1_
		.amdhsa_group_segment_fixed_size 0
		.amdhsa_private_segment_fixed_size 0
		.amdhsa_kernarg_size 336
		.amdhsa_user_sgpr_count 6
		.amdhsa_user_sgpr_private_segment_buffer 1
		.amdhsa_user_sgpr_dispatch_ptr 0
		.amdhsa_user_sgpr_queue_ptr 0
		.amdhsa_user_sgpr_kernarg_segment_ptr 1
		.amdhsa_user_sgpr_dispatch_id 0
		.amdhsa_user_sgpr_flat_scratch_init 0
		.amdhsa_user_sgpr_private_segment_size 0
		.amdhsa_wavefront_size32 1
		.amdhsa_uses_dynamic_stack 0
		.amdhsa_system_sgpr_private_segment_wavefront_offset 0
		.amdhsa_system_sgpr_workgroup_id_x 1
		.amdhsa_system_sgpr_workgroup_id_y 0
		.amdhsa_system_sgpr_workgroup_id_z 0
		.amdhsa_system_sgpr_workgroup_info 0
		.amdhsa_system_vgpr_workitem_id 0
		.amdhsa_next_free_vgpr 12
		.amdhsa_next_free_sgpr 24
		.amdhsa_reserve_vcc 1
		.amdhsa_reserve_flat_scratch 0
		.amdhsa_float_round_mode_32 0
		.amdhsa_float_round_mode_16_64 0
		.amdhsa_float_denorm_mode_32 3
		.amdhsa_float_denorm_mode_16_64 3
		.amdhsa_dx10_clamp 1
		.amdhsa_ieee_mode 1
		.amdhsa_fp16_overflow 0
		.amdhsa_workgroup_processor_mode 1
		.amdhsa_memory_ordered 1
		.amdhsa_forward_progress 1
		.amdhsa_shared_vgpr_count 0
		.amdhsa_exception_fp_ieee_invalid_op 0
		.amdhsa_exception_fp_denorm_src 0
		.amdhsa_exception_fp_ieee_div_zero 0
		.amdhsa_exception_fp_ieee_overflow 0
		.amdhsa_exception_fp_ieee_underflow 0
		.amdhsa_exception_fp_ieee_inexact 0
		.amdhsa_exception_int_div_zero 0
	.end_amdhsa_kernel
	.section	.text._ZN9rocsparseL35bsr2csr_block_dim_equals_one_kernelILj1024ElllEEvT2_S1_21rocsparse_index_base_PKT0_PKT1_PKS1_S2_PS3_PS6_PS1_,"axG",@progbits,_ZN9rocsparseL35bsr2csr_block_dim_equals_one_kernelILj1024ElllEEvT2_S1_21rocsparse_index_base_PKT0_PKT1_PKS1_S2_PS3_PS6_PS1_,comdat
.Lfunc_end91:
	.size	_ZN9rocsparseL35bsr2csr_block_dim_equals_one_kernelILj1024ElllEEvT2_S1_21rocsparse_index_base_PKT0_PKT1_PKS1_S2_PS3_PS6_PS1_, .Lfunc_end91-_ZN9rocsparseL35bsr2csr_block_dim_equals_one_kernelILj1024ElllEEvT2_S1_21rocsparse_index_base_PKT0_PKT1_PKS1_S2_PS3_PS6_PS1_
                                        ; -- End function
	.set _ZN9rocsparseL35bsr2csr_block_dim_equals_one_kernelILj1024ElllEEvT2_S1_21rocsparse_index_base_PKT0_PKT1_PKS1_S2_PS3_PS6_PS1_.num_vgpr, 12
	.set _ZN9rocsparseL35bsr2csr_block_dim_equals_one_kernelILj1024ElllEEvT2_S1_21rocsparse_index_base_PKT0_PKT1_PKS1_S2_PS3_PS6_PS1_.num_agpr, 0
	.set _ZN9rocsparseL35bsr2csr_block_dim_equals_one_kernelILj1024ElllEEvT2_S1_21rocsparse_index_base_PKT0_PKT1_PKS1_S2_PS3_PS6_PS1_.numbered_sgpr, 24
	.set _ZN9rocsparseL35bsr2csr_block_dim_equals_one_kernelILj1024ElllEEvT2_S1_21rocsparse_index_base_PKT0_PKT1_PKS1_S2_PS3_PS6_PS1_.num_named_barrier, 0
	.set _ZN9rocsparseL35bsr2csr_block_dim_equals_one_kernelILj1024ElllEEvT2_S1_21rocsparse_index_base_PKT0_PKT1_PKS1_S2_PS3_PS6_PS1_.private_seg_size, 0
	.set _ZN9rocsparseL35bsr2csr_block_dim_equals_one_kernelILj1024ElllEEvT2_S1_21rocsparse_index_base_PKT0_PKT1_PKS1_S2_PS3_PS6_PS1_.uses_vcc, 1
	.set _ZN9rocsparseL35bsr2csr_block_dim_equals_one_kernelILj1024ElllEEvT2_S1_21rocsparse_index_base_PKT0_PKT1_PKS1_S2_PS3_PS6_PS1_.uses_flat_scratch, 0
	.set _ZN9rocsparseL35bsr2csr_block_dim_equals_one_kernelILj1024ElllEEvT2_S1_21rocsparse_index_base_PKT0_PKT1_PKS1_S2_PS3_PS6_PS1_.has_dyn_sized_stack, 0
	.set _ZN9rocsparseL35bsr2csr_block_dim_equals_one_kernelILj1024ElllEEvT2_S1_21rocsparse_index_base_PKT0_PKT1_PKS1_S2_PS3_PS6_PS1_.has_recursion, 0
	.set _ZN9rocsparseL35bsr2csr_block_dim_equals_one_kernelILj1024ElllEEvT2_S1_21rocsparse_index_base_PKT0_PKT1_PKS1_S2_PS3_PS6_PS1_.has_indirect_call, 0
	.section	.AMDGPU.csdata,"",@progbits
; Kernel info:
; codeLenInByte = 628
; TotalNumSgprs: 26
; NumVgprs: 12
; ScratchSize: 0
; MemoryBound: 0
; FloatMode: 240
; IeeeMode: 1
; LDSByteSize: 0 bytes/workgroup (compile time only)
; SGPRBlocks: 0
; VGPRBlocks: 1
; NumSGPRsForWavesPerEU: 26
; NumVGPRsForWavesPerEU: 12
; Occupancy: 16
; WaveLimiterHint : 0
; COMPUTE_PGM_RSRC2:SCRATCH_EN: 0
; COMPUTE_PGM_RSRC2:USER_SGPR: 6
; COMPUTE_PGM_RSRC2:TRAP_HANDLER: 0
; COMPUTE_PGM_RSRC2:TGID_X_EN: 1
; COMPUTE_PGM_RSRC2:TGID_Y_EN: 0
; COMPUTE_PGM_RSRC2:TGID_Z_EN: 0
; COMPUTE_PGM_RSRC2:TIDIG_COMP_CNT: 0
	.section	.text._ZN9rocsparseL32bsr2csr_block_per_row_2_7_kernelILj256ELj2ElllEEv20rocsparse_direction_T3_S2_21rocsparse_index_base_PKT1_PKT2_PKS2_S2_S3_PS4_PS7_PS2_,"axG",@progbits,_ZN9rocsparseL32bsr2csr_block_per_row_2_7_kernelILj256ELj2ElllEEv20rocsparse_direction_T3_S2_21rocsparse_index_base_PKT1_PKT2_PKS2_S2_S3_PS4_PS7_PS2_,comdat
	.globl	_ZN9rocsparseL32bsr2csr_block_per_row_2_7_kernelILj256ELj2ElllEEv20rocsparse_direction_T3_S2_21rocsparse_index_base_PKT1_PKT2_PKS2_S2_S3_PS4_PS7_PS2_ ; -- Begin function _ZN9rocsparseL32bsr2csr_block_per_row_2_7_kernelILj256ELj2ElllEEv20rocsparse_direction_T3_S2_21rocsparse_index_base_PKT1_PKT2_PKS2_S2_S3_PS4_PS7_PS2_
	.p2align	8
	.type	_ZN9rocsparseL32bsr2csr_block_per_row_2_7_kernelILj256ELj2ElllEEv20rocsparse_direction_T3_S2_21rocsparse_index_base_PKT1_PKT2_PKS2_S2_S3_PS4_PS7_PS2_,@function
_ZN9rocsparseL32bsr2csr_block_per_row_2_7_kernelILj256ELj2ElllEEv20rocsparse_direction_T3_S2_21rocsparse_index_base_PKT1_PKT2_PKS2_S2_S3_PS4_PS7_PS2_: ; @_ZN9rocsparseL32bsr2csr_block_per_row_2_7_kernelILj256ELj2ElllEEv20rocsparse_direction_T3_S2_21rocsparse_index_base_PKT1_PKT2_PKS2_S2_S3_PS4_PS7_PS2_
; %bb.0:
	s_load_dwordx2 s[0:1], s[4:5], 0x28
	s_mov_b32 s9, 0
	s_clause 0x1
	s_load_dword s10, s[4:5], 0x40
	s_load_dwordx2 s[12:13], s[4:5], 0x50
	s_mov_b32 s7, s9
	v_or_b32_e32 v1, s6, v0
	s_lshl_b64 s[2:3], s[6:7], 3
	s_mov_b32 s8, exec_lo
	s_waitcnt lgkmcnt(0)
	s_add_u32 s0, s0, s2
	s_addc_u32 s1, s1, s3
	s_load_dwordx4 s[0:3], s[0:1], 0x0
	v_cmpx_eq_u32_e32 0, v1
	s_cbranch_execz .LBB92_2
; %bb.1:
	s_mov_b32 s11, s9
	v_mov_b32_e32 v1, s10
	v_mov_b32_e32 v3, 0
	;; [unrolled: 1-line block ×3, first 2 shown]
	global_store_dwordx2 v3, v[1:2], s[12:13]
.LBB92_2:
	s_or_b32 exec_lo, exec_lo, s8
	s_load_dword s8, s[4:5], 0x18
	v_lshrrev_b32_e32 v2, 1, v0
	v_and_b32_e32 v9, 1, v0
	v_lshlrev_b32_e32 v8, 3, v9
	s_waitcnt lgkmcnt(0)
	s_sub_u32 s14, s0, s8
	s_subb_u32 s15, s1, 0
	s_sub_u32 s2, s2, s8
	s_subb_u32 s3, s3, 0
	s_lshl_b64 s[16:17], s[14:15], 2
	s_sub_u32 s18, s2, s14
	s_subb_u32 s19, s3, s15
	v_add_co_u32 v0, s11, s14, v2
	v_add_co_ci_u32_e64 v1, null, s15, 0, s11
	s_lshl_b64 s[14:15], s[18:19], 1
	s_lshr_b64 s[18:19], s[18:19], 31
	v_mul_lo_u32 v3, s14, v9
	v_mul_lo_u32 v4, s18, v9
	s_add_u32 s11, s14, s10
	s_addc_u32 s14, s15, 0
	s_add_u32 s11, s11, s16
	s_addc_u32 s14, s14, s17
	s_lshl_b64 s[6:7], s[6:7], 4
	v_add_co_u32 v5, vcc_lo, s11, v3
	v_add_co_ci_u32_e64 v6, null, s14, v4, vcc_lo
	s_add_u32 s6, s12, s6
	s_addc_u32 s7, s13, s7
	global_store_dwordx2 v8, v[5:6], s[6:7] offset:8
	s_mov_b32 s6, exec_lo
	v_cmpx_gt_i64_e64 s[2:3], v[0:1]
	s_cbranch_execz .LBB92_5
; %bb.3:
	s_clause 0x2
	s_load_dwordx2 s[6:7], s[4:5], 0x30
	s_load_dwordx2 s[12:13], s[4:5], 0x48
	s_load_dword s11, s[4:5], 0x0
	v_lshlrev_b32_e32 v2, 1, v2
	s_clause 0x1
	s_load_dwordx2 s[14:15], s[4:5], 0x20
	s_load_dwordx2 s[4:5], s[4:5], 0x58
	v_lshlrev_b64 v[6:7], 5, v[0:1]
	v_lshlrev_b32_e32 v9, 4, v9
	s_waitcnt lgkmcnt(0)
	s_cmp_eq_u32 s11, 0
	s_cselect_b32 vcc_lo, -1, 0
	s_lshl_b64 s[0:1], s[0:1], 2
	v_add_co_u32 v3, s0, v3, s0
	v_add_co_ci_u32_e64 v4, null, s1, v4, s0
	v_add_co_u32 v2, s0, v3, v2
	v_add_co_ci_u32_e64 v3, null, 0, v4, s0
	s_lshl_b64 s[0:1], s[8:9], 2
	v_lshlrev_b64 v[4:5], 3, v[0:1]
	v_sub_co_u32 v2, s0, v2, s0
	v_subrev_co_ci_u32_e64 v3, null, s1, v3, s0
	v_lshlrev_b64 v[10:11], 3, v[2:3]
	v_add_co_u32 v2, s0, s6, v4
	v_add_co_ci_u32_e64 v3, null, s7, v5, s0
	v_add_co_u32 v12, s0, v10, 8
	v_add_co_ci_u32_e64 v13, null, 0, v11, s0
	;; [unrolled: 2-line block ×5, first 2 shown]
	s_mov_b32 s4, 0
.LBB92_4:                               ; =>This Inner Loop Header: Depth=1
	v_add_co_u32 v12, s0, v10, v9
	global_load_dwordx2 v[16:17], v[2:3], off
	v_add_co_ci_u32_e64 v13, null, 0, v11, s0
	v_add_co_u32 v14, s0, v10, v8
	v_add_co_ci_u32_e64 v15, null, 0, v11, s0
	v_add_co_u32 v18, s0, v12, 8
	;; [unrolled: 2-line block ×3, first 2 shown]
	v_add_co_ci_u32_e64 v21, null, 0, v15, s0
	v_cndmask_b32_e32 v13, v15, v13, vcc_lo
	v_cndmask_b32_e32 v12, v14, v12, vcc_lo
	;; [unrolled: 1-line block ×4, first 2 shown]
	global_load_dwordx2 v[12:13], v[12:13], off
	global_load_dwordx2 v[14:15], v[14:15], off
	v_add_co_u32 v0, s0, 0x80, v0
	v_add_co_ci_u32_e64 v1, null, 0, v1, s0
	v_add_co_u32 v2, s0, 0x400, v2
	v_add_co_ci_u32_e64 v3, null, 0, v3, s0
	;; [unrolled: 2-line block ×3, first 2 shown]
	v_cmp_le_i64_e64 s0, s[2:3], v[0:1]
	s_or_b32 s4, s0, s4
	s_waitcnt vmcnt(2)
	v_sub_co_u32 v16, s1, v16, s8
	v_subrev_co_ci_u32_e64 v17, null, 0, v17, s1
	v_lshlrev_b64 v[16:17], 1, v[16:17]
	v_add_co_u32 v16, s1, v16, s10
	v_add_co_ci_u32_e64 v17, null, 0, v17, s1
	s_waitcnt vmcnt(0)
	global_store_dwordx4 v[4:5], v[12:15], off offset:-8
	v_add_co_u32 v4, s1, 0x800, v4
	v_add_co_ci_u32_e64 v5, null, 0, v5, s1
	v_add_co_u32 v18, s1, v16, 1
	v_add_co_ci_u32_e64 v19, null, 0, v17, s1
	global_store_dwordx4 v[6:7], v[16:19], off offset:-8
	v_add_co_u32 v6, s1, 0x800, v6
	v_add_co_ci_u32_e64 v7, null, 0, v7, s1
	s_andn2_b32 exec_lo, exec_lo, s4
	s_cbranch_execnz .LBB92_4
.LBB92_5:
	s_endpgm
	.section	.rodata,"a",@progbits
	.p2align	6, 0x0
	.amdhsa_kernel _ZN9rocsparseL32bsr2csr_block_per_row_2_7_kernelILj256ELj2ElllEEv20rocsparse_direction_T3_S2_21rocsparse_index_base_PKT1_PKT2_PKS2_S2_S3_PS4_PS7_PS2_
		.amdhsa_group_segment_fixed_size 0
		.amdhsa_private_segment_fixed_size 0
		.amdhsa_kernarg_size 96
		.amdhsa_user_sgpr_count 6
		.amdhsa_user_sgpr_private_segment_buffer 1
		.amdhsa_user_sgpr_dispatch_ptr 0
		.amdhsa_user_sgpr_queue_ptr 0
		.amdhsa_user_sgpr_kernarg_segment_ptr 1
		.amdhsa_user_sgpr_dispatch_id 0
		.amdhsa_user_sgpr_flat_scratch_init 0
		.amdhsa_user_sgpr_private_segment_size 0
		.amdhsa_wavefront_size32 1
		.amdhsa_uses_dynamic_stack 0
		.amdhsa_system_sgpr_private_segment_wavefront_offset 0
		.amdhsa_system_sgpr_workgroup_id_x 1
		.amdhsa_system_sgpr_workgroup_id_y 0
		.amdhsa_system_sgpr_workgroup_id_z 0
		.amdhsa_system_sgpr_workgroup_info 0
		.amdhsa_system_vgpr_workitem_id 0
		.amdhsa_next_free_vgpr 22
		.amdhsa_next_free_sgpr 20
		.amdhsa_reserve_vcc 1
		.amdhsa_reserve_flat_scratch 0
		.amdhsa_float_round_mode_32 0
		.amdhsa_float_round_mode_16_64 0
		.amdhsa_float_denorm_mode_32 3
		.amdhsa_float_denorm_mode_16_64 3
		.amdhsa_dx10_clamp 1
		.amdhsa_ieee_mode 1
		.amdhsa_fp16_overflow 0
		.amdhsa_workgroup_processor_mode 1
		.amdhsa_memory_ordered 1
		.amdhsa_forward_progress 1
		.amdhsa_shared_vgpr_count 0
		.amdhsa_exception_fp_ieee_invalid_op 0
		.amdhsa_exception_fp_denorm_src 0
		.amdhsa_exception_fp_ieee_div_zero 0
		.amdhsa_exception_fp_ieee_overflow 0
		.amdhsa_exception_fp_ieee_underflow 0
		.amdhsa_exception_fp_ieee_inexact 0
		.amdhsa_exception_int_div_zero 0
	.end_amdhsa_kernel
	.section	.text._ZN9rocsparseL32bsr2csr_block_per_row_2_7_kernelILj256ELj2ElllEEv20rocsparse_direction_T3_S2_21rocsparse_index_base_PKT1_PKT2_PKS2_S2_S3_PS4_PS7_PS2_,"axG",@progbits,_ZN9rocsparseL32bsr2csr_block_per_row_2_7_kernelILj256ELj2ElllEEv20rocsparse_direction_T3_S2_21rocsparse_index_base_PKT1_PKT2_PKS2_S2_S3_PS4_PS7_PS2_,comdat
.Lfunc_end92:
	.size	_ZN9rocsparseL32bsr2csr_block_per_row_2_7_kernelILj256ELj2ElllEEv20rocsparse_direction_T3_S2_21rocsparse_index_base_PKT1_PKT2_PKS2_S2_S3_PS4_PS7_PS2_, .Lfunc_end92-_ZN9rocsparseL32bsr2csr_block_per_row_2_7_kernelILj256ELj2ElllEEv20rocsparse_direction_T3_S2_21rocsparse_index_base_PKT1_PKT2_PKS2_S2_S3_PS4_PS7_PS2_
                                        ; -- End function
	.set _ZN9rocsparseL32bsr2csr_block_per_row_2_7_kernelILj256ELj2ElllEEv20rocsparse_direction_T3_S2_21rocsparse_index_base_PKT1_PKT2_PKS2_S2_S3_PS4_PS7_PS2_.num_vgpr, 22
	.set _ZN9rocsparseL32bsr2csr_block_per_row_2_7_kernelILj256ELj2ElllEEv20rocsparse_direction_T3_S2_21rocsparse_index_base_PKT1_PKT2_PKS2_S2_S3_PS4_PS7_PS2_.num_agpr, 0
	.set _ZN9rocsparseL32bsr2csr_block_per_row_2_7_kernelILj256ELj2ElllEEv20rocsparse_direction_T3_S2_21rocsparse_index_base_PKT1_PKT2_PKS2_S2_S3_PS4_PS7_PS2_.numbered_sgpr, 20
	.set _ZN9rocsparseL32bsr2csr_block_per_row_2_7_kernelILj256ELj2ElllEEv20rocsparse_direction_T3_S2_21rocsparse_index_base_PKT1_PKT2_PKS2_S2_S3_PS4_PS7_PS2_.num_named_barrier, 0
	.set _ZN9rocsparseL32bsr2csr_block_per_row_2_7_kernelILj256ELj2ElllEEv20rocsparse_direction_T3_S2_21rocsparse_index_base_PKT1_PKT2_PKS2_S2_S3_PS4_PS7_PS2_.private_seg_size, 0
	.set _ZN9rocsparseL32bsr2csr_block_per_row_2_7_kernelILj256ELj2ElllEEv20rocsparse_direction_T3_S2_21rocsparse_index_base_PKT1_PKT2_PKS2_S2_S3_PS4_PS7_PS2_.uses_vcc, 1
	.set _ZN9rocsparseL32bsr2csr_block_per_row_2_7_kernelILj256ELj2ElllEEv20rocsparse_direction_T3_S2_21rocsparse_index_base_PKT1_PKT2_PKS2_S2_S3_PS4_PS7_PS2_.uses_flat_scratch, 0
	.set _ZN9rocsparseL32bsr2csr_block_per_row_2_7_kernelILj256ELj2ElllEEv20rocsparse_direction_T3_S2_21rocsparse_index_base_PKT1_PKT2_PKS2_S2_S3_PS4_PS7_PS2_.has_dyn_sized_stack, 0
	.set _ZN9rocsparseL32bsr2csr_block_per_row_2_7_kernelILj256ELj2ElllEEv20rocsparse_direction_T3_S2_21rocsparse_index_base_PKT1_PKT2_PKS2_S2_S3_PS4_PS7_PS2_.has_recursion, 0
	.set _ZN9rocsparseL32bsr2csr_block_per_row_2_7_kernelILj256ELj2ElllEEv20rocsparse_direction_T3_S2_21rocsparse_index_base_PKT1_PKT2_PKS2_S2_S3_PS4_PS7_PS2_.has_indirect_call, 0
	.section	.AMDGPU.csdata,"",@progbits
; Kernel info:
; codeLenInByte = 804
; TotalNumSgprs: 22
; NumVgprs: 22
; ScratchSize: 0
; MemoryBound: 0
; FloatMode: 240
; IeeeMode: 1
; LDSByteSize: 0 bytes/workgroup (compile time only)
; SGPRBlocks: 0
; VGPRBlocks: 2
; NumSGPRsForWavesPerEU: 22
; NumVGPRsForWavesPerEU: 22
; Occupancy: 16
; WaveLimiterHint : 0
; COMPUTE_PGM_RSRC2:SCRATCH_EN: 0
; COMPUTE_PGM_RSRC2:USER_SGPR: 6
; COMPUTE_PGM_RSRC2:TRAP_HANDLER: 0
; COMPUTE_PGM_RSRC2:TGID_X_EN: 1
; COMPUTE_PGM_RSRC2:TGID_Y_EN: 0
; COMPUTE_PGM_RSRC2:TGID_Z_EN: 0
; COMPUTE_PGM_RSRC2:TIDIG_COMP_CNT: 0
	.section	.text._ZN9rocsparseL32bsr2csr_block_per_row_2_7_kernelILj256ELj3ElllEEv20rocsparse_direction_T3_S2_21rocsparse_index_base_PKT1_PKT2_PKS2_S2_S3_PS4_PS7_PS2_,"axG",@progbits,_ZN9rocsparseL32bsr2csr_block_per_row_2_7_kernelILj256ELj3ElllEEv20rocsparse_direction_T3_S2_21rocsparse_index_base_PKT1_PKT2_PKS2_S2_S3_PS4_PS7_PS2_,comdat
	.globl	_ZN9rocsparseL32bsr2csr_block_per_row_2_7_kernelILj256ELj3ElllEEv20rocsparse_direction_T3_S2_21rocsparse_index_base_PKT1_PKT2_PKS2_S2_S3_PS4_PS7_PS2_ ; -- Begin function _ZN9rocsparseL32bsr2csr_block_per_row_2_7_kernelILj256ELj3ElllEEv20rocsparse_direction_T3_S2_21rocsparse_index_base_PKT1_PKT2_PKS2_S2_S3_PS4_PS7_PS2_
	.p2align	8
	.type	_ZN9rocsparseL32bsr2csr_block_per_row_2_7_kernelILj256ELj3ElllEEv20rocsparse_direction_T3_S2_21rocsparse_index_base_PKT1_PKT2_PKS2_S2_S3_PS4_PS7_PS2_,@function
_ZN9rocsparseL32bsr2csr_block_per_row_2_7_kernelILj256ELj3ElllEEv20rocsparse_direction_T3_S2_21rocsparse_index_base_PKT1_PKT2_PKS2_S2_S3_PS4_PS7_PS2_: ; @_ZN9rocsparseL32bsr2csr_block_per_row_2_7_kernelILj256ELj3ElllEEv20rocsparse_direction_T3_S2_21rocsparse_index_base_PKT1_PKT2_PKS2_S2_S3_PS4_PS7_PS2_
; %bb.0:
	s_clause 0x2
	s_load_dwordx2 s[0:1], s[4:5], 0x28
	s_load_dword s8, s[4:5], 0x40
	s_load_dwordx2 s[12:13], s[4:5], 0x50
	s_mov_b32 s7, 0
	v_or_b32_e32 v1, s6, v0
	s_lshl_b64 s[2:3], s[6:7], 3
	s_waitcnt lgkmcnt(0)
	s_add_u32 s0, s0, s2
	s_addc_u32 s1, s1, s3
	s_mov_b32 s2, exec_lo
	v_cmpx_eq_u32_e32 0, v1
	s_cbranch_execz .LBB93_2
; %bb.1:
	v_mov_b32_e32 v1, s8
	v_mov_b32_e32 v2, 0
	global_store_dwordx2 v2, v[1:2], s[12:13]
.LBB93_2:
	s_or_b32 exec_lo, exec_lo, s2
	v_and_b32_e32 v10, 3, v0
	s_mov_b32 s2, exec_lo
	v_cmpx_ne_u32_e32 3, v10
	s_cbranch_execz .LBB93_6
; %bb.3:
	s_load_dwordx4 s[0:3], s[0:1], 0x0
	s_load_dword s7, s[4:5], 0x18
	v_lshrrev_b32_e32 v4, 2, v0
	s_mul_i32 s16, s6, 24
	v_lshlrev_b32_e32 v9, 3, v10
	s_waitcnt lgkmcnt(0)
	s_sub_u32 s9, s0, s7
	s_subb_u32 s14, s1, 0
	s_sub_u32 s10, s2, s7
	s_mul_hi_u32 s2, s9, 9
	s_mul_i32 s15, s14, 9
	s_subb_u32 s11, s3, 0
	s_add_i32 s2, s2, s15
	s_sub_u32 s3, s10, s9
	s_subb_u32 s17, s11, s14
	s_mul_i32 s15, s3, 3
	s_mul_hi_u32 s3, s3, 3
	v_mad_u64_u32 v[2:3], null, s15, v10, 0
	s_mul_i32 s17, s17, 3
	s_mul_i32 s18, s9, 9
	s_add_i32 s3, s3, s17
	v_mov_b32_e32 v0, v3
	v_mad_u64_u32 v[5:6], null, s3, v10, v[0:1]
	v_add_co_u32 v0, s9, s9, v4
	v_add_co_ci_u32_e64 v1, null, s14, 0, s9
	s_add_u32 s9, s15, s8
	s_addc_u32 s3, s3, 0
	s_add_u32 s9, s9, s18
	s_addc_u32 s2, s3, s2
	v_add_co_u32 v6, vcc_lo, s9, v2
	v_add_co_ci_u32_e64 v7, null, s2, v5, vcc_lo
	v_cmp_gt_i64_e32 vcc_lo, s[10:11], v[0:1]
	v_mov_b32_e32 v3, v5
	s_mul_hi_u32 s3, s6, 24
	s_add_u32 s2, s12, s16
	s_addc_u32 s3, s13, s3
	s_mov_b32 s9, 0
	global_store_dwordx2 v9, v[6:7], s[2:3] offset:8
	s_and_b32 exec_lo, exec_lo, vcc_lo
	s_cbranch_execz .LBB93_6
; %bb.4:
	v_mad_u64_u32 v[5:6], null, s0, 9, v[2:3]
	s_clause 0x2
	s_load_dwordx2 s[2:3], s[4:5], 0x48
	s_load_dwordx2 s[12:13], s[4:5], 0x20
	s_load_dword s6, s[4:5], 0x0
	v_mul_hi_u32_u24_e32 v11, 24, v10
	v_mul_u32_u24_e32 v10, 24, v10
	v_mov_b32_e32 v2, v6
	v_mad_u64_u32 v[2:3], null, s1, 9, v[2:3]
	s_clause 0x1
	s_load_dwordx2 s[0:1], s[4:5], 0x30
	s_load_dwordx2 s[4:5], s[4:5], 0x58
	v_mov_b32_e32 v6, v2
	s_waitcnt lgkmcnt(0)
	v_mad_u64_u32 v[2:3], null, 0x48, v0, s[12:13]
	s_mul_i32 s13, s7, 9
	s_mul_hi_u32 s12, s7, 9
	v_mad_u64_u32 v[4:5], null, v4, 3, v[5:6]
	v_lshlrev_b64 v[6:7], 3, v[0:1]
	s_cmp_eq_u32 s6, 0
	v_sub_co_u32 v4, vcc_lo, v4, s13
	v_subrev_co_ci_u32_e64 v5, null, s12, v5, vcc_lo
	v_mad_u64_u32 v[12:13], null, 0x48, v1, v[3:4]
	v_lshlrev_b64 v[13:14], 3, v[4:5]
	v_add_co_u32 v3, vcc_lo, s0, v6
	v_add_co_ci_u32_e64 v4, null, s1, v7, vcc_lo
	v_add_co_u32 v7, vcc_lo, v13, 8
	v_add_co_ci_u32_e64 v8, null, 0, v14, vcc_lo
	;; [unrolled: 2-line block ×4, first 2 shown]
	s_cselect_b32 vcc_lo, -1, 0
	s_mov_b32 s3, s9
.LBB93_5:                               ; =>This Inner Loop Header: Depth=1
	v_add_co_u32 v13, s0, v2, v10
	v_add_co_ci_u32_e64 v14, null, v12, v11, s0
	v_add_co_u32 v15, s0, v2, v9
	v_add_co_ci_u32_e64 v16, null, 0, v12, s0
	;; [unrolled: 2-line block ×3, first 2 shown]
	v_add_co_u32 v21, s0, v15, 24
	global_load_dwordx2 v[17:18], v[3:4], off
	v_add_co_ci_u32_e64 v22, null, 0, v16, s0
	v_add_co_u32 v23, s0, v13, 16
	v_add_co_ci_u32_e64 v24, null, 0, v14, s0
	v_add_co_u32 v25, s0, v15, 48
	v_add_co_ci_u32_e64 v26, null, 0, v16, s0
	v_cndmask_b32_e32 v14, v16, v14, vcc_lo
	v_cndmask_b32_e32 v13, v15, v13, vcc_lo
	;; [unrolled: 1-line block ×6, first 2 shown]
	global_load_dwordx2 v[13:14], v[13:14], off
	global_load_dwordx2 v[15:16], v[15:16], off
	;; [unrolled: 1-line block ×3, first 2 shown]
	v_add_co_u32 v0, s0, v0, 64
	v_add_co_ci_u32_e64 v1, null, 0, v1, s0
	v_add_co_u32 v3, s0, 0x200, v3
	v_add_co_ci_u32_e64 v4, null, 0, v4, s0
	;; [unrolled: 2-line block ×3, first 2 shown]
	v_cmp_le_i64_e64 s0, s[10:11], v[0:1]
	s_waitcnt vmcnt(1)
	global_store_dwordx4 v[5:6], v[13:16], off offset:-8
	s_waitcnt vmcnt(0)
	global_store_dwordx2 v[5:6], v[19:20], off offset:8
	v_sub_co_u32 v17, s1, v17, s7
	v_subrev_co_ci_u32_e64 v21, null, 0, v18, s1
	v_add_co_u32 v5, s1, 0x600, v5
	v_mad_u64_u32 v[17:18], null, v17, 3, s[8:9]
	v_add_co_ci_u32_e64 v6, null, 0, v6, s1
	s_or_b32 s3, s0, s3
	v_mad_u64_u32 v[18:19], null, v21, 3, v[18:19]
	v_add_co_u32 v19, s2, v17, 1
	v_add_co_u32 v13, s1, v17, 2
	v_add_co_ci_u32_e64 v20, null, 0, v18, s2
	v_add_co_ci_u32_e64 v14, null, 0, v18, s1
	global_store_dwordx4 v[7:8], v[17:20], off offset:-8
	global_store_dwordx2 v[7:8], v[13:14], off offset:8
	v_add_co_u32 v7, s1, 0x600, v7
	v_add_co_ci_u32_e64 v8, null, 0, v8, s1
	s_andn2_b32 exec_lo, exec_lo, s3
	s_cbranch_execnz .LBB93_5
.LBB93_6:
	s_endpgm
	.section	.rodata,"a",@progbits
	.p2align	6, 0x0
	.amdhsa_kernel _ZN9rocsparseL32bsr2csr_block_per_row_2_7_kernelILj256ELj3ElllEEv20rocsparse_direction_T3_S2_21rocsparse_index_base_PKT1_PKT2_PKS2_S2_S3_PS4_PS7_PS2_
		.amdhsa_group_segment_fixed_size 0
		.amdhsa_private_segment_fixed_size 0
		.amdhsa_kernarg_size 96
		.amdhsa_user_sgpr_count 6
		.amdhsa_user_sgpr_private_segment_buffer 1
		.amdhsa_user_sgpr_dispatch_ptr 0
		.amdhsa_user_sgpr_queue_ptr 0
		.amdhsa_user_sgpr_kernarg_segment_ptr 1
		.amdhsa_user_sgpr_dispatch_id 0
		.amdhsa_user_sgpr_flat_scratch_init 0
		.amdhsa_user_sgpr_private_segment_size 0
		.amdhsa_wavefront_size32 1
		.amdhsa_uses_dynamic_stack 0
		.amdhsa_system_sgpr_private_segment_wavefront_offset 0
		.amdhsa_system_sgpr_workgroup_id_x 1
		.amdhsa_system_sgpr_workgroup_id_y 0
		.amdhsa_system_sgpr_workgroup_id_z 0
		.amdhsa_system_sgpr_workgroup_info 0
		.amdhsa_system_vgpr_workitem_id 0
		.amdhsa_next_free_vgpr 27
		.amdhsa_next_free_sgpr 19
		.amdhsa_reserve_vcc 1
		.amdhsa_reserve_flat_scratch 0
		.amdhsa_float_round_mode_32 0
		.amdhsa_float_round_mode_16_64 0
		.amdhsa_float_denorm_mode_32 3
		.amdhsa_float_denorm_mode_16_64 3
		.amdhsa_dx10_clamp 1
		.amdhsa_ieee_mode 1
		.amdhsa_fp16_overflow 0
		.amdhsa_workgroup_processor_mode 1
		.amdhsa_memory_ordered 1
		.amdhsa_forward_progress 1
		.amdhsa_shared_vgpr_count 0
		.amdhsa_exception_fp_ieee_invalid_op 0
		.amdhsa_exception_fp_denorm_src 0
		.amdhsa_exception_fp_ieee_div_zero 0
		.amdhsa_exception_fp_ieee_overflow 0
		.amdhsa_exception_fp_ieee_underflow 0
		.amdhsa_exception_fp_ieee_inexact 0
		.amdhsa_exception_int_div_zero 0
	.end_amdhsa_kernel
	.section	.text._ZN9rocsparseL32bsr2csr_block_per_row_2_7_kernelILj256ELj3ElllEEv20rocsparse_direction_T3_S2_21rocsparse_index_base_PKT1_PKT2_PKS2_S2_S3_PS4_PS7_PS2_,"axG",@progbits,_ZN9rocsparseL32bsr2csr_block_per_row_2_7_kernelILj256ELj3ElllEEv20rocsparse_direction_T3_S2_21rocsparse_index_base_PKT1_PKT2_PKS2_S2_S3_PS4_PS7_PS2_,comdat
.Lfunc_end93:
	.size	_ZN9rocsparseL32bsr2csr_block_per_row_2_7_kernelILj256ELj3ElllEEv20rocsparse_direction_T3_S2_21rocsparse_index_base_PKT1_PKT2_PKS2_S2_S3_PS4_PS7_PS2_, .Lfunc_end93-_ZN9rocsparseL32bsr2csr_block_per_row_2_7_kernelILj256ELj3ElllEEv20rocsparse_direction_T3_S2_21rocsparse_index_base_PKT1_PKT2_PKS2_S2_S3_PS4_PS7_PS2_
                                        ; -- End function
	.set _ZN9rocsparseL32bsr2csr_block_per_row_2_7_kernelILj256ELj3ElllEEv20rocsparse_direction_T3_S2_21rocsparse_index_base_PKT1_PKT2_PKS2_S2_S3_PS4_PS7_PS2_.num_vgpr, 27
	.set _ZN9rocsparseL32bsr2csr_block_per_row_2_7_kernelILj256ELj3ElllEEv20rocsparse_direction_T3_S2_21rocsparse_index_base_PKT1_PKT2_PKS2_S2_S3_PS4_PS7_PS2_.num_agpr, 0
	.set _ZN9rocsparseL32bsr2csr_block_per_row_2_7_kernelILj256ELj3ElllEEv20rocsparse_direction_T3_S2_21rocsparse_index_base_PKT1_PKT2_PKS2_S2_S3_PS4_PS7_PS2_.numbered_sgpr, 19
	.set _ZN9rocsparseL32bsr2csr_block_per_row_2_7_kernelILj256ELj3ElllEEv20rocsparse_direction_T3_S2_21rocsparse_index_base_PKT1_PKT2_PKS2_S2_S3_PS4_PS7_PS2_.num_named_barrier, 0
	.set _ZN9rocsparseL32bsr2csr_block_per_row_2_7_kernelILj256ELj3ElllEEv20rocsparse_direction_T3_S2_21rocsparse_index_base_PKT1_PKT2_PKS2_S2_S3_PS4_PS7_PS2_.private_seg_size, 0
	.set _ZN9rocsparseL32bsr2csr_block_per_row_2_7_kernelILj256ELj3ElllEEv20rocsparse_direction_T3_S2_21rocsparse_index_base_PKT1_PKT2_PKS2_S2_S3_PS4_PS7_PS2_.uses_vcc, 1
	.set _ZN9rocsparseL32bsr2csr_block_per_row_2_7_kernelILj256ELj3ElllEEv20rocsparse_direction_T3_S2_21rocsparse_index_base_PKT1_PKT2_PKS2_S2_S3_PS4_PS7_PS2_.uses_flat_scratch, 0
	.set _ZN9rocsparseL32bsr2csr_block_per_row_2_7_kernelILj256ELj3ElllEEv20rocsparse_direction_T3_S2_21rocsparse_index_base_PKT1_PKT2_PKS2_S2_S3_PS4_PS7_PS2_.has_dyn_sized_stack, 0
	.set _ZN9rocsparseL32bsr2csr_block_per_row_2_7_kernelILj256ELj3ElllEEv20rocsparse_direction_T3_S2_21rocsparse_index_base_PKT1_PKT2_PKS2_S2_S3_PS4_PS7_PS2_.has_recursion, 0
	.set _ZN9rocsparseL32bsr2csr_block_per_row_2_7_kernelILj256ELj3ElllEEv20rocsparse_direction_T3_S2_21rocsparse_index_base_PKT1_PKT2_PKS2_S2_S3_PS4_PS7_PS2_.has_indirect_call, 0
	.section	.AMDGPU.csdata,"",@progbits
; Kernel info:
; codeLenInByte = 904
; TotalNumSgprs: 21
; NumVgprs: 27
; ScratchSize: 0
; MemoryBound: 0
; FloatMode: 240
; IeeeMode: 1
; LDSByteSize: 0 bytes/workgroup (compile time only)
; SGPRBlocks: 0
; VGPRBlocks: 3
; NumSGPRsForWavesPerEU: 21
; NumVGPRsForWavesPerEU: 27
; Occupancy: 16
; WaveLimiterHint : 0
; COMPUTE_PGM_RSRC2:SCRATCH_EN: 0
; COMPUTE_PGM_RSRC2:USER_SGPR: 6
; COMPUTE_PGM_RSRC2:TRAP_HANDLER: 0
; COMPUTE_PGM_RSRC2:TGID_X_EN: 1
; COMPUTE_PGM_RSRC2:TGID_Y_EN: 0
; COMPUTE_PGM_RSRC2:TGID_Z_EN: 0
; COMPUTE_PGM_RSRC2:TIDIG_COMP_CNT: 0
	.section	.text._ZN9rocsparseL32bsr2csr_block_per_row_2_7_kernelILj256ELj4ElllEEv20rocsparse_direction_T3_S2_21rocsparse_index_base_PKT1_PKT2_PKS2_S2_S3_PS4_PS7_PS2_,"axG",@progbits,_ZN9rocsparseL32bsr2csr_block_per_row_2_7_kernelILj256ELj4ElllEEv20rocsparse_direction_T3_S2_21rocsparse_index_base_PKT1_PKT2_PKS2_S2_S3_PS4_PS7_PS2_,comdat
	.globl	_ZN9rocsparseL32bsr2csr_block_per_row_2_7_kernelILj256ELj4ElllEEv20rocsparse_direction_T3_S2_21rocsparse_index_base_PKT1_PKT2_PKS2_S2_S3_PS4_PS7_PS2_ ; -- Begin function _ZN9rocsparseL32bsr2csr_block_per_row_2_7_kernelILj256ELj4ElllEEv20rocsparse_direction_T3_S2_21rocsparse_index_base_PKT1_PKT2_PKS2_S2_S3_PS4_PS7_PS2_
	.p2align	8
	.type	_ZN9rocsparseL32bsr2csr_block_per_row_2_7_kernelILj256ELj4ElllEEv20rocsparse_direction_T3_S2_21rocsparse_index_base_PKT1_PKT2_PKS2_S2_S3_PS4_PS7_PS2_,@function
_ZN9rocsparseL32bsr2csr_block_per_row_2_7_kernelILj256ELj4ElllEEv20rocsparse_direction_T3_S2_21rocsparse_index_base_PKT1_PKT2_PKS2_S2_S3_PS4_PS7_PS2_: ; @_ZN9rocsparseL32bsr2csr_block_per_row_2_7_kernelILj256ELj4ElllEEv20rocsparse_direction_T3_S2_21rocsparse_index_base_PKT1_PKT2_PKS2_S2_S3_PS4_PS7_PS2_
; %bb.0:
	s_load_dwordx2 s[0:1], s[4:5], 0x28
	s_mov_b32 s9, 0
	s_clause 0x1
	s_load_dword s10, s[4:5], 0x40
	s_load_dwordx2 s[12:13], s[4:5], 0x50
	s_mov_b32 s7, s9
	v_or_b32_e32 v1, s6, v0
	s_lshl_b64 s[2:3], s[6:7], 3
	s_mov_b32 s8, exec_lo
	s_waitcnt lgkmcnt(0)
	s_add_u32 s0, s0, s2
	s_addc_u32 s1, s1, s3
	s_load_dwordx4 s[0:3], s[0:1], 0x0
	v_cmpx_eq_u32_e32 0, v1
	s_cbranch_execz .LBB94_2
; %bb.1:
	s_mov_b32 s11, s9
	v_mov_b32_e32 v1, s10
	v_mov_b32_e32 v3, 0
	;; [unrolled: 1-line block ×3, first 2 shown]
	global_store_dwordx2 v3, v[1:2], s[12:13]
.LBB94_2:
	s_or_b32 exec_lo, exec_lo, s8
	s_load_dword s8, s[4:5], 0x18
	v_and_b32_e32 v4, 3, v0
	v_lshrrev_b32_e32 v5, 2, v0
	v_lshlrev_b32_e32 v9, 3, v4
	s_waitcnt lgkmcnt(0)
	s_sub_u32 s14, s0, s8
	s_subb_u32 s15, s1, 0
	s_sub_u32 s2, s2, s8
	s_subb_u32 s3, s3, 0
	s_lshl_b64 s[16:17], s[14:15], 4
	s_sub_u32 s18, s2, s14
	s_subb_u32 s19, s3, s15
	v_add_co_u32 v0, s11, s14, v5
	s_lshl_b64 s[20:21], s[18:19], 2
	v_add_co_ci_u32_e64 v1, null, s15, 0, s11
	v_mad_u64_u32 v[2:3], null, s20, v4, 0
	s_lshr_b64 s[14:15], s[18:19], 30
	s_add_u32 s11, s20, s10
	v_mad_u64_u32 v[6:7], null, s14, v4, v[3:4]
	s_addc_u32 s14, s21, 0
	s_add_u32 s11, s11, s16
	s_addc_u32 s14, s14, s17
	v_add_co_u32 v7, vcc_lo, s11, v2
	s_lshl_b64 s[6:7], s[6:7], 5
	v_add_co_ci_u32_e64 v8, null, s14, v6, vcc_lo
	v_mov_b32_e32 v3, v6
	s_add_u32 s6, s12, s6
	s_addc_u32 s7, s13, s7
	global_store_dwordx2 v9, v[7:8], s[6:7] offset:8
	s_mov_b32 s6, exec_lo
	v_cmpx_gt_i64_e64 s[2:3], v[0:1]
	s_cbranch_execz .LBB94_5
; %bb.3:
	s_clause 0x4
	s_load_dwordx2 s[6:7], s[4:5], 0x30
	s_load_dwordx2 s[12:13], s[4:5], 0x48
	s_load_dword s11, s[4:5], 0x0
	s_load_dwordx2 s[14:15], s[4:5], 0x20
	s_load_dwordx2 s[4:5], s[4:5], 0x58
	v_lshlrev_b32_e32 v7, 2, v5
	v_lshlrev_b64 v[5:6], 7, v[0:1]
	v_lshlrev_b64 v[10:11], 3, v[0:1]
	v_mul_hi_u32_u24_e32 v8, 24, v4
	v_mul_u32_u24_e32 v9, 24, v4
	s_waitcnt lgkmcnt(0)
	s_cmp_eq_u32 s11, 0
	s_cselect_b32 vcc_lo, -1, 0
	s_lshl_b64 s[0:1], s[0:1], 4
	v_add_co_u32 v2, s0, v2, s0
	v_add_co_ci_u32_e64 v3, null, s1, v3, s0
	v_add_co_u32 v2, s0, v2, v7
	v_add_co_ci_u32_e64 v3, null, 0, v3, s0
	s_lshl_b64 s[0:1], s[8:9], 4
	v_lshl_or_b32 v7, v4, 3, v5
	v_sub_co_u32 v2, s0, v2, s0
	v_subrev_co_ci_u32_e64 v3, null, s1, v3, s0
	v_lshlrev_b64 v[4:5], 3, v[2:3]
	v_add_co_u32 v2, s0, s6, v10
	v_add_co_ci_u32_e64 v3, null, s7, v11, s0
	v_add_co_u32 v12, s0, v4, 16
	v_add_co_ci_u32_e64 v13, null, 0, v5, s0
	;; [unrolled: 2-line block ×5, first 2 shown]
	s_mov_b32 s4, 0
.LBB94_4:                               ; =>This Inner Loop Header: Depth=1
	v_add_co_u32 v14, s0, v10, v9
	v_add_co_ci_u32_e64 v15, null, v11, v8, s0
	v_add_co_u32 v16, s0, v10, 32
	v_add_co_ci_u32_e64 v17, null, 0, v11, s0
	v_add_co_u32 v18, s0, v10, 64
	global_load_dwordx2 v[20:21], v[2:3], off
	v_add_co_ci_u32_e64 v19, null, 0, v11, s0
	v_add_co_u32 v22, s0, 0x60, v10
	v_add_co_ci_u32_e64 v23, null, 0, v11, s0
	v_add_co_u32 v24, s0, v14, 8
	;; [unrolled: 2-line block ×4, first 2 shown]
	v_add_co_ci_u32_e64 v29, null, 0, v15, s0
	v_cndmask_b32_e32 v13, v11, v15, vcc_lo
	v_cndmask_b32_e32 v12, v10, v14, vcc_lo
	v_cndmask_b32_e32 v15, v17, v25, vcc_lo
	v_cndmask_b32_e32 v14, v16, v24, vcc_lo
	v_cndmask_b32_e32 v17, v19, v27, vcc_lo
	v_cndmask_b32_e32 v16, v18, v26, vcc_lo
	v_cndmask_b32_e32 v19, v23, v29, vcc_lo
	v_cndmask_b32_e32 v18, v22, v28, vcc_lo
	global_load_dwordx2 v[12:13], v[12:13], off
	global_load_dwordx2 v[14:15], v[14:15], off
	;; [unrolled: 1-line block ×4, first 2 shown]
	v_add_co_u32 v0, s0, v0, 64
	v_add_co_ci_u32_e64 v1, null, 0, v1, s0
	v_add_co_u32 v2, s0, 0x200, v2
	v_add_co_ci_u32_e64 v3, null, 0, v3, s0
	;; [unrolled: 2-line block ×3, first 2 shown]
	v_cmp_le_i64_e64 s0, s[2:3], v[0:1]
	s_waitcnt vmcnt(2)
	global_store_dwordx4 v[4:5], v[12:15], off offset:-16
	s_waitcnt vmcnt(0)
	global_store_dwordx4 v[4:5], v[16:19], off
	v_sub_co_u32 v20, s1, v20, s8
	v_subrev_co_ci_u32_e64 v21, null, 0, v21, s1
	s_or_b32 s4, s0, s4
	v_lshlrev_b64 v[20:21], 2, v[20:21]
	v_add_co_u32 v20, s1, v20, s10
	v_add_co_ci_u32_e64 v21, null, 0, v21, s1
	v_add_co_u32 v4, s1, 0x800, v4
	v_add_co_ci_u32_e64 v5, null, 0, v5, s1
	;; [unrolled: 2-line block ×5, first 2 shown]
	global_store_dwordx4 v[6:7], v[20:23], off offset:-16
	global_store_dwordx4 v[6:7], v[12:15], off
	v_add_co_u32 v6, s1, 0x800, v6
	v_add_co_ci_u32_e64 v7, null, 0, v7, s1
	s_andn2_b32 exec_lo, exec_lo, s4
	s_cbranch_execnz .LBB94_4
.LBB94_5:
	s_endpgm
	.section	.rodata,"a",@progbits
	.p2align	6, 0x0
	.amdhsa_kernel _ZN9rocsparseL32bsr2csr_block_per_row_2_7_kernelILj256ELj4ElllEEv20rocsparse_direction_T3_S2_21rocsparse_index_base_PKT1_PKT2_PKS2_S2_S3_PS4_PS7_PS2_
		.amdhsa_group_segment_fixed_size 0
		.amdhsa_private_segment_fixed_size 0
		.amdhsa_kernarg_size 96
		.amdhsa_user_sgpr_count 6
		.amdhsa_user_sgpr_private_segment_buffer 1
		.amdhsa_user_sgpr_dispatch_ptr 0
		.amdhsa_user_sgpr_queue_ptr 0
		.amdhsa_user_sgpr_kernarg_segment_ptr 1
		.amdhsa_user_sgpr_dispatch_id 0
		.amdhsa_user_sgpr_flat_scratch_init 0
		.amdhsa_user_sgpr_private_segment_size 0
		.amdhsa_wavefront_size32 1
		.amdhsa_uses_dynamic_stack 0
		.amdhsa_system_sgpr_private_segment_wavefront_offset 0
		.amdhsa_system_sgpr_workgroup_id_x 1
		.amdhsa_system_sgpr_workgroup_id_y 0
		.amdhsa_system_sgpr_workgroup_id_z 0
		.amdhsa_system_sgpr_workgroup_info 0
		.amdhsa_system_vgpr_workitem_id 0
		.amdhsa_next_free_vgpr 30
		.amdhsa_next_free_sgpr 22
		.amdhsa_reserve_vcc 1
		.amdhsa_reserve_flat_scratch 0
		.amdhsa_float_round_mode_32 0
		.amdhsa_float_round_mode_16_64 0
		.amdhsa_float_denorm_mode_32 3
		.amdhsa_float_denorm_mode_16_64 3
		.amdhsa_dx10_clamp 1
		.amdhsa_ieee_mode 1
		.amdhsa_fp16_overflow 0
		.amdhsa_workgroup_processor_mode 1
		.amdhsa_memory_ordered 1
		.amdhsa_forward_progress 1
		.amdhsa_shared_vgpr_count 0
		.amdhsa_exception_fp_ieee_invalid_op 0
		.amdhsa_exception_fp_denorm_src 0
		.amdhsa_exception_fp_ieee_div_zero 0
		.amdhsa_exception_fp_ieee_overflow 0
		.amdhsa_exception_fp_ieee_underflow 0
		.amdhsa_exception_fp_ieee_inexact 0
		.amdhsa_exception_int_div_zero 0
	.end_amdhsa_kernel
	.section	.text._ZN9rocsparseL32bsr2csr_block_per_row_2_7_kernelILj256ELj4ElllEEv20rocsparse_direction_T3_S2_21rocsparse_index_base_PKT1_PKT2_PKS2_S2_S3_PS4_PS7_PS2_,"axG",@progbits,_ZN9rocsparseL32bsr2csr_block_per_row_2_7_kernelILj256ELj4ElllEEv20rocsparse_direction_T3_S2_21rocsparse_index_base_PKT1_PKT2_PKS2_S2_S3_PS4_PS7_PS2_,comdat
.Lfunc_end94:
	.size	_ZN9rocsparseL32bsr2csr_block_per_row_2_7_kernelILj256ELj4ElllEEv20rocsparse_direction_T3_S2_21rocsparse_index_base_PKT1_PKT2_PKS2_S2_S3_PS4_PS7_PS2_, .Lfunc_end94-_ZN9rocsparseL32bsr2csr_block_per_row_2_7_kernelILj256ELj4ElllEEv20rocsparse_direction_T3_S2_21rocsparse_index_base_PKT1_PKT2_PKS2_S2_S3_PS4_PS7_PS2_
                                        ; -- End function
	.set _ZN9rocsparseL32bsr2csr_block_per_row_2_7_kernelILj256ELj4ElllEEv20rocsparse_direction_T3_S2_21rocsparse_index_base_PKT1_PKT2_PKS2_S2_S3_PS4_PS7_PS2_.num_vgpr, 30
	.set _ZN9rocsparseL32bsr2csr_block_per_row_2_7_kernelILj256ELj4ElllEEv20rocsparse_direction_T3_S2_21rocsparse_index_base_PKT1_PKT2_PKS2_S2_S3_PS4_PS7_PS2_.num_agpr, 0
	.set _ZN9rocsparseL32bsr2csr_block_per_row_2_7_kernelILj256ELj4ElllEEv20rocsparse_direction_T3_S2_21rocsparse_index_base_PKT1_PKT2_PKS2_S2_S3_PS4_PS7_PS2_.numbered_sgpr, 22
	.set _ZN9rocsparseL32bsr2csr_block_per_row_2_7_kernelILj256ELj4ElllEEv20rocsparse_direction_T3_S2_21rocsparse_index_base_PKT1_PKT2_PKS2_S2_S3_PS4_PS7_PS2_.num_named_barrier, 0
	.set _ZN9rocsparseL32bsr2csr_block_per_row_2_7_kernelILj256ELj4ElllEEv20rocsparse_direction_T3_S2_21rocsparse_index_base_PKT1_PKT2_PKS2_S2_S3_PS4_PS7_PS2_.private_seg_size, 0
	.set _ZN9rocsparseL32bsr2csr_block_per_row_2_7_kernelILj256ELj4ElllEEv20rocsparse_direction_T3_S2_21rocsparse_index_base_PKT1_PKT2_PKS2_S2_S3_PS4_PS7_PS2_.uses_vcc, 1
	.set _ZN9rocsparseL32bsr2csr_block_per_row_2_7_kernelILj256ELj4ElllEEv20rocsparse_direction_T3_S2_21rocsparse_index_base_PKT1_PKT2_PKS2_S2_S3_PS4_PS7_PS2_.uses_flat_scratch, 0
	.set _ZN9rocsparseL32bsr2csr_block_per_row_2_7_kernelILj256ELj4ElllEEv20rocsparse_direction_T3_S2_21rocsparse_index_base_PKT1_PKT2_PKS2_S2_S3_PS4_PS7_PS2_.has_dyn_sized_stack, 0
	.set _ZN9rocsparseL32bsr2csr_block_per_row_2_7_kernelILj256ELj4ElllEEv20rocsparse_direction_T3_S2_21rocsparse_index_base_PKT1_PKT2_PKS2_S2_S3_PS4_PS7_PS2_.has_recursion, 0
	.set _ZN9rocsparseL32bsr2csr_block_per_row_2_7_kernelILj256ELj4ElllEEv20rocsparse_direction_T3_S2_21rocsparse_index_base_PKT1_PKT2_PKS2_S2_S3_PS4_PS7_PS2_.has_indirect_call, 0
	.section	.AMDGPU.csdata,"",@progbits
; Kernel info:
; codeLenInByte = 944
; TotalNumSgprs: 24
; NumVgprs: 30
; ScratchSize: 0
; MemoryBound: 0
; FloatMode: 240
; IeeeMode: 1
; LDSByteSize: 0 bytes/workgroup (compile time only)
; SGPRBlocks: 0
; VGPRBlocks: 3
; NumSGPRsForWavesPerEU: 24
; NumVGPRsForWavesPerEU: 30
; Occupancy: 16
; WaveLimiterHint : 0
; COMPUTE_PGM_RSRC2:SCRATCH_EN: 0
; COMPUTE_PGM_RSRC2:USER_SGPR: 6
; COMPUTE_PGM_RSRC2:TRAP_HANDLER: 0
; COMPUTE_PGM_RSRC2:TGID_X_EN: 1
; COMPUTE_PGM_RSRC2:TGID_Y_EN: 0
; COMPUTE_PGM_RSRC2:TGID_Z_EN: 0
; COMPUTE_PGM_RSRC2:TIDIG_COMP_CNT: 0
	.section	.text._ZN9rocsparseL32bsr2csr_block_per_row_2_7_kernelILj256ELj5ElllEEv20rocsparse_direction_T3_S2_21rocsparse_index_base_PKT1_PKT2_PKS2_S2_S3_PS4_PS7_PS2_,"axG",@progbits,_ZN9rocsparseL32bsr2csr_block_per_row_2_7_kernelILj256ELj5ElllEEv20rocsparse_direction_T3_S2_21rocsparse_index_base_PKT1_PKT2_PKS2_S2_S3_PS4_PS7_PS2_,comdat
	.globl	_ZN9rocsparseL32bsr2csr_block_per_row_2_7_kernelILj256ELj5ElllEEv20rocsparse_direction_T3_S2_21rocsparse_index_base_PKT1_PKT2_PKS2_S2_S3_PS4_PS7_PS2_ ; -- Begin function _ZN9rocsparseL32bsr2csr_block_per_row_2_7_kernelILj256ELj5ElllEEv20rocsparse_direction_T3_S2_21rocsparse_index_base_PKT1_PKT2_PKS2_S2_S3_PS4_PS7_PS2_
	.p2align	8
	.type	_ZN9rocsparseL32bsr2csr_block_per_row_2_7_kernelILj256ELj5ElllEEv20rocsparse_direction_T3_S2_21rocsparse_index_base_PKT1_PKT2_PKS2_S2_S3_PS4_PS7_PS2_,@function
_ZN9rocsparseL32bsr2csr_block_per_row_2_7_kernelILj256ELj5ElllEEv20rocsparse_direction_T3_S2_21rocsparse_index_base_PKT1_PKT2_PKS2_S2_S3_PS4_PS7_PS2_: ; @_ZN9rocsparseL32bsr2csr_block_per_row_2_7_kernelILj256ELj5ElllEEv20rocsparse_direction_T3_S2_21rocsparse_index_base_PKT1_PKT2_PKS2_S2_S3_PS4_PS7_PS2_
; %bb.0:
	s_clause 0x2
	s_load_dwordx2 s[0:1], s[4:5], 0x28
	s_load_dword s8, s[4:5], 0x40
	s_load_dwordx2 s[12:13], s[4:5], 0x50
	s_mov_b32 s7, 0
	v_or_b32_e32 v1, s6, v0
	s_lshl_b64 s[2:3], s[6:7], 3
	s_waitcnt lgkmcnt(0)
	s_add_u32 s0, s0, s2
	s_addc_u32 s1, s1, s3
	s_mov_b32 s2, exec_lo
	v_cmpx_eq_u32_e32 0, v1
	s_cbranch_execz .LBB95_2
; %bb.1:
	v_mov_b32_e32 v1, s8
	v_mov_b32_e32 v2, 0
	global_store_dwordx2 v2, v[1:2], s[12:13]
.LBB95_2:
	s_or_b32 exec_lo, exec_lo, s2
	v_and_b32_e32 v4, 7, v0
	s_mov_b32 s2, exec_lo
	v_cmpx_gt_u32_e32 5, v4
	s_cbranch_execz .LBB95_6
; %bb.3:
	s_load_dwordx4 s[0:3], s[0:1], 0x0
	s_load_dword s7, s[4:5], 0x18
	v_lshrrev_b32_e32 v5, 3, v0
	s_mul_i32 s16, s6, 40
	v_lshlrev_b32_e32 v9, 3, v4
	s_waitcnt lgkmcnt(0)
	s_sub_u32 s9, s0, s7
	s_subb_u32 s14, s1, 0
	s_sub_u32 s10, s2, s7
	s_mul_hi_u32 s2, s9, 25
	s_mul_i32 s15, s14, 25
	s_subb_u32 s11, s3, 0
	s_add_i32 s2, s2, s15
	s_sub_u32 s3, s10, s9
	s_subb_u32 s17, s11, s14
	s_mul_i32 s15, s3, 5
	s_mul_hi_u32 s3, s3, 5
	v_mad_u64_u32 v[2:3], null, s15, v4, 0
	s_mul_i32 s17, s17, 5
	s_mul_i32 s18, s9, 25
	s_add_i32 s3, s3, s17
	v_mov_b32_e32 v0, v3
	v_mad_u64_u32 v[6:7], null, s3, v4, v[0:1]
	v_add_co_u32 v0, s9, s9, v5
	v_add_co_ci_u32_e64 v1, null, s14, 0, s9
	s_add_u32 s9, s15, s8
	s_addc_u32 s3, s3, 0
	s_add_u32 s9, s9, s18
	s_addc_u32 s2, s3, s2
	v_add_co_u32 v7, vcc_lo, s9, v2
	v_add_co_ci_u32_e64 v8, null, s2, v6, vcc_lo
	v_cmp_gt_i64_e32 vcc_lo, s[10:11], v[0:1]
	v_mov_b32_e32 v3, v6
	s_mul_hi_u32 s3, s6, 40
	s_add_u32 s2, s12, s16
	s_addc_u32 s3, s13, s3
	s_mov_b32 s9, 0
	global_store_dwordx2 v9, v[7:8], s[2:3] offset:8
	s_and_b32 exec_lo, exec_lo, vcc_lo
	s_cbranch_execz .LBB95_6
; %bb.4:
	v_mad_u64_u32 v[6:7], null, s0, 25, v[2:3]
	s_clause 0x2
	s_load_dwordx2 s[2:3], s[4:5], 0x48
	s_load_dwordx2 s[12:13], s[4:5], 0x20
	s_load_dword s6, s[4:5], 0x0
	v_mul_hi_u32_u24_e32 v10, 40, v4
	v_mul_u32_u24_e32 v11, 40, v4
	v_mov_b32_e32 v2, v7
	v_mad_u64_u32 v[2:3], null, s1, 25, v[2:3]
	s_clause 0x1
	s_load_dwordx2 s[0:1], s[4:5], 0x30
	s_load_dwordx2 s[4:5], s[4:5], 0x58
	v_mov_b32_e32 v7, v2
	s_waitcnt lgkmcnt(0)
	v_mad_u64_u32 v[2:3], null, 0xc8, v0, s[12:13]
	s_mul_i32 s13, s7, 25
	s_mul_hi_u32 s12, s7, 25
	v_mad_u64_u32 v[5:6], null, v5, 5, v[6:7]
	v_lshlrev_b64 v[7:8], 3, v[0:1]
	s_cmp_eq_u32 s6, 0
	v_mad_u64_u32 v[12:13], null, 0xc8, v1, v[3:4]
	v_sub_co_u32 v5, vcc_lo, v5, s13
	v_subrev_co_ci_u32_e64 v6, null, s12, v6, vcc_lo
	v_add_co_u32 v3, vcc_lo, s0, v7
	v_add_co_ci_u32_e64 v4, null, s1, v8, vcc_lo
	v_lshlrev_b64 v[5:6], 3, v[5:6]
	v_add_co_u32 v7, vcc_lo, v5, 16
	v_add_co_ci_u32_e64 v8, null, 0, v6, vcc_lo
	v_add_co_u32 v5, vcc_lo, s2, v7
	v_add_co_ci_u32_e64 v6, null, s3, v8, vcc_lo
	;; [unrolled: 2-line block ×3, first 2 shown]
	s_cselect_b32 vcc_lo, -1, 0
	s_mov_b32 s5, s9
.LBB95_5:                               ; =>This Inner Loop Header: Depth=1
	v_add_co_u32 v15, s0, v2, v9
	v_add_co_ci_u32_e64 v16, null, 0, v12, s0
	v_add_co_u32 v17, s0, v2, v11
	v_add_co_ci_u32_e64 v18, null, v12, v10, s0
	global_load_dwordx2 v[21:22], v[3:4], off
	v_add_co_u32 v19, s0, v17, 8
	v_add_co_ci_u32_e64 v20, null, 0, v18, s0
	v_add_co_u32 v23, s0, v15, 40
	v_add_co_ci_u32_e64 v24, null, 0, v16, s0
	;; [unrolled: 2-line block ×8, first 2 shown]
	v_cndmask_b32_e32 v14, v16, v18, vcc_lo
	v_cndmask_b32_e32 v13, v15, v17, vcc_lo
	;; [unrolled: 1-line block ×10, first 2 shown]
	global_load_dwordx2 v[13:14], v[13:14], off
	global_load_dwordx2 v[15:16], v[15:16], off
	;; [unrolled: 1-line block ×5, first 2 shown]
	v_add_co_u32 v0, s0, v0, 32
	v_add_co_ci_u32_e64 v1, null, 0, v1, s0
	v_add_co_u32 v3, s0, 0x100, v3
	v_add_co_ci_u32_e64 v4, null, 0, v4, s0
	;; [unrolled: 2-line block ×3, first 2 shown]
	v_cmp_le_i64_e64 s0, s[10:11], v[0:1]
	s_waitcnt vmcnt(3)
	global_store_dwordx4 v[5:6], v[13:16], off offset:-16
	s_waitcnt vmcnt(1)
	global_store_dwordx4 v[5:6], v[17:20], off
	s_waitcnt vmcnt(0)
	global_store_dwordx2 v[5:6], v[23:24], off offset:16
	v_sub_co_u32 v21, s1, v21, s7
	v_subrev_co_ci_u32_e64 v25, null, 0, v22, s1
	v_add_co_u32 v5, s1, 0x500, v5
	v_mad_u64_u32 v[21:22], null, v21, 5, s[8:9]
	v_add_co_ci_u32_e64 v6, null, 0, v6, s1
	s_or_b32 s5, s0, s5
	v_mad_u64_u32 v[22:23], null, v25, 5, v[22:23]
	v_add_co_u32 v23, s4, v21, 1
	v_add_co_u32 v13, s1, v21, 2
	;; [unrolled: 1-line block ×4, first 2 shown]
	v_add_co_ci_u32_e64 v24, null, 0, v22, s4
	v_add_co_ci_u32_e64 v14, null, 0, v22, s1
	;; [unrolled: 1-line block ×4, first 2 shown]
	global_store_dwordx4 v[7:8], v[21:24], off offset:-16
	global_store_dwordx4 v[7:8], v[13:16], off
	global_store_dwordx2 v[7:8], v[17:18], off offset:16
	v_add_co_u32 v7, s1, 0x500, v7
	v_add_co_ci_u32_e64 v8, null, 0, v8, s1
	s_andn2_b32 exec_lo, exec_lo, s5
	s_cbranch_execnz .LBB95_5
.LBB95_6:
	s_endpgm
	.section	.rodata,"a",@progbits
	.p2align	6, 0x0
	.amdhsa_kernel _ZN9rocsparseL32bsr2csr_block_per_row_2_7_kernelILj256ELj5ElllEEv20rocsparse_direction_T3_S2_21rocsparse_index_base_PKT1_PKT2_PKS2_S2_S3_PS4_PS7_PS2_
		.amdhsa_group_segment_fixed_size 0
		.amdhsa_private_segment_fixed_size 0
		.amdhsa_kernarg_size 96
		.amdhsa_user_sgpr_count 6
		.amdhsa_user_sgpr_private_segment_buffer 1
		.amdhsa_user_sgpr_dispatch_ptr 0
		.amdhsa_user_sgpr_queue_ptr 0
		.amdhsa_user_sgpr_kernarg_segment_ptr 1
		.amdhsa_user_sgpr_dispatch_id 0
		.amdhsa_user_sgpr_flat_scratch_init 0
		.amdhsa_user_sgpr_private_segment_size 0
		.amdhsa_wavefront_size32 1
		.amdhsa_uses_dynamic_stack 0
		.amdhsa_system_sgpr_private_segment_wavefront_offset 0
		.amdhsa_system_sgpr_workgroup_id_x 1
		.amdhsa_system_sgpr_workgroup_id_y 0
		.amdhsa_system_sgpr_workgroup_id_z 0
		.amdhsa_system_sgpr_workgroup_info 0
		.amdhsa_system_vgpr_workitem_id 0
		.amdhsa_next_free_vgpr 37
		.amdhsa_next_free_sgpr 19
		.amdhsa_reserve_vcc 1
		.amdhsa_reserve_flat_scratch 0
		.amdhsa_float_round_mode_32 0
		.amdhsa_float_round_mode_16_64 0
		.amdhsa_float_denorm_mode_32 3
		.amdhsa_float_denorm_mode_16_64 3
		.amdhsa_dx10_clamp 1
		.amdhsa_ieee_mode 1
		.amdhsa_fp16_overflow 0
		.amdhsa_workgroup_processor_mode 1
		.amdhsa_memory_ordered 1
		.amdhsa_forward_progress 1
		.amdhsa_shared_vgpr_count 0
		.amdhsa_exception_fp_ieee_invalid_op 0
		.amdhsa_exception_fp_denorm_src 0
		.amdhsa_exception_fp_ieee_div_zero 0
		.amdhsa_exception_fp_ieee_overflow 0
		.amdhsa_exception_fp_ieee_underflow 0
		.amdhsa_exception_fp_ieee_inexact 0
		.amdhsa_exception_int_div_zero 0
	.end_amdhsa_kernel
	.section	.text._ZN9rocsparseL32bsr2csr_block_per_row_2_7_kernelILj256ELj5ElllEEv20rocsparse_direction_T3_S2_21rocsparse_index_base_PKT1_PKT2_PKS2_S2_S3_PS4_PS7_PS2_,"axG",@progbits,_ZN9rocsparseL32bsr2csr_block_per_row_2_7_kernelILj256ELj5ElllEEv20rocsparse_direction_T3_S2_21rocsparse_index_base_PKT1_PKT2_PKS2_S2_S3_PS4_PS7_PS2_,comdat
.Lfunc_end95:
	.size	_ZN9rocsparseL32bsr2csr_block_per_row_2_7_kernelILj256ELj5ElllEEv20rocsparse_direction_T3_S2_21rocsparse_index_base_PKT1_PKT2_PKS2_S2_S3_PS4_PS7_PS2_, .Lfunc_end95-_ZN9rocsparseL32bsr2csr_block_per_row_2_7_kernelILj256ELj5ElllEEv20rocsparse_direction_T3_S2_21rocsparse_index_base_PKT1_PKT2_PKS2_S2_S3_PS4_PS7_PS2_
                                        ; -- End function
	.set _ZN9rocsparseL32bsr2csr_block_per_row_2_7_kernelILj256ELj5ElllEEv20rocsparse_direction_T3_S2_21rocsparse_index_base_PKT1_PKT2_PKS2_S2_S3_PS4_PS7_PS2_.num_vgpr, 37
	.set _ZN9rocsparseL32bsr2csr_block_per_row_2_7_kernelILj256ELj5ElllEEv20rocsparse_direction_T3_S2_21rocsparse_index_base_PKT1_PKT2_PKS2_S2_S3_PS4_PS7_PS2_.num_agpr, 0
	.set _ZN9rocsparseL32bsr2csr_block_per_row_2_7_kernelILj256ELj5ElllEEv20rocsparse_direction_T3_S2_21rocsparse_index_base_PKT1_PKT2_PKS2_S2_S3_PS4_PS7_PS2_.numbered_sgpr, 19
	.set _ZN9rocsparseL32bsr2csr_block_per_row_2_7_kernelILj256ELj5ElllEEv20rocsparse_direction_T3_S2_21rocsparse_index_base_PKT1_PKT2_PKS2_S2_S3_PS4_PS7_PS2_.num_named_barrier, 0
	.set _ZN9rocsparseL32bsr2csr_block_per_row_2_7_kernelILj256ELj5ElllEEv20rocsparse_direction_T3_S2_21rocsparse_index_base_PKT1_PKT2_PKS2_S2_S3_PS4_PS7_PS2_.private_seg_size, 0
	.set _ZN9rocsparseL32bsr2csr_block_per_row_2_7_kernelILj256ELj5ElllEEv20rocsparse_direction_T3_S2_21rocsparse_index_base_PKT1_PKT2_PKS2_S2_S3_PS4_PS7_PS2_.uses_vcc, 1
	.set _ZN9rocsparseL32bsr2csr_block_per_row_2_7_kernelILj256ELj5ElllEEv20rocsparse_direction_T3_S2_21rocsparse_index_base_PKT1_PKT2_PKS2_S2_S3_PS4_PS7_PS2_.uses_flat_scratch, 0
	.set _ZN9rocsparseL32bsr2csr_block_per_row_2_7_kernelILj256ELj5ElllEEv20rocsparse_direction_T3_S2_21rocsparse_index_base_PKT1_PKT2_PKS2_S2_S3_PS4_PS7_PS2_.has_dyn_sized_stack, 0
	.set _ZN9rocsparseL32bsr2csr_block_per_row_2_7_kernelILj256ELj5ElllEEv20rocsparse_direction_T3_S2_21rocsparse_index_base_PKT1_PKT2_PKS2_S2_S3_PS4_PS7_PS2_.has_recursion, 0
	.set _ZN9rocsparseL32bsr2csr_block_per_row_2_7_kernelILj256ELj5ElllEEv20rocsparse_direction_T3_S2_21rocsparse_index_base_PKT1_PKT2_PKS2_S2_S3_PS4_PS7_PS2_.has_indirect_call, 0
	.section	.AMDGPU.csdata,"",@progbits
; Kernel info:
; codeLenInByte = 1064
; TotalNumSgprs: 21
; NumVgprs: 37
; ScratchSize: 0
; MemoryBound: 0
; FloatMode: 240
; IeeeMode: 1
; LDSByteSize: 0 bytes/workgroup (compile time only)
; SGPRBlocks: 0
; VGPRBlocks: 4
; NumSGPRsForWavesPerEU: 21
; NumVGPRsForWavesPerEU: 37
; Occupancy: 16
; WaveLimiterHint : 0
; COMPUTE_PGM_RSRC2:SCRATCH_EN: 0
; COMPUTE_PGM_RSRC2:USER_SGPR: 6
; COMPUTE_PGM_RSRC2:TRAP_HANDLER: 0
; COMPUTE_PGM_RSRC2:TGID_X_EN: 1
; COMPUTE_PGM_RSRC2:TGID_Y_EN: 0
; COMPUTE_PGM_RSRC2:TGID_Z_EN: 0
; COMPUTE_PGM_RSRC2:TIDIG_COMP_CNT: 0
	.section	.text._ZN9rocsparseL32bsr2csr_block_per_row_2_7_kernelILj256ELj6ElllEEv20rocsparse_direction_T3_S2_21rocsparse_index_base_PKT1_PKT2_PKS2_S2_S3_PS4_PS7_PS2_,"axG",@progbits,_ZN9rocsparseL32bsr2csr_block_per_row_2_7_kernelILj256ELj6ElllEEv20rocsparse_direction_T3_S2_21rocsparse_index_base_PKT1_PKT2_PKS2_S2_S3_PS4_PS7_PS2_,comdat
	.globl	_ZN9rocsparseL32bsr2csr_block_per_row_2_7_kernelILj256ELj6ElllEEv20rocsparse_direction_T3_S2_21rocsparse_index_base_PKT1_PKT2_PKS2_S2_S3_PS4_PS7_PS2_ ; -- Begin function _ZN9rocsparseL32bsr2csr_block_per_row_2_7_kernelILj256ELj6ElllEEv20rocsparse_direction_T3_S2_21rocsparse_index_base_PKT1_PKT2_PKS2_S2_S3_PS4_PS7_PS2_
	.p2align	8
	.type	_ZN9rocsparseL32bsr2csr_block_per_row_2_7_kernelILj256ELj6ElllEEv20rocsparse_direction_T3_S2_21rocsparse_index_base_PKT1_PKT2_PKS2_S2_S3_PS4_PS7_PS2_,@function
_ZN9rocsparseL32bsr2csr_block_per_row_2_7_kernelILj256ELj6ElllEEv20rocsparse_direction_T3_S2_21rocsparse_index_base_PKT1_PKT2_PKS2_S2_S3_PS4_PS7_PS2_: ; @_ZN9rocsparseL32bsr2csr_block_per_row_2_7_kernelILj256ELj6ElllEEv20rocsparse_direction_T3_S2_21rocsparse_index_base_PKT1_PKT2_PKS2_S2_S3_PS4_PS7_PS2_
; %bb.0:
	s_clause 0x2
	s_load_dwordx2 s[0:1], s[4:5], 0x28
	s_load_dword s8, s[4:5], 0x40
	s_load_dwordx2 s[12:13], s[4:5], 0x50
	s_mov_b32 s7, 0
	v_or_b32_e32 v1, s6, v0
	s_lshl_b64 s[2:3], s[6:7], 3
	s_waitcnt lgkmcnt(0)
	s_add_u32 s0, s0, s2
	s_addc_u32 s1, s1, s3
	s_mov_b32 s2, exec_lo
	v_cmpx_eq_u32_e32 0, v1
	s_cbranch_execz .LBB96_2
; %bb.1:
	v_mov_b32_e32 v1, s8
	v_mov_b32_e32 v2, 0
	global_store_dwordx2 v2, v[1:2], s[12:13]
.LBB96_2:
	s_or_b32 exec_lo, exec_lo, s2
	v_and_b32_e32 v6, 7, v0
	s_mov_b32 s2, exec_lo
	v_cmpx_gt_u32_e32 6, v6
	s_cbranch_execz .LBB96_6
; %bb.3:
	s_load_dwordx4 s[0:3], s[0:1], 0x0
	s_load_dword s7, s[4:5], 0x18
	v_lshrrev_b32_e32 v7, 3, v0
	v_mov_b32_e32 v3, 0
	s_mul_i32 s16, s6, 48
	v_lshlrev_b32_e32 v2, 3, v6
	s_waitcnt lgkmcnt(0)
	s_sub_u32 s9, s0, s7
	s_subb_u32 s14, s1, 0
	s_sub_u32 s10, s2, s7
	s_mul_hi_u32 s2, s9, 36
	s_mul_i32 s15, s14, 36
	s_subb_u32 s11, s3, 0
	s_add_i32 s2, s2, s15
	s_sub_u32 s3, s10, s9
	s_subb_u32 s17, s11, s14
	s_mul_i32 s15, s3, 6
	s_mul_hi_u32 s3, s3, 6
	v_mad_u64_u32 v[4:5], null, s15, v6, 0
	s_mul_i32 s17, s17, 6
	s_mul_i32 s18, s9, 36
	s_add_i32 s3, s3, s17
	v_mov_b32_e32 v0, v5
	v_mad_u64_u32 v[8:9], null, s3, v6, v[0:1]
	v_add_co_u32 v0, s9, s9, v7
	v_add_co_ci_u32_e64 v1, null, s14, 0, s9
	s_add_u32 s9, s15, s8
	s_addc_u32 s3, s3, 0
	s_add_u32 s9, s9, s18
	s_addc_u32 s2, s3, s2
	v_add_co_u32 v9, vcc_lo, s9, v4
	v_add_co_ci_u32_e64 v10, null, s2, v8, vcc_lo
	v_cmp_gt_i64_e32 vcc_lo, s[10:11], v[0:1]
	v_mov_b32_e32 v5, v8
	s_mul_hi_u32 s3, s6, 48
	s_add_u32 s2, s12, s16
	s_addc_u32 s3, s13, s3
	s_mov_b32 s9, 0
	global_store_dwordx2 v2, v[9:10], s[2:3] offset:8
	s_and_b32 exec_lo, exec_lo, vcc_lo
	s_cbranch_execz .LBB96_6
; %bb.4:
	v_mad_u64_u32 v[4:5], null, s0, 36, v[4:5]
	v_mad_u64_u32 v[10:11], null, 0x120, v0, v[2:3]
	s_load_dwordx2 s[12:13], s[4:5], 0x20
	s_mul_i32 s15, s7, 36
	s_mul_hi_u32 s14, s7, 36
	v_mad_u64_u32 v[8:9], null, s1, 36, v[5:6]
	s_clause 0x3
	s_load_dwordx2 s[0:1], s[4:5], 0x30
	s_load_dwordx2 s[2:3], s[4:5], 0x48
	s_load_dword s6, s[4:5], 0x0
	s_load_dwordx2 s[4:5], s[4:5], 0x58
	v_mul_u32_u24_e32 v9, 40, v6
	v_mov_b32_e32 v5, v8
	v_mul_hi_u32_u24_e32 v8, 40, v6
	v_mad_u64_u32 v[2:3], null, v7, 6, v[4:5]
	v_lshlrev_b64 v[5:6], 3, v[0:1]
	v_mov_b32_e32 v4, v11
	v_mad_u64_u32 v[11:12], null, 0x120, v1, v[4:5]
	v_sub_co_u32 v2, vcc_lo, v2, s15
	v_subrev_co_ci_u32_e64 v3, null, s14, v3, vcc_lo
	s_waitcnt lgkmcnt(0)
	s_cmp_eq_u32 s6, 0
	s_mov_b32 s6, s9
	v_lshlrev_b64 v[12:13], 3, v[2:3]
	v_add_co_u32 v2, vcc_lo, s0, v5
	v_add_co_ci_u32_e64 v3, null, s1, v6, vcc_lo
	v_add_co_u32 v6, vcc_lo, v12, 24
	v_add_co_ci_u32_e64 v7, null, 0, v13, vcc_lo
	;; [unrolled: 2-line block ×5, first 2 shown]
	s_cselect_b32 vcc_lo, -1, 0
.LBB96_5:                               ; =>This Inner Loop Header: Depth=1
	v_add_co_u32 v14, s0, v10, v9
	v_add_co_ci_u32_e64 v15, null, v11, v8, s0
	v_add_co_u32 v16, s0, v10, 48
	v_add_co_ci_u32_e64 v17, null, 0, v11, s0
	;; [unrolled: 2-line block ×4, first 2 shown]
	v_add_co_u32 v22, s0, 0xc0, v10
	global_load_dwordx2 v[24:25], v[2:3], off
	v_add_co_ci_u32_e64 v23, null, 0, v11, s0
	v_add_co_u32 v26, s0, 0xf0, v10
	v_add_co_ci_u32_e64 v27, null, 0, v11, s0
	v_add_co_u32 v28, s0, v14, 8
	;; [unrolled: 2-line block ×6, first 2 shown]
	v_add_co_ci_u32_e64 v37, null, 0, v15, s0
	v_cndmask_b32_e32 v13, v11, v15, vcc_lo
	v_cndmask_b32_e32 v12, v10, v14, vcc_lo
	v_cndmask_b32_e32 v15, v17, v29, vcc_lo
	v_cndmask_b32_e32 v14, v16, v28, vcc_lo
	v_cndmask_b32_e32 v17, v19, v31, vcc_lo
	v_cndmask_b32_e32 v16, v18, v30, vcc_lo
	v_cndmask_b32_e32 v19, v21, v33, vcc_lo
	v_cndmask_b32_e32 v18, v20, v32, vcc_lo
	v_cndmask_b32_e32 v21, v23, v35, vcc_lo
	v_cndmask_b32_e32 v20, v22, v34, vcc_lo
	v_cndmask_b32_e32 v23, v27, v37, vcc_lo
	v_cndmask_b32_e32 v22, v26, v36, vcc_lo
	global_load_dwordx2 v[12:13], v[12:13], off
	global_load_dwordx2 v[14:15], v[14:15], off
	;; [unrolled: 1-line block ×6, first 2 shown]
	v_add_co_u32 v0, s0, v0, 32
	v_add_co_ci_u32_e64 v1, null, 0, v1, s0
	v_add_co_u32 v2, s0, 0x100, v2
	v_add_co_ci_u32_e64 v3, null, 0, v3, s0
	v_add_co_u32 v10, s0, 0x2400, v10
	v_add_co_ci_u32_e64 v11, null, 0, v11, s0
	v_cmp_le_i64_e64 s0, s[10:11], v[0:1]
	s_waitcnt vmcnt(4)
	global_store_dwordx4 v[4:5], v[12:15], off offset:-24
	s_waitcnt vmcnt(2)
	global_store_dwordx4 v[4:5], v[16:19], off offset:-8
	s_waitcnt vmcnt(0)
	global_store_dwordx4 v[4:5], v[20:23], off offset:8
	v_sub_co_u32 v24, s1, v24, s7
	v_subrev_co_ci_u32_e64 v26, null, 0, v25, s1
	v_add_co_u32 v4, s1, 0x600, v4
	v_mad_u64_u32 v[24:25], null, v24, 6, s[8:9]
	v_add_co_ci_u32_e64 v5, null, 0, v5, s1
	s_or_b32 s6, s0, s6
	v_mad_u64_u32 v[25:26], null, v26, 6, v[25:26]
	v_add_co_u32 v26, s5, v24, 1
	v_add_co_u32 v12, s1, v24, 2
	v_add_co_u32 v14, s2, v24, 3
	v_add_co_u32 v16, s3, v24, 4
	v_add_co_u32 v18, s4, v24, 5
	v_add_co_ci_u32_e64 v27, null, 0, v25, s5
	v_add_co_ci_u32_e64 v13, null, 0, v25, s1
	;; [unrolled: 1-line block ×5, first 2 shown]
	global_store_dwordx4 v[6:7], v[24:27], off offset:-24
	global_store_dwordx4 v[6:7], v[12:15], off offset:-8
	global_store_dwordx4 v[6:7], v[16:19], off offset:8
	v_add_co_u32 v6, s1, 0x600, v6
	v_add_co_ci_u32_e64 v7, null, 0, v7, s1
	s_andn2_b32 exec_lo, exec_lo, s6
	s_cbranch_execnz .LBB96_5
.LBB96_6:
	s_endpgm
	.section	.rodata,"a",@progbits
	.p2align	6, 0x0
	.amdhsa_kernel _ZN9rocsparseL32bsr2csr_block_per_row_2_7_kernelILj256ELj6ElllEEv20rocsparse_direction_T3_S2_21rocsparse_index_base_PKT1_PKT2_PKS2_S2_S3_PS4_PS7_PS2_
		.amdhsa_group_segment_fixed_size 0
		.amdhsa_private_segment_fixed_size 0
		.amdhsa_kernarg_size 96
		.amdhsa_user_sgpr_count 6
		.amdhsa_user_sgpr_private_segment_buffer 1
		.amdhsa_user_sgpr_dispatch_ptr 0
		.amdhsa_user_sgpr_queue_ptr 0
		.amdhsa_user_sgpr_kernarg_segment_ptr 1
		.amdhsa_user_sgpr_dispatch_id 0
		.amdhsa_user_sgpr_flat_scratch_init 0
		.amdhsa_user_sgpr_private_segment_size 0
		.amdhsa_wavefront_size32 1
		.amdhsa_uses_dynamic_stack 0
		.amdhsa_system_sgpr_private_segment_wavefront_offset 0
		.amdhsa_system_sgpr_workgroup_id_x 1
		.amdhsa_system_sgpr_workgroup_id_y 0
		.amdhsa_system_sgpr_workgroup_id_z 0
		.amdhsa_system_sgpr_workgroup_info 0
		.amdhsa_system_vgpr_workitem_id 0
		.amdhsa_next_free_vgpr 38
		.amdhsa_next_free_sgpr 19
		.amdhsa_reserve_vcc 1
		.amdhsa_reserve_flat_scratch 0
		.amdhsa_float_round_mode_32 0
		.amdhsa_float_round_mode_16_64 0
		.amdhsa_float_denorm_mode_32 3
		.amdhsa_float_denorm_mode_16_64 3
		.amdhsa_dx10_clamp 1
		.amdhsa_ieee_mode 1
		.amdhsa_fp16_overflow 0
		.amdhsa_workgroup_processor_mode 1
		.amdhsa_memory_ordered 1
		.amdhsa_forward_progress 1
		.amdhsa_shared_vgpr_count 0
		.amdhsa_exception_fp_ieee_invalid_op 0
		.amdhsa_exception_fp_denorm_src 0
		.amdhsa_exception_fp_ieee_div_zero 0
		.amdhsa_exception_fp_ieee_overflow 0
		.amdhsa_exception_fp_ieee_underflow 0
		.amdhsa_exception_fp_ieee_inexact 0
		.amdhsa_exception_int_div_zero 0
	.end_amdhsa_kernel
	.section	.text._ZN9rocsparseL32bsr2csr_block_per_row_2_7_kernelILj256ELj6ElllEEv20rocsparse_direction_T3_S2_21rocsparse_index_base_PKT1_PKT2_PKS2_S2_S3_PS4_PS7_PS2_,"axG",@progbits,_ZN9rocsparseL32bsr2csr_block_per_row_2_7_kernelILj256ELj6ElllEEv20rocsparse_direction_T3_S2_21rocsparse_index_base_PKT1_PKT2_PKS2_S2_S3_PS4_PS7_PS2_,comdat
.Lfunc_end96:
	.size	_ZN9rocsparseL32bsr2csr_block_per_row_2_7_kernelILj256ELj6ElllEEv20rocsparse_direction_T3_S2_21rocsparse_index_base_PKT1_PKT2_PKS2_S2_S3_PS4_PS7_PS2_, .Lfunc_end96-_ZN9rocsparseL32bsr2csr_block_per_row_2_7_kernelILj256ELj6ElllEEv20rocsparse_direction_T3_S2_21rocsparse_index_base_PKT1_PKT2_PKS2_S2_S3_PS4_PS7_PS2_
                                        ; -- End function
	.set _ZN9rocsparseL32bsr2csr_block_per_row_2_7_kernelILj256ELj6ElllEEv20rocsparse_direction_T3_S2_21rocsparse_index_base_PKT1_PKT2_PKS2_S2_S3_PS4_PS7_PS2_.num_vgpr, 38
	.set _ZN9rocsparseL32bsr2csr_block_per_row_2_7_kernelILj256ELj6ElllEEv20rocsparse_direction_T3_S2_21rocsparse_index_base_PKT1_PKT2_PKS2_S2_S3_PS4_PS7_PS2_.num_agpr, 0
	.set _ZN9rocsparseL32bsr2csr_block_per_row_2_7_kernelILj256ELj6ElllEEv20rocsparse_direction_T3_S2_21rocsparse_index_base_PKT1_PKT2_PKS2_S2_S3_PS4_PS7_PS2_.numbered_sgpr, 19
	.set _ZN9rocsparseL32bsr2csr_block_per_row_2_7_kernelILj256ELj6ElllEEv20rocsparse_direction_T3_S2_21rocsparse_index_base_PKT1_PKT2_PKS2_S2_S3_PS4_PS7_PS2_.num_named_barrier, 0
	.set _ZN9rocsparseL32bsr2csr_block_per_row_2_7_kernelILj256ELj6ElllEEv20rocsparse_direction_T3_S2_21rocsparse_index_base_PKT1_PKT2_PKS2_S2_S3_PS4_PS7_PS2_.private_seg_size, 0
	.set _ZN9rocsparseL32bsr2csr_block_per_row_2_7_kernelILj256ELj6ElllEEv20rocsparse_direction_T3_S2_21rocsparse_index_base_PKT1_PKT2_PKS2_S2_S3_PS4_PS7_PS2_.uses_vcc, 1
	.set _ZN9rocsparseL32bsr2csr_block_per_row_2_7_kernelILj256ELj6ElllEEv20rocsparse_direction_T3_S2_21rocsparse_index_base_PKT1_PKT2_PKS2_S2_S3_PS4_PS7_PS2_.uses_flat_scratch, 0
	.set _ZN9rocsparseL32bsr2csr_block_per_row_2_7_kernelILj256ELj6ElllEEv20rocsparse_direction_T3_S2_21rocsparse_index_base_PKT1_PKT2_PKS2_S2_S3_PS4_PS7_PS2_.has_dyn_sized_stack, 0
	.set _ZN9rocsparseL32bsr2csr_block_per_row_2_7_kernelILj256ELj6ElllEEv20rocsparse_direction_T3_S2_21rocsparse_index_base_PKT1_PKT2_PKS2_S2_S3_PS4_PS7_PS2_.has_recursion, 0
	.set _ZN9rocsparseL32bsr2csr_block_per_row_2_7_kernelILj256ELj6ElllEEv20rocsparse_direction_T3_S2_21rocsparse_index_base_PKT1_PKT2_PKS2_S2_S3_PS4_PS7_PS2_.has_indirect_call, 0
	.section	.AMDGPU.csdata,"",@progbits
; Kernel info:
; codeLenInByte = 1132
; TotalNumSgprs: 21
; NumVgprs: 38
; ScratchSize: 0
; MemoryBound: 0
; FloatMode: 240
; IeeeMode: 1
; LDSByteSize: 0 bytes/workgroup (compile time only)
; SGPRBlocks: 0
; VGPRBlocks: 4
; NumSGPRsForWavesPerEU: 21
; NumVGPRsForWavesPerEU: 38
; Occupancy: 16
; WaveLimiterHint : 0
; COMPUTE_PGM_RSRC2:SCRATCH_EN: 0
; COMPUTE_PGM_RSRC2:USER_SGPR: 6
; COMPUTE_PGM_RSRC2:TRAP_HANDLER: 0
; COMPUTE_PGM_RSRC2:TGID_X_EN: 1
; COMPUTE_PGM_RSRC2:TGID_Y_EN: 0
; COMPUTE_PGM_RSRC2:TGID_Z_EN: 0
; COMPUTE_PGM_RSRC2:TIDIG_COMP_CNT: 0
	.section	.text._ZN9rocsparseL32bsr2csr_block_per_row_2_7_kernelILj256ELj7ElllEEv20rocsparse_direction_T3_S2_21rocsparse_index_base_PKT1_PKT2_PKS2_S2_S3_PS4_PS7_PS2_,"axG",@progbits,_ZN9rocsparseL32bsr2csr_block_per_row_2_7_kernelILj256ELj7ElllEEv20rocsparse_direction_T3_S2_21rocsparse_index_base_PKT1_PKT2_PKS2_S2_S3_PS4_PS7_PS2_,comdat
	.globl	_ZN9rocsparseL32bsr2csr_block_per_row_2_7_kernelILj256ELj7ElllEEv20rocsparse_direction_T3_S2_21rocsparse_index_base_PKT1_PKT2_PKS2_S2_S3_PS4_PS7_PS2_ ; -- Begin function _ZN9rocsparseL32bsr2csr_block_per_row_2_7_kernelILj256ELj7ElllEEv20rocsparse_direction_T3_S2_21rocsparse_index_base_PKT1_PKT2_PKS2_S2_S3_PS4_PS7_PS2_
	.p2align	8
	.type	_ZN9rocsparseL32bsr2csr_block_per_row_2_7_kernelILj256ELj7ElllEEv20rocsparse_direction_T3_S2_21rocsparse_index_base_PKT1_PKT2_PKS2_S2_S3_PS4_PS7_PS2_,@function
_ZN9rocsparseL32bsr2csr_block_per_row_2_7_kernelILj256ELj7ElllEEv20rocsparse_direction_T3_S2_21rocsparse_index_base_PKT1_PKT2_PKS2_S2_S3_PS4_PS7_PS2_: ; @_ZN9rocsparseL32bsr2csr_block_per_row_2_7_kernelILj256ELj7ElllEEv20rocsparse_direction_T3_S2_21rocsparse_index_base_PKT1_PKT2_PKS2_S2_S3_PS4_PS7_PS2_
; %bb.0:
	s_clause 0x2
	s_load_dwordx2 s[0:1], s[4:5], 0x28
	s_load_dword s8, s[4:5], 0x40
	s_load_dwordx2 s[12:13], s[4:5], 0x50
	s_mov_b32 s7, 0
	v_or_b32_e32 v1, s6, v0
	s_lshl_b64 s[2:3], s[6:7], 3
	s_waitcnt lgkmcnt(0)
	s_add_u32 s0, s0, s2
	s_addc_u32 s1, s1, s3
	s_mov_b32 s2, exec_lo
	v_cmpx_eq_u32_e32 0, v1
	s_cbranch_execz .LBB97_2
; %bb.1:
	v_mov_b32_e32 v1, s8
	v_mov_b32_e32 v2, 0
	global_store_dwordx2 v2, v[1:2], s[12:13]
.LBB97_2:
	s_or_b32 exec_lo, exec_lo, s2
	v_and_b32_e32 v6, 7, v0
	s_mov_b32 s2, exec_lo
	v_cmpx_ne_u32_e32 7, v6
	s_cbranch_execz .LBB97_6
; %bb.3:
	s_load_dwordx4 s[0:3], s[0:1], 0x0
	s_load_dword s7, s[4:5], 0x18
	v_lshrrev_b32_e32 v7, 3, v0
	v_mov_b32_e32 v3, 0
	s_mul_i32 s16, s6, 56
	v_lshlrev_b32_e32 v2, 3, v6
	s_waitcnt lgkmcnt(0)
	s_sub_u32 s9, s0, s7
	s_subb_u32 s14, s1, 0
	s_sub_u32 s10, s2, s7
	s_mul_hi_u32 s2, s9, 49
	s_mul_i32 s15, s14, 49
	s_subb_u32 s11, s3, 0
	s_add_i32 s2, s2, s15
	s_sub_u32 s3, s10, s9
	s_subb_u32 s17, s11, s14
	s_mul_i32 s15, s3, 7
	s_mul_hi_u32 s3, s3, 7
	v_mad_u64_u32 v[4:5], null, s15, v6, 0
	s_mul_i32 s17, s17, 7
	s_mul_i32 s18, s9, 49
	s_add_i32 s3, s3, s17
	v_mov_b32_e32 v0, v5
	v_mad_u64_u32 v[8:9], null, s3, v6, v[0:1]
	v_add_co_u32 v0, s9, s9, v7
	v_add_co_ci_u32_e64 v1, null, s14, 0, s9
	s_add_u32 s9, s15, s8
	s_addc_u32 s3, s3, 0
	s_add_u32 s9, s9, s18
	s_addc_u32 s2, s3, s2
	v_add_co_u32 v9, vcc_lo, s9, v4
	v_add_co_ci_u32_e64 v10, null, s2, v8, vcc_lo
	v_cmp_gt_i64_e32 vcc_lo, s[10:11], v[0:1]
	v_mov_b32_e32 v5, v8
	s_mul_hi_u32 s3, s6, 56
	s_add_u32 s2, s12, s16
	s_addc_u32 s3, s13, s3
	s_mov_b32 s9, 0
	global_store_dwordx2 v2, v[9:10], s[2:3] offset:8
	s_and_b32 exec_lo, exec_lo, vcc_lo
	s_cbranch_execz .LBB97_6
; %bb.4:
	v_mad_u64_u32 v[4:5], null, s0, 49, v[4:5]
	v_mad_u64_u32 v[10:11], null, 0x188, v0, v[2:3]
	s_load_dwordx2 s[12:13], s[4:5], 0x20
	s_mul_i32 s15, s7, 49
	s_mul_hi_u32 s14, s7, 49
	v_mad_u64_u32 v[8:9], null, s1, 49, v[5:6]
	s_clause 0x3
	s_load_dwordx2 s[0:1], s[4:5], 0x30
	s_load_dwordx2 s[2:3], s[4:5], 0x48
	s_load_dword s6, s[4:5], 0x0
	s_load_dwordx2 s[4:5], s[4:5], 0x58
	v_mul_u32_u24_e32 v9, 48, v6
	v_mov_b32_e32 v5, v8
	v_mul_hi_u32_u24_e32 v8, 48, v6
	v_mad_u64_u32 v[2:3], null, v7, 7, v[4:5]
	v_lshlrev_b64 v[5:6], 3, v[0:1]
	v_mov_b32_e32 v4, v11
	v_mad_u64_u32 v[11:12], null, 0x188, v1, v[4:5]
	v_sub_co_u32 v2, vcc_lo, v2, s15
	v_subrev_co_ci_u32_e64 v3, null, s14, v3, vcc_lo
	s_waitcnt lgkmcnt(0)
	s_cmp_eq_u32 s6, 0
	v_lshlrev_b64 v[12:13], 3, v[2:3]
	v_add_co_u32 v2, vcc_lo, s0, v5
	v_add_co_ci_u32_e64 v3, null, s1, v6, vcc_lo
	v_add_co_u32 v6, vcc_lo, v12, 24
	v_add_co_ci_u32_e64 v7, null, 0, v13, vcc_lo
	;; [unrolled: 2-line block ×5, first 2 shown]
	s_cselect_b32 vcc_lo, -1, 0
	s_mov_b32 s12, s9
.LBB97_5:                               ; =>This Inner Loop Header: Depth=1
	v_add_co_u32 v14, s0, v10, v9
	v_add_co_ci_u32_e64 v15, null, v11, v8, s0
	v_add_co_u32 v16, s0, v10, 56
	v_add_co_ci_u32_e64 v17, null, 0, v11, s0
	;; [unrolled: 2-line block ×9, first 2 shown]
	v_add_co_u32 v34, s0, v14, 24
	global_load_dwordx2 v[24:25], v[2:3], off
	v_add_co_ci_u32_e64 v35, null, 0, v15, s0
	v_add_co_u32 v36, s0, v14, 32
	v_add_co_ci_u32_e64 v37, null, 0, v15, s0
	v_add_co_u32 v38, s0, v14, 40
	;; [unrolled: 2-line block ×3, first 2 shown]
	v_add_co_ci_u32_e64 v41, null, 0, v15, s0
	v_cndmask_b32_e32 v13, v11, v15, vcc_lo
	v_cndmask_b32_e32 v12, v10, v14, vcc_lo
	;; [unrolled: 1-line block ×14, first 2 shown]
	global_load_dwordx2 v[12:13], v[12:13], off
	global_load_dwordx2 v[14:15], v[14:15], off
	;; [unrolled: 1-line block ×7, first 2 shown]
	v_add_co_u32 v0, s0, v0, 32
	v_add_co_ci_u32_e64 v1, null, 0, v1, s0
	v_add_co_u32 v2, s0, 0x100, v2
	v_add_co_ci_u32_e64 v3, null, 0, v3, s0
	;; [unrolled: 2-line block ×3, first 2 shown]
	v_cmp_le_i64_e64 s0, s[10:11], v[0:1]
	s_waitcnt vmcnt(5)
	global_store_dwordx4 v[4:5], v[12:15], off offset:-24
	s_waitcnt vmcnt(3)
	global_store_dwordx4 v[4:5], v[16:19], off offset:-8
	s_waitcnt vmcnt(1)
	global_store_dwordx4 v[4:5], v[20:23], off offset:8
	s_waitcnt vmcnt(0)
	global_store_dwordx2 v[4:5], v[26:27], off offset:24
	v_sub_co_u32 v24, s1, v24, s7
	v_subrev_co_ci_u32_e64 v28, null, 0, v25, s1
	v_add_co_u32 v4, s1, 0x700, v4
	v_mad_u64_u32 v[24:25], null, v24, 7, s[8:9]
	v_add_co_ci_u32_e64 v5, null, 0, v5, s1
	s_or_b32 s12, s0, s12
	v_mad_u64_u32 v[25:26], null, v28, 7, v[25:26]
	v_add_co_u32 v26, s6, v24, 1
	v_add_co_u32 v12, s1, v24, 2
	;; [unrolled: 1-line block ×5, first 2 shown]
	v_add_co_ci_u32_e64 v27, null, 0, v25, s6
	v_add_co_u32 v20, s5, v24, 6
	v_add_co_ci_u32_e64 v13, null, 0, v25, s1
	v_add_co_ci_u32_e64 v15, null, 0, v25, s2
	;; [unrolled: 1-line block ×5, first 2 shown]
	global_store_dwordx4 v[6:7], v[24:27], off offset:-24
	global_store_dwordx4 v[6:7], v[12:15], off offset:-8
	global_store_dwordx4 v[6:7], v[16:19], off offset:8
	global_store_dwordx2 v[6:7], v[20:21], off offset:24
	v_add_co_u32 v6, s1, 0x700, v6
	v_add_co_ci_u32_e64 v7, null, 0, v7, s1
	s_andn2_b32 exec_lo, exec_lo, s12
	s_cbranch_execnz .LBB97_5
.LBB97_6:
	s_endpgm
	.section	.rodata,"a",@progbits
	.p2align	6, 0x0
	.amdhsa_kernel _ZN9rocsparseL32bsr2csr_block_per_row_2_7_kernelILj256ELj7ElllEEv20rocsparse_direction_T3_S2_21rocsparse_index_base_PKT1_PKT2_PKS2_S2_S3_PS4_PS7_PS2_
		.amdhsa_group_segment_fixed_size 0
		.amdhsa_private_segment_fixed_size 0
		.amdhsa_kernarg_size 96
		.amdhsa_user_sgpr_count 6
		.amdhsa_user_sgpr_private_segment_buffer 1
		.amdhsa_user_sgpr_dispatch_ptr 0
		.amdhsa_user_sgpr_queue_ptr 0
		.amdhsa_user_sgpr_kernarg_segment_ptr 1
		.amdhsa_user_sgpr_dispatch_id 0
		.amdhsa_user_sgpr_flat_scratch_init 0
		.amdhsa_user_sgpr_private_segment_size 0
		.amdhsa_wavefront_size32 1
		.amdhsa_uses_dynamic_stack 0
		.amdhsa_system_sgpr_private_segment_wavefront_offset 0
		.amdhsa_system_sgpr_workgroup_id_x 1
		.amdhsa_system_sgpr_workgroup_id_y 0
		.amdhsa_system_sgpr_workgroup_id_z 0
		.amdhsa_system_sgpr_workgroup_info 0
		.amdhsa_system_vgpr_workitem_id 0
		.amdhsa_next_free_vgpr 42
		.amdhsa_next_free_sgpr 19
		.amdhsa_reserve_vcc 1
		.amdhsa_reserve_flat_scratch 0
		.amdhsa_float_round_mode_32 0
		.amdhsa_float_round_mode_16_64 0
		.amdhsa_float_denorm_mode_32 3
		.amdhsa_float_denorm_mode_16_64 3
		.amdhsa_dx10_clamp 1
		.amdhsa_ieee_mode 1
		.amdhsa_fp16_overflow 0
		.amdhsa_workgroup_processor_mode 1
		.amdhsa_memory_ordered 1
		.amdhsa_forward_progress 1
		.amdhsa_shared_vgpr_count 0
		.amdhsa_exception_fp_ieee_invalid_op 0
		.amdhsa_exception_fp_denorm_src 0
		.amdhsa_exception_fp_ieee_div_zero 0
		.amdhsa_exception_fp_ieee_overflow 0
		.amdhsa_exception_fp_ieee_underflow 0
		.amdhsa_exception_fp_ieee_inexact 0
		.amdhsa_exception_int_div_zero 0
	.end_amdhsa_kernel
	.section	.text._ZN9rocsparseL32bsr2csr_block_per_row_2_7_kernelILj256ELj7ElllEEv20rocsparse_direction_T3_S2_21rocsparse_index_base_PKT1_PKT2_PKS2_S2_S3_PS4_PS7_PS2_,"axG",@progbits,_ZN9rocsparseL32bsr2csr_block_per_row_2_7_kernelILj256ELj7ElllEEv20rocsparse_direction_T3_S2_21rocsparse_index_base_PKT1_PKT2_PKS2_S2_S3_PS4_PS7_PS2_,comdat
.Lfunc_end97:
	.size	_ZN9rocsparseL32bsr2csr_block_per_row_2_7_kernelILj256ELj7ElllEEv20rocsparse_direction_T3_S2_21rocsparse_index_base_PKT1_PKT2_PKS2_S2_S3_PS4_PS7_PS2_, .Lfunc_end97-_ZN9rocsparseL32bsr2csr_block_per_row_2_7_kernelILj256ELj7ElllEEv20rocsparse_direction_T3_S2_21rocsparse_index_base_PKT1_PKT2_PKS2_S2_S3_PS4_PS7_PS2_
                                        ; -- End function
	.set _ZN9rocsparseL32bsr2csr_block_per_row_2_7_kernelILj256ELj7ElllEEv20rocsparse_direction_T3_S2_21rocsparse_index_base_PKT1_PKT2_PKS2_S2_S3_PS4_PS7_PS2_.num_vgpr, 42
	.set _ZN9rocsparseL32bsr2csr_block_per_row_2_7_kernelILj256ELj7ElllEEv20rocsparse_direction_T3_S2_21rocsparse_index_base_PKT1_PKT2_PKS2_S2_S3_PS4_PS7_PS2_.num_agpr, 0
	.set _ZN9rocsparseL32bsr2csr_block_per_row_2_7_kernelILj256ELj7ElllEEv20rocsparse_direction_T3_S2_21rocsparse_index_base_PKT1_PKT2_PKS2_S2_S3_PS4_PS7_PS2_.numbered_sgpr, 19
	.set _ZN9rocsparseL32bsr2csr_block_per_row_2_7_kernelILj256ELj7ElllEEv20rocsparse_direction_T3_S2_21rocsparse_index_base_PKT1_PKT2_PKS2_S2_S3_PS4_PS7_PS2_.num_named_barrier, 0
	.set _ZN9rocsparseL32bsr2csr_block_per_row_2_7_kernelILj256ELj7ElllEEv20rocsparse_direction_T3_S2_21rocsparse_index_base_PKT1_PKT2_PKS2_S2_S3_PS4_PS7_PS2_.private_seg_size, 0
	.set _ZN9rocsparseL32bsr2csr_block_per_row_2_7_kernelILj256ELj7ElllEEv20rocsparse_direction_T3_S2_21rocsparse_index_base_PKT1_PKT2_PKS2_S2_S3_PS4_PS7_PS2_.uses_vcc, 1
	.set _ZN9rocsparseL32bsr2csr_block_per_row_2_7_kernelILj256ELj7ElllEEv20rocsparse_direction_T3_S2_21rocsparse_index_base_PKT1_PKT2_PKS2_S2_S3_PS4_PS7_PS2_.uses_flat_scratch, 0
	.set _ZN9rocsparseL32bsr2csr_block_per_row_2_7_kernelILj256ELj7ElllEEv20rocsparse_direction_T3_S2_21rocsparse_index_base_PKT1_PKT2_PKS2_S2_S3_PS4_PS7_PS2_.has_dyn_sized_stack, 0
	.set _ZN9rocsparseL32bsr2csr_block_per_row_2_7_kernelILj256ELj7ElllEEv20rocsparse_direction_T3_S2_21rocsparse_index_base_PKT1_PKT2_PKS2_S2_S3_PS4_PS7_PS2_.has_recursion, 0
	.set _ZN9rocsparseL32bsr2csr_block_per_row_2_7_kernelILj256ELj7ElllEEv20rocsparse_direction_T3_S2_21rocsparse_index_base_PKT1_PKT2_PKS2_S2_S3_PS4_PS7_PS2_.has_indirect_call, 0
	.section	.AMDGPU.csdata,"",@progbits
; Kernel info:
; codeLenInByte = 1220
; TotalNumSgprs: 21
; NumVgprs: 42
; ScratchSize: 0
; MemoryBound: 0
; FloatMode: 240
; IeeeMode: 1
; LDSByteSize: 0 bytes/workgroup (compile time only)
; SGPRBlocks: 0
; VGPRBlocks: 5
; NumSGPRsForWavesPerEU: 21
; NumVGPRsForWavesPerEU: 42
; Occupancy: 16
; WaveLimiterHint : 0
; COMPUTE_PGM_RSRC2:SCRATCH_EN: 0
; COMPUTE_PGM_RSRC2:USER_SGPR: 6
; COMPUTE_PGM_RSRC2:TRAP_HANDLER: 0
; COMPUTE_PGM_RSRC2:TGID_X_EN: 1
; COMPUTE_PGM_RSRC2:TGID_Y_EN: 0
; COMPUTE_PGM_RSRC2:TGID_Z_EN: 0
; COMPUTE_PGM_RSRC2:TIDIG_COMP_CNT: 0
	.section	.text._ZN9rocsparseL33bsr2csr_block_per_row_8_32_kernelILj1024ELj8ElllEEv20rocsparse_direction_T3_S2_21rocsparse_index_base_PKT1_PKT2_PKS2_S2_S3_PS4_PS7_PS2_,"axG",@progbits,_ZN9rocsparseL33bsr2csr_block_per_row_8_32_kernelILj1024ELj8ElllEEv20rocsparse_direction_T3_S2_21rocsparse_index_base_PKT1_PKT2_PKS2_S2_S3_PS4_PS7_PS2_,comdat
	.globl	_ZN9rocsparseL33bsr2csr_block_per_row_8_32_kernelILj1024ELj8ElllEEv20rocsparse_direction_T3_S2_21rocsparse_index_base_PKT1_PKT2_PKS2_S2_S3_PS4_PS7_PS2_ ; -- Begin function _ZN9rocsparseL33bsr2csr_block_per_row_8_32_kernelILj1024ELj8ElllEEv20rocsparse_direction_T3_S2_21rocsparse_index_base_PKT1_PKT2_PKS2_S2_S3_PS4_PS7_PS2_
	.p2align	8
	.type	_ZN9rocsparseL33bsr2csr_block_per_row_8_32_kernelILj1024ELj8ElllEEv20rocsparse_direction_T3_S2_21rocsparse_index_base_PKT1_PKT2_PKS2_S2_S3_PS4_PS7_PS2_,@function
_ZN9rocsparseL33bsr2csr_block_per_row_8_32_kernelILj1024ELj8ElllEEv20rocsparse_direction_T3_S2_21rocsparse_index_base_PKT1_PKT2_PKS2_S2_S3_PS4_PS7_PS2_: ; @_ZN9rocsparseL33bsr2csr_block_per_row_8_32_kernelILj1024ELj8ElllEEv20rocsparse_direction_T3_S2_21rocsparse_index_base_PKT1_PKT2_PKS2_S2_S3_PS4_PS7_PS2_
; %bb.0:
	s_clause 0x2
	s_load_dwordx2 s[0:1], s[4:5], 0x28
	s_load_dword s12, s[4:5], 0x40
	s_load_dwordx2 s[10:11], s[4:5], 0x50
	s_mov_b32 s7, 0
	v_or_b32_e32 v1, s6, v0
	s_lshl_b64 s[2:3], s[6:7], 3
	s_waitcnt lgkmcnt(0)
	s_add_u32 s8, s0, s2
	s_addc_u32 s9, s1, s3
	s_mov_b32 s0, exec_lo
	v_cmpx_eq_u32_e32 0, v1
	s_cbranch_execz .LBB98_2
; %bb.1:
	v_mov_b32_e32 v1, s12
	v_mov_b32_e32 v2, 0
	global_store_dwordx2 v2, v[1:2], s[10:11]
.LBB98_2:
	s_or_b32 exec_lo, exec_lo, s0
	s_load_dwordx2 s[2:3], s[4:5], 0x38
	v_mov_b32_e32 v3, 0
	v_bfe_u32 v4, v0, 3, 3
	v_and_b32_e32 v2, 7, v0
	v_mov_b32_e32 v5, v3
	s_waitcnt lgkmcnt(0)
	v_cmp_gt_i64_e32 vcc_lo, s[2:3], v[4:5]
	v_cmp_gt_i64_e64 s0, s[2:3], v[2:3]
	s_and_b32 s0, vcc_lo, s0
	s_and_saveexec_b32 s1, s0
	s_cbranch_execz .LBB98_6
; %bb.3:
	s_load_dwordx4 s[16:19], s[8:9], 0x0
	s_load_dword s14, s[4:5], 0x18
	s_mul_i32 s1, s2, s3
	s_mul_hi_u32 s0, s2, s2
	v_lshrrev_b32_e32 v5, 6, v0
	s_waitcnt lgkmcnt(0)
	s_sub_u32 s16, s16, s14
	s_subb_u32 s7, s17, 0
	s_sub_u32 s8, s18, s14
	s_subb_u32 s9, s19, 0
	s_add_i32 s13, s0, s1
	s_mul_i32 s0, s2, s2
	s_add_i32 s1, s13, s1
	s_mul_hi_u32 s13, s16, s0
	s_mul_i32 s15, s16, s1
	s_mul_i32 s17, s7, s0
	s_add_i32 s13, s13, s15
	s_mul_i32 s15, s16, s0
	s_add_i32 s19, s13, s17
	s_sub_u32 s17, s8, s16
	s_subb_u32 s13, s9, s7
	s_mul_i32 s18, s17, s3
	s_mul_hi_u32 s20, s17, s2
	s_mul_i32 s21, s13, s2
	s_add_i32 s18, s20, s18
	s_mul_i32 s20, s17, s2
	s_add_i32 s21, s18, s21
	s_add_u32 s18, s20, s12
	s_addc_u32 s22, s21, 0
	s_add_u32 s18, s18, s15
	s_addc_u32 s19, s22, s19
	s_mul_i32 s15, s3, s6
	v_mad_u64_u32 v[8:9], null, s20, v4, s[18:19]
	s_mul_hi_u32 s19, s2, s6
	s_mul_i32 s18, s2, s6
	s_add_i32 s19, s19, s15
	s_mov_b32 s15, 0
	s_lshl_b64 s[18:19], s[18:19], 3
	v_mov_b32_e32 v0, v9
	s_add_u32 s10, s10, s18
	s_addc_u32 s11, s11, s19
	v_mad_u64_u32 v[6:7], null, s21, v4, v[0:1]
	v_add_co_u32 v0, s6, s16, v5
	v_add_co_ci_u32_e64 v1, null, s7, 0, s6
	v_lshlrev_b32_e32 v7, 3, v4
	v_mov_b32_e32 v9, v6
	v_cmp_gt_i64_e32 vcc_lo, s[8:9], v[0:1]
	v_mov_b32_e32 v6, v3
	global_store_dwordx2 v7, v[8:9], s[10:11] offset:8
	s_and_b32 exec_lo, exec_lo, vcc_lo
	s_cbranch_execz .LBB98_6
; %bb.4:
	v_mad_u64_u32 v[8:9], null, s2, v2, 0
	v_mad_u64_u32 v[10:11], null, s2, v4, 0
	;; [unrolled: 1-line block ×3, first 2 shown]
	s_load_dwordx2 s[10:11], s[4:5], 0x20
	s_mul_i32 s6, s3, s16
	v_mov_b32_e32 v3, v9
	s_mul_i32 s7, s2, s7
	v_mov_b32_e32 v9, v11
	v_mul_lo_u32 v14, s0, v1
	v_add3_u32 v6, s7, s6, v6
	v_mad_u64_u32 v[11:12], null, s3, v2, v[3:4]
	v_mad_u64_u32 v[12:13], null, s3, v4, v[9:10]
	;; [unrolled: 1-line block ×3, first 2 shown]
	s_clause 0x2
	s_load_dwordx2 s[16:17], s[4:5], 0x30
	s_load_dwordx2 s[6:7], s[4:5], 0x48
	s_load_dword s18, s[4:5], 0x0
	v_mul_lo_u32 v13, s1, v0
	v_mov_b32_e32 v9, v11
	s_load_dwordx2 s[4:5], s[4:5], 0x58
	v_mov_b32_e32 v11, v12
	v_lshlrev_b32_e32 v12, 3, v2
	v_mov_b32_e32 v3, v6
	v_lshlrev_b64 v[8:9], 3, v[8:9]
	v_mul_lo_u32 v15, s3, v5
	v_lshlrev_b64 v[10:11], 3, v[10:11]
	v_mad_u64_u32 v[3:4], null, s13, v4, v[3:4]
	s_waitcnt lgkmcnt(0)
	v_add_co_u32 v6, vcc_lo, s10, v8
	v_add_co_ci_u32_e64 v8, null, s11, v9, vcc_lo
	v_add_co_u32 v9, vcc_lo, s10, v10
	v_add_co_ci_u32_e64 v10, null, s11, v11, vcc_lo
	v_add_co_u32 v11, vcc_lo, v6, v7
	v_mad_u64_u32 v[6:7], null, s0, v0, 0
	v_mul_lo_u32 v3, s2, v3
	v_mad_u64_u32 v[4:5], null, s2, v5, 0
	v_add_co_ci_u32_e64 v8, null, 0, v8, vcc_lo
	v_add_co_u32 v9, vcc_lo, v9, v12
	v_add3_u32 v7, v7, v14, v13
	s_cmp_eq_u32 s18, 0
	v_add_co_ci_u32_e64 v10, null, 0, v10, vcc_lo
	s_cselect_b32 vcc_lo, -1, 0
	v_lshlrev_b64 v[6:7], 3, v[6:7]
	v_cndmask_b32_e32 v11, v11, v9, vcc_lo
	v_add3_u32 v5, v5, v3, v15
	v_cndmask_b32_e32 v10, v8, v10, vcc_lo
	v_add_co_u32 v2, s10, v2, s12
	v_add_co_ci_u32_e64 v3, null, 0, 0, s10
	v_lshlrev_b64 v[8:9], 3, v[4:5]
	v_add_co_u32 v4, vcc_lo, v11, v6
	v_add_co_ci_u32_e64 v5, null, v10, v7, vcc_lo
	v_lshlrev_b64 v[6:7], 3, v[0:1]
	v_add_co_u32 v8, vcc_lo, v8, v12
	v_add_co_ci_u32_e64 v9, null, 0, v9, vcc_lo
	s_lshl_b64 s[10:11], s[0:1], 7
	v_add_co_u32 v6, vcc_lo, s16, v6
	v_add_co_ci_u32_e64 v7, null, s17, v7, vcc_lo
	s_lshl_b64 s[12:13], s[2:3], 7
.LBB98_5:                               ; =>This Inner Loop Header: Depth=1
	global_load_dwordx2 v[10:11], v[6:7], off
	global_load_dwordx2 v[12:13], v[4:5], off
	v_add_co_u32 v14, vcc_lo, s4, v8
	v_add_co_ci_u32_e64 v15, null, s5, v9, vcc_lo
	v_add_co_u32 v16, vcc_lo, s6, v8
	v_add_co_ci_u32_e64 v17, null, s7, v9, vcc_lo
	;; [unrolled: 2-line block ×4, first 2 shown]
	v_add_co_u32 v6, s0, 0x80, v6
	v_add_co_ci_u32_e64 v7, null, 0, v7, s0
	s_waitcnt vmcnt(1)
	v_sub_co_u32 v10, vcc_lo, v10, s14
	v_subrev_co_ci_u32_e64 v11, null, 0, v11, vcc_lo
	v_add_co_u32 v8, vcc_lo, v8, s12
	v_mul_lo_u32 v18, v10, s3
	v_mul_lo_u32 v19, v11, s2
	v_mad_u64_u32 v[10:11], null, v10, s2, v[2:3]
	v_add_co_ci_u32_e64 v9, null, s13, v9, vcc_lo
	v_cmp_le_i64_e32 vcc_lo, s[8:9], v[0:1]
	v_add3_u32 v11, v19, v11, v18
	s_waitcnt vmcnt(0)
	global_store_dwordx2 v[16:17], v[12:13], off
	global_store_dwordx2 v[14:15], v[10:11], off
	s_or_b32 s15, vcc_lo, s15
	s_andn2_b32 exec_lo, exec_lo, s15
	s_cbranch_execnz .LBB98_5
.LBB98_6:
	s_endpgm
	.section	.rodata,"a",@progbits
	.p2align	6, 0x0
	.amdhsa_kernel _ZN9rocsparseL33bsr2csr_block_per_row_8_32_kernelILj1024ELj8ElllEEv20rocsparse_direction_T3_S2_21rocsparse_index_base_PKT1_PKT2_PKS2_S2_S3_PS4_PS7_PS2_
		.amdhsa_group_segment_fixed_size 0
		.amdhsa_private_segment_fixed_size 0
		.amdhsa_kernarg_size 96
		.amdhsa_user_sgpr_count 6
		.amdhsa_user_sgpr_private_segment_buffer 1
		.amdhsa_user_sgpr_dispatch_ptr 0
		.amdhsa_user_sgpr_queue_ptr 0
		.amdhsa_user_sgpr_kernarg_segment_ptr 1
		.amdhsa_user_sgpr_dispatch_id 0
		.amdhsa_user_sgpr_flat_scratch_init 0
		.amdhsa_user_sgpr_private_segment_size 0
		.amdhsa_wavefront_size32 1
		.amdhsa_uses_dynamic_stack 0
		.amdhsa_system_sgpr_private_segment_wavefront_offset 0
		.amdhsa_system_sgpr_workgroup_id_x 1
		.amdhsa_system_sgpr_workgroup_id_y 0
		.amdhsa_system_sgpr_workgroup_id_z 0
		.amdhsa_system_sgpr_workgroup_info 0
		.amdhsa_system_vgpr_workitem_id 0
		.amdhsa_next_free_vgpr 20
		.amdhsa_next_free_sgpr 23
		.amdhsa_reserve_vcc 1
		.amdhsa_reserve_flat_scratch 0
		.amdhsa_float_round_mode_32 0
		.amdhsa_float_round_mode_16_64 0
		.amdhsa_float_denorm_mode_32 3
		.amdhsa_float_denorm_mode_16_64 3
		.amdhsa_dx10_clamp 1
		.amdhsa_ieee_mode 1
		.amdhsa_fp16_overflow 0
		.amdhsa_workgroup_processor_mode 1
		.amdhsa_memory_ordered 1
		.amdhsa_forward_progress 1
		.amdhsa_shared_vgpr_count 0
		.amdhsa_exception_fp_ieee_invalid_op 0
		.amdhsa_exception_fp_denorm_src 0
		.amdhsa_exception_fp_ieee_div_zero 0
		.amdhsa_exception_fp_ieee_overflow 0
		.amdhsa_exception_fp_ieee_underflow 0
		.amdhsa_exception_fp_ieee_inexact 0
		.amdhsa_exception_int_div_zero 0
	.end_amdhsa_kernel
	.section	.text._ZN9rocsparseL33bsr2csr_block_per_row_8_32_kernelILj1024ELj8ElllEEv20rocsparse_direction_T3_S2_21rocsparse_index_base_PKT1_PKT2_PKS2_S2_S3_PS4_PS7_PS2_,"axG",@progbits,_ZN9rocsparseL33bsr2csr_block_per_row_8_32_kernelILj1024ELj8ElllEEv20rocsparse_direction_T3_S2_21rocsparse_index_base_PKT1_PKT2_PKS2_S2_S3_PS4_PS7_PS2_,comdat
.Lfunc_end98:
	.size	_ZN9rocsparseL33bsr2csr_block_per_row_8_32_kernelILj1024ELj8ElllEEv20rocsparse_direction_T3_S2_21rocsparse_index_base_PKT1_PKT2_PKS2_S2_S3_PS4_PS7_PS2_, .Lfunc_end98-_ZN9rocsparseL33bsr2csr_block_per_row_8_32_kernelILj1024ELj8ElllEEv20rocsparse_direction_T3_S2_21rocsparse_index_base_PKT1_PKT2_PKS2_S2_S3_PS4_PS7_PS2_
                                        ; -- End function
	.set _ZN9rocsparseL33bsr2csr_block_per_row_8_32_kernelILj1024ELj8ElllEEv20rocsparse_direction_T3_S2_21rocsparse_index_base_PKT1_PKT2_PKS2_S2_S3_PS4_PS7_PS2_.num_vgpr, 20
	.set _ZN9rocsparseL33bsr2csr_block_per_row_8_32_kernelILj1024ELj8ElllEEv20rocsparse_direction_T3_S2_21rocsparse_index_base_PKT1_PKT2_PKS2_S2_S3_PS4_PS7_PS2_.num_agpr, 0
	.set _ZN9rocsparseL33bsr2csr_block_per_row_8_32_kernelILj1024ELj8ElllEEv20rocsparse_direction_T3_S2_21rocsparse_index_base_PKT1_PKT2_PKS2_S2_S3_PS4_PS7_PS2_.numbered_sgpr, 23
	.set _ZN9rocsparseL33bsr2csr_block_per_row_8_32_kernelILj1024ELj8ElllEEv20rocsparse_direction_T3_S2_21rocsparse_index_base_PKT1_PKT2_PKS2_S2_S3_PS4_PS7_PS2_.num_named_barrier, 0
	.set _ZN9rocsparseL33bsr2csr_block_per_row_8_32_kernelILj1024ELj8ElllEEv20rocsparse_direction_T3_S2_21rocsparse_index_base_PKT1_PKT2_PKS2_S2_S3_PS4_PS7_PS2_.private_seg_size, 0
	.set _ZN9rocsparseL33bsr2csr_block_per_row_8_32_kernelILj1024ELj8ElllEEv20rocsparse_direction_T3_S2_21rocsparse_index_base_PKT1_PKT2_PKS2_S2_S3_PS4_PS7_PS2_.uses_vcc, 1
	.set _ZN9rocsparseL33bsr2csr_block_per_row_8_32_kernelILj1024ELj8ElllEEv20rocsparse_direction_T3_S2_21rocsparse_index_base_PKT1_PKT2_PKS2_S2_S3_PS4_PS7_PS2_.uses_flat_scratch, 0
	.set _ZN9rocsparseL33bsr2csr_block_per_row_8_32_kernelILj1024ELj8ElllEEv20rocsparse_direction_T3_S2_21rocsparse_index_base_PKT1_PKT2_PKS2_S2_S3_PS4_PS7_PS2_.has_dyn_sized_stack, 0
	.set _ZN9rocsparseL33bsr2csr_block_per_row_8_32_kernelILj1024ELj8ElllEEv20rocsparse_direction_T3_S2_21rocsparse_index_base_PKT1_PKT2_PKS2_S2_S3_PS4_PS7_PS2_.has_recursion, 0
	.set _ZN9rocsparseL33bsr2csr_block_per_row_8_32_kernelILj1024ELj8ElllEEv20rocsparse_direction_T3_S2_21rocsparse_index_base_PKT1_PKT2_PKS2_S2_S3_PS4_PS7_PS2_.has_indirect_call, 0
	.section	.AMDGPU.csdata,"",@progbits
; Kernel info:
; codeLenInByte = 980
; TotalNumSgprs: 25
; NumVgprs: 20
; ScratchSize: 0
; MemoryBound: 0
; FloatMode: 240
; IeeeMode: 1
; LDSByteSize: 0 bytes/workgroup (compile time only)
; SGPRBlocks: 0
; VGPRBlocks: 2
; NumSGPRsForWavesPerEU: 25
; NumVGPRsForWavesPerEU: 20
; Occupancy: 16
; WaveLimiterHint : 0
; COMPUTE_PGM_RSRC2:SCRATCH_EN: 0
; COMPUTE_PGM_RSRC2:USER_SGPR: 6
; COMPUTE_PGM_RSRC2:TRAP_HANDLER: 0
; COMPUTE_PGM_RSRC2:TGID_X_EN: 1
; COMPUTE_PGM_RSRC2:TGID_Y_EN: 0
; COMPUTE_PGM_RSRC2:TGID_Z_EN: 0
; COMPUTE_PGM_RSRC2:TIDIG_COMP_CNT: 0
	.section	.text._ZN9rocsparseL33bsr2csr_block_per_row_8_32_kernelILj1024ELj16ElllEEv20rocsparse_direction_T3_S2_21rocsparse_index_base_PKT1_PKT2_PKS2_S2_S3_PS4_PS7_PS2_,"axG",@progbits,_ZN9rocsparseL33bsr2csr_block_per_row_8_32_kernelILj1024ELj16ElllEEv20rocsparse_direction_T3_S2_21rocsparse_index_base_PKT1_PKT2_PKS2_S2_S3_PS4_PS7_PS2_,comdat
	.globl	_ZN9rocsparseL33bsr2csr_block_per_row_8_32_kernelILj1024ELj16ElllEEv20rocsparse_direction_T3_S2_21rocsparse_index_base_PKT1_PKT2_PKS2_S2_S3_PS4_PS7_PS2_ ; -- Begin function _ZN9rocsparseL33bsr2csr_block_per_row_8_32_kernelILj1024ELj16ElllEEv20rocsparse_direction_T3_S2_21rocsparse_index_base_PKT1_PKT2_PKS2_S2_S3_PS4_PS7_PS2_
	.p2align	8
	.type	_ZN9rocsparseL33bsr2csr_block_per_row_8_32_kernelILj1024ELj16ElllEEv20rocsparse_direction_T3_S2_21rocsparse_index_base_PKT1_PKT2_PKS2_S2_S3_PS4_PS7_PS2_,@function
_ZN9rocsparseL33bsr2csr_block_per_row_8_32_kernelILj1024ELj16ElllEEv20rocsparse_direction_T3_S2_21rocsparse_index_base_PKT1_PKT2_PKS2_S2_S3_PS4_PS7_PS2_: ; @_ZN9rocsparseL33bsr2csr_block_per_row_8_32_kernelILj1024ELj16ElllEEv20rocsparse_direction_T3_S2_21rocsparse_index_base_PKT1_PKT2_PKS2_S2_S3_PS4_PS7_PS2_
; %bb.0:
	s_clause 0x2
	s_load_dwordx2 s[0:1], s[4:5], 0x28
	s_load_dword s12, s[4:5], 0x40
	s_load_dwordx2 s[10:11], s[4:5], 0x50
	s_mov_b32 s7, 0
	v_or_b32_e32 v1, s6, v0
	s_lshl_b64 s[2:3], s[6:7], 3
	s_waitcnt lgkmcnt(0)
	s_add_u32 s8, s0, s2
	s_addc_u32 s9, s1, s3
	s_mov_b32 s0, exec_lo
	v_cmpx_eq_u32_e32 0, v1
	s_cbranch_execz .LBB99_2
; %bb.1:
	v_mov_b32_e32 v1, s12
	v_mov_b32_e32 v2, 0
	global_store_dwordx2 v2, v[1:2], s[10:11]
.LBB99_2:
	s_or_b32 exec_lo, exec_lo, s0
	s_load_dwordx2 s[2:3], s[4:5], 0x38
	v_mov_b32_e32 v3, 0
	v_bfe_u32 v4, v0, 4, 4
	v_and_b32_e32 v2, 15, v0
	v_mov_b32_e32 v5, v3
	s_waitcnt lgkmcnt(0)
	v_cmp_gt_i64_e32 vcc_lo, s[2:3], v[4:5]
	v_cmp_gt_i64_e64 s0, s[2:3], v[2:3]
	s_and_b32 s0, vcc_lo, s0
	s_and_saveexec_b32 s1, s0
	s_cbranch_execz .LBB99_6
; %bb.3:
	s_load_dwordx4 s[16:19], s[8:9], 0x0
	s_load_dword s14, s[4:5], 0x18
	s_mul_i32 s1, s2, s3
	s_mul_hi_u32 s0, s2, s2
	v_lshrrev_b32_e32 v5, 8, v0
	s_waitcnt lgkmcnt(0)
	s_sub_u32 s16, s16, s14
	s_subb_u32 s7, s17, 0
	s_sub_u32 s8, s18, s14
	s_subb_u32 s9, s19, 0
	s_add_i32 s13, s0, s1
	s_mul_i32 s0, s2, s2
	s_add_i32 s1, s13, s1
	s_mul_hi_u32 s13, s16, s0
	s_mul_i32 s15, s16, s1
	s_mul_i32 s17, s7, s0
	s_add_i32 s13, s13, s15
	s_mul_i32 s15, s16, s0
	s_add_i32 s19, s13, s17
	s_sub_u32 s17, s8, s16
	s_subb_u32 s13, s9, s7
	s_mul_i32 s18, s17, s3
	s_mul_hi_u32 s20, s17, s2
	s_mul_i32 s21, s13, s2
	s_add_i32 s18, s20, s18
	s_mul_i32 s20, s17, s2
	s_add_i32 s21, s18, s21
	s_add_u32 s18, s20, s12
	s_addc_u32 s22, s21, 0
	s_add_u32 s18, s18, s15
	s_addc_u32 s19, s22, s19
	s_mul_i32 s15, s3, s6
	v_mad_u64_u32 v[8:9], null, s20, v4, s[18:19]
	s_mul_hi_u32 s19, s2, s6
	s_mul_i32 s18, s2, s6
	s_add_i32 s19, s19, s15
	s_mov_b32 s15, 0
	s_lshl_b64 s[18:19], s[18:19], 3
	v_mov_b32_e32 v0, v9
	s_add_u32 s10, s10, s18
	s_addc_u32 s11, s11, s19
	v_mad_u64_u32 v[6:7], null, s21, v4, v[0:1]
	v_add_co_u32 v0, s6, s16, v5
	v_add_co_ci_u32_e64 v1, null, s7, 0, s6
	v_lshlrev_b32_e32 v7, 3, v4
	v_mov_b32_e32 v9, v6
	v_cmp_gt_i64_e32 vcc_lo, s[8:9], v[0:1]
	v_mov_b32_e32 v6, v3
	global_store_dwordx2 v7, v[8:9], s[10:11] offset:8
	s_and_b32 exec_lo, exec_lo, vcc_lo
	s_cbranch_execz .LBB99_6
; %bb.4:
	v_mad_u64_u32 v[8:9], null, s2, v2, 0
	v_mad_u64_u32 v[10:11], null, s2, v4, 0
	;; [unrolled: 1-line block ×3, first 2 shown]
	s_load_dwordx2 s[10:11], s[4:5], 0x20
	s_mul_i32 s6, s3, s16
	v_mov_b32_e32 v3, v9
	s_mul_i32 s7, s2, s7
	v_mov_b32_e32 v9, v11
	v_mul_lo_u32 v14, s0, v1
	v_add3_u32 v6, s7, s6, v6
	v_mad_u64_u32 v[11:12], null, s3, v2, v[3:4]
	v_mad_u64_u32 v[12:13], null, s3, v4, v[9:10]
	;; [unrolled: 1-line block ×3, first 2 shown]
	s_clause 0x2
	s_load_dwordx2 s[16:17], s[4:5], 0x30
	s_load_dwordx2 s[6:7], s[4:5], 0x48
	s_load_dword s18, s[4:5], 0x0
	v_mul_lo_u32 v13, s1, v0
	v_mov_b32_e32 v9, v11
	s_load_dwordx2 s[4:5], s[4:5], 0x58
	v_mov_b32_e32 v11, v12
	v_lshlrev_b32_e32 v12, 3, v2
	v_mov_b32_e32 v3, v6
	v_lshlrev_b64 v[8:9], 3, v[8:9]
	v_mul_lo_u32 v15, s3, v5
	v_lshlrev_b64 v[10:11], 3, v[10:11]
	v_mad_u64_u32 v[3:4], null, s13, v4, v[3:4]
	s_waitcnt lgkmcnt(0)
	v_add_co_u32 v6, vcc_lo, s10, v8
	v_add_co_ci_u32_e64 v8, null, s11, v9, vcc_lo
	v_add_co_u32 v9, vcc_lo, s10, v10
	v_add_co_ci_u32_e64 v10, null, s11, v11, vcc_lo
	v_add_co_u32 v11, vcc_lo, v6, v7
	v_mad_u64_u32 v[6:7], null, s0, v0, 0
	v_mul_lo_u32 v3, s2, v3
	v_mad_u64_u32 v[4:5], null, s2, v5, 0
	v_add_co_ci_u32_e64 v8, null, 0, v8, vcc_lo
	v_add_co_u32 v9, vcc_lo, v9, v12
	v_add3_u32 v7, v7, v14, v13
	s_cmp_eq_u32 s18, 0
	v_add_co_ci_u32_e64 v10, null, 0, v10, vcc_lo
	s_cselect_b32 vcc_lo, -1, 0
	v_lshlrev_b64 v[6:7], 3, v[6:7]
	v_cndmask_b32_e32 v11, v11, v9, vcc_lo
	v_add3_u32 v5, v5, v3, v15
	v_cndmask_b32_e32 v10, v8, v10, vcc_lo
	v_add_co_u32 v2, s10, v2, s12
	v_add_co_ci_u32_e64 v3, null, 0, 0, s10
	v_lshlrev_b64 v[8:9], 3, v[4:5]
	v_add_co_u32 v4, vcc_lo, v11, v6
	v_add_co_ci_u32_e64 v5, null, v10, v7, vcc_lo
	v_lshlrev_b64 v[6:7], 3, v[0:1]
	v_add_co_u32 v8, vcc_lo, v8, v12
	v_add_co_ci_u32_e64 v9, null, 0, v9, vcc_lo
	s_lshl_b64 s[10:11], s[0:1], 5
	v_add_co_u32 v6, vcc_lo, s16, v6
	v_add_co_ci_u32_e64 v7, null, s17, v7, vcc_lo
	s_lshl_b64 s[12:13], s[2:3], 5
	s_inst_prefetch 0x1
	.p2align	6
.LBB99_5:                               ; =>This Inner Loop Header: Depth=1
	global_load_dwordx2 v[10:11], v[6:7], off
	global_load_dwordx2 v[12:13], v[4:5], off
	v_add_co_u32 v14, vcc_lo, s4, v8
	v_add_co_ci_u32_e64 v15, null, s5, v9, vcc_lo
	v_add_co_u32 v16, vcc_lo, s6, v8
	v_add_co_ci_u32_e64 v17, null, s7, v9, vcc_lo
	v_add_co_u32 v0, vcc_lo, v0, 4
	v_add_co_ci_u32_e64 v1, null, 0, v1, vcc_lo
	v_add_co_u32 v4, vcc_lo, v4, s10
	v_add_co_ci_u32_e64 v5, null, s11, v5, vcc_lo
	v_add_co_u32 v6, s0, v6, 32
	v_add_co_ci_u32_e64 v7, null, 0, v7, s0
	s_waitcnt vmcnt(1)
	v_sub_co_u32 v10, vcc_lo, v10, s14
	v_subrev_co_ci_u32_e64 v11, null, 0, v11, vcc_lo
	v_add_co_u32 v8, vcc_lo, v8, s12
	v_mul_lo_u32 v18, v10, s3
	v_mul_lo_u32 v19, v11, s2
	v_mad_u64_u32 v[10:11], null, v10, s2, v[2:3]
	v_add_co_ci_u32_e64 v9, null, s13, v9, vcc_lo
	v_cmp_le_i64_e32 vcc_lo, s[8:9], v[0:1]
	v_add3_u32 v11, v19, v11, v18
	s_waitcnt vmcnt(0)
	global_store_dwordx2 v[16:17], v[12:13], off
	global_store_dwordx2 v[14:15], v[10:11], off
	s_or_b32 s15, vcc_lo, s15
	s_andn2_b32 exec_lo, exec_lo, s15
	s_cbranch_execnz .LBB99_5
.LBB99_6:
	s_inst_prefetch 0x2
	s_endpgm
	.section	.rodata,"a",@progbits
	.p2align	6, 0x0
	.amdhsa_kernel _ZN9rocsparseL33bsr2csr_block_per_row_8_32_kernelILj1024ELj16ElllEEv20rocsparse_direction_T3_S2_21rocsparse_index_base_PKT1_PKT2_PKS2_S2_S3_PS4_PS7_PS2_
		.amdhsa_group_segment_fixed_size 0
		.amdhsa_private_segment_fixed_size 0
		.amdhsa_kernarg_size 96
		.amdhsa_user_sgpr_count 6
		.amdhsa_user_sgpr_private_segment_buffer 1
		.amdhsa_user_sgpr_dispatch_ptr 0
		.amdhsa_user_sgpr_queue_ptr 0
		.amdhsa_user_sgpr_kernarg_segment_ptr 1
		.amdhsa_user_sgpr_dispatch_id 0
		.amdhsa_user_sgpr_flat_scratch_init 0
		.amdhsa_user_sgpr_private_segment_size 0
		.amdhsa_wavefront_size32 1
		.amdhsa_uses_dynamic_stack 0
		.amdhsa_system_sgpr_private_segment_wavefront_offset 0
		.amdhsa_system_sgpr_workgroup_id_x 1
		.amdhsa_system_sgpr_workgroup_id_y 0
		.amdhsa_system_sgpr_workgroup_id_z 0
		.amdhsa_system_sgpr_workgroup_info 0
		.amdhsa_system_vgpr_workitem_id 0
		.amdhsa_next_free_vgpr 20
		.amdhsa_next_free_sgpr 23
		.amdhsa_reserve_vcc 1
		.amdhsa_reserve_flat_scratch 0
		.amdhsa_float_round_mode_32 0
		.amdhsa_float_round_mode_16_64 0
		.amdhsa_float_denorm_mode_32 3
		.amdhsa_float_denorm_mode_16_64 3
		.amdhsa_dx10_clamp 1
		.amdhsa_ieee_mode 1
		.amdhsa_fp16_overflow 0
		.amdhsa_workgroup_processor_mode 1
		.amdhsa_memory_ordered 1
		.amdhsa_forward_progress 1
		.amdhsa_shared_vgpr_count 0
		.amdhsa_exception_fp_ieee_invalid_op 0
		.amdhsa_exception_fp_denorm_src 0
		.amdhsa_exception_fp_ieee_div_zero 0
		.amdhsa_exception_fp_ieee_overflow 0
		.amdhsa_exception_fp_ieee_underflow 0
		.amdhsa_exception_fp_ieee_inexact 0
		.amdhsa_exception_int_div_zero 0
	.end_amdhsa_kernel
	.section	.text._ZN9rocsparseL33bsr2csr_block_per_row_8_32_kernelILj1024ELj16ElllEEv20rocsparse_direction_T3_S2_21rocsparse_index_base_PKT1_PKT2_PKS2_S2_S3_PS4_PS7_PS2_,"axG",@progbits,_ZN9rocsparseL33bsr2csr_block_per_row_8_32_kernelILj1024ELj16ElllEEv20rocsparse_direction_T3_S2_21rocsparse_index_base_PKT1_PKT2_PKS2_S2_S3_PS4_PS7_PS2_,comdat
.Lfunc_end99:
	.size	_ZN9rocsparseL33bsr2csr_block_per_row_8_32_kernelILj1024ELj16ElllEEv20rocsparse_direction_T3_S2_21rocsparse_index_base_PKT1_PKT2_PKS2_S2_S3_PS4_PS7_PS2_, .Lfunc_end99-_ZN9rocsparseL33bsr2csr_block_per_row_8_32_kernelILj1024ELj16ElllEEv20rocsparse_direction_T3_S2_21rocsparse_index_base_PKT1_PKT2_PKS2_S2_S3_PS4_PS7_PS2_
                                        ; -- End function
	.set _ZN9rocsparseL33bsr2csr_block_per_row_8_32_kernelILj1024ELj16ElllEEv20rocsparse_direction_T3_S2_21rocsparse_index_base_PKT1_PKT2_PKS2_S2_S3_PS4_PS7_PS2_.num_vgpr, 20
	.set _ZN9rocsparseL33bsr2csr_block_per_row_8_32_kernelILj1024ELj16ElllEEv20rocsparse_direction_T3_S2_21rocsparse_index_base_PKT1_PKT2_PKS2_S2_S3_PS4_PS7_PS2_.num_agpr, 0
	.set _ZN9rocsparseL33bsr2csr_block_per_row_8_32_kernelILj1024ELj16ElllEEv20rocsparse_direction_T3_S2_21rocsparse_index_base_PKT1_PKT2_PKS2_S2_S3_PS4_PS7_PS2_.numbered_sgpr, 23
	.set _ZN9rocsparseL33bsr2csr_block_per_row_8_32_kernelILj1024ELj16ElllEEv20rocsparse_direction_T3_S2_21rocsparse_index_base_PKT1_PKT2_PKS2_S2_S3_PS4_PS7_PS2_.num_named_barrier, 0
	.set _ZN9rocsparseL33bsr2csr_block_per_row_8_32_kernelILj1024ELj16ElllEEv20rocsparse_direction_T3_S2_21rocsparse_index_base_PKT1_PKT2_PKS2_S2_S3_PS4_PS7_PS2_.private_seg_size, 0
	.set _ZN9rocsparseL33bsr2csr_block_per_row_8_32_kernelILj1024ELj16ElllEEv20rocsparse_direction_T3_S2_21rocsparse_index_base_PKT1_PKT2_PKS2_S2_S3_PS4_PS7_PS2_.uses_vcc, 1
	.set _ZN9rocsparseL33bsr2csr_block_per_row_8_32_kernelILj1024ELj16ElllEEv20rocsparse_direction_T3_S2_21rocsparse_index_base_PKT1_PKT2_PKS2_S2_S3_PS4_PS7_PS2_.uses_flat_scratch, 0
	.set _ZN9rocsparseL33bsr2csr_block_per_row_8_32_kernelILj1024ELj16ElllEEv20rocsparse_direction_T3_S2_21rocsparse_index_base_PKT1_PKT2_PKS2_S2_S3_PS4_PS7_PS2_.has_dyn_sized_stack, 0
	.set _ZN9rocsparseL33bsr2csr_block_per_row_8_32_kernelILj1024ELj16ElllEEv20rocsparse_direction_T3_S2_21rocsparse_index_base_PKT1_PKT2_PKS2_S2_S3_PS4_PS7_PS2_.has_recursion, 0
	.set _ZN9rocsparseL33bsr2csr_block_per_row_8_32_kernelILj1024ELj16ElllEEv20rocsparse_direction_T3_S2_21rocsparse_index_base_PKT1_PKT2_PKS2_S2_S3_PS4_PS7_PS2_.has_indirect_call, 0
	.section	.AMDGPU.csdata,"",@progbits
; Kernel info:
; codeLenInByte = 1040
; TotalNumSgprs: 25
; NumVgprs: 20
; ScratchSize: 0
; MemoryBound: 0
; FloatMode: 240
; IeeeMode: 1
; LDSByteSize: 0 bytes/workgroup (compile time only)
; SGPRBlocks: 0
; VGPRBlocks: 2
; NumSGPRsForWavesPerEU: 25
; NumVGPRsForWavesPerEU: 20
; Occupancy: 16
; WaveLimiterHint : 0
; COMPUTE_PGM_RSRC2:SCRATCH_EN: 0
; COMPUTE_PGM_RSRC2:USER_SGPR: 6
; COMPUTE_PGM_RSRC2:TRAP_HANDLER: 0
; COMPUTE_PGM_RSRC2:TGID_X_EN: 1
; COMPUTE_PGM_RSRC2:TGID_Y_EN: 0
; COMPUTE_PGM_RSRC2:TGID_Z_EN: 0
; COMPUTE_PGM_RSRC2:TIDIG_COMP_CNT: 0
	.section	.text._ZN9rocsparseL33bsr2csr_block_per_row_8_32_kernelILj1024ELj32ElllEEv20rocsparse_direction_T3_S2_21rocsparse_index_base_PKT1_PKT2_PKS2_S2_S3_PS4_PS7_PS2_,"axG",@progbits,_ZN9rocsparseL33bsr2csr_block_per_row_8_32_kernelILj1024ELj32ElllEEv20rocsparse_direction_T3_S2_21rocsparse_index_base_PKT1_PKT2_PKS2_S2_S3_PS4_PS7_PS2_,comdat
	.globl	_ZN9rocsparseL33bsr2csr_block_per_row_8_32_kernelILj1024ELj32ElllEEv20rocsparse_direction_T3_S2_21rocsparse_index_base_PKT1_PKT2_PKS2_S2_S3_PS4_PS7_PS2_ ; -- Begin function _ZN9rocsparseL33bsr2csr_block_per_row_8_32_kernelILj1024ELj32ElllEEv20rocsparse_direction_T3_S2_21rocsparse_index_base_PKT1_PKT2_PKS2_S2_S3_PS4_PS7_PS2_
	.p2align	8
	.type	_ZN9rocsparseL33bsr2csr_block_per_row_8_32_kernelILj1024ELj32ElllEEv20rocsparse_direction_T3_S2_21rocsparse_index_base_PKT1_PKT2_PKS2_S2_S3_PS4_PS7_PS2_,@function
_ZN9rocsparseL33bsr2csr_block_per_row_8_32_kernelILj1024ELj32ElllEEv20rocsparse_direction_T3_S2_21rocsparse_index_base_PKT1_PKT2_PKS2_S2_S3_PS4_PS7_PS2_: ; @_ZN9rocsparseL33bsr2csr_block_per_row_8_32_kernelILj1024ELj32ElllEEv20rocsparse_direction_T3_S2_21rocsparse_index_base_PKT1_PKT2_PKS2_S2_S3_PS4_PS7_PS2_
; %bb.0:
	s_clause 0x2
	s_load_dwordx2 s[0:1], s[4:5], 0x28
	s_load_dword s22, s[4:5], 0x40
	s_load_dwordx2 s[20:21], s[4:5], 0x50
	s_mov_b32 s7, 0
	v_or_b32_e32 v1, s6, v0
	s_lshl_b64 s[2:3], s[6:7], 3
	s_waitcnt lgkmcnt(0)
	s_add_u32 s2, s0, s2
	s_addc_u32 s3, s1, s3
	s_mov_b32 s0, exec_lo
	v_cmpx_eq_u32_e32 0, v1
	s_cbranch_execz .LBB100_2
; %bb.1:
	v_mov_b32_e32 v1, s22
	v_mov_b32_e32 v2, 0
	global_store_dwordx2 v2, v[1:2], s[20:21]
.LBB100_2:
	s_or_b32 exec_lo, exec_lo, s0
	s_load_dwordx2 s[8:9], s[4:5], 0x38
	v_mov_b32_e32 v1, 0
	v_lshrrev_b32_e32 v2, 5, v0
	v_and_b32_e32 v0, 31, v0
	v_mov_b32_e32 v3, v1
	s_waitcnt lgkmcnt(0)
	v_cmp_gt_i64_e32 vcc_lo, s[8:9], v[2:3]
	v_cmp_gt_i64_e64 s0, s[8:9], v[0:1]
	s_and_b32 s0, vcc_lo, s0
	s_and_saveexec_b32 s1, s0
	s_cbranch_execz .LBB100_6
; %bb.3:
	s_load_dwordx4 s[0:3], s[2:3], 0x0
	s_load_dword s10, s[4:5], 0x18
	s_mul_i32 s7, s8, s9
	s_mul_hi_u32 s11, s8, s8
	s_mul_i32 s16, s8, s8
	s_waitcnt lgkmcnt(0)
	s_sub_u32 s12, s0, s10
	s_subb_u32 s13, s1, 0
	s_sub_u32 s14, s2, s10
	s_subb_u32 s15, s3, 0
	s_add_i32 s11, s11, s7
	s_mul_i32 s19, s13, s16
	s_add_i32 s17, s11, s7
	s_mul_hi_u32 s7, s12, s16
	s_mul_i32 s11, s12, s17
	s_mul_i32 s18, s12, s16
	s_add_i32 s7, s7, s11
	s_add_i32 s19, s7, s19
	s_sub_u32 s23, s14, s12
	s_subb_u32 s7, s15, s13
	s_mul_i32 s11, s23, s9
	s_mul_hi_u32 s24, s23, s8
	s_mul_i32 s25, s7, s8
	s_add_i32 s11, s24, s11
	s_mul_i32 s26, s23, s8
	s_add_i32 s11, s11, s25
	s_add_u32 s24, s26, s22
	s_addc_u32 s25, s11, 0
	s_add_u32 s24, s24, s18
	s_addc_u32 s25, s25, s19
	v_mad_u64_u32 v[3:4], null, s26, v2, s[24:25]
	s_mul_hi_u32 s25, s8, s6
	s_mul_i32 s24, s8, s6
	v_mov_b32_e32 v1, v4
	v_mad_u64_u32 v[4:5], null, s11, v2, v[1:2]
	s_mul_i32 s11, s9, s6
	v_cmp_ge_i64_e64 s6, s[0:1], s[2:3]
	s_add_i32 s25, s25, s11
	v_lshlrev_b32_e32 v1, 3, v2
	s_lshl_b64 s[2:3], s[24:25], 3
	s_mov_b32 s11, 0
	s_add_u32 s2, s20, s2
	s_addc_u32 s3, s21, s3
	s_and_b32 vcc_lo, exec_lo, s6
	global_store_dwordx2 v1, v[3:4], s[2:3] offset:8
	s_cbranch_vccnz .LBB100_6
; %bb.4:
	v_mad_u64_u32 v[3:4], null, s8, v0, 0
	v_mad_u64_u32 v[5:6], null, s8, v2, 0
	s_clause 0x3
	s_load_dwordx2 s[20:21], s[4:5], 0x30
	s_load_dwordx2 s[2:3], s[4:5], 0x48
	s_load_dword s6, s[4:5], 0x0
	s_load_dwordx2 s[24:25], s[4:5], 0x20
	s_mul_i32 s26, s8, s13
	s_mul_hi_u32 s27, s8, s12
	s_load_dwordx2 s[4:5], s[4:5], 0x58
	v_mad_u64_u32 v[7:8], null, s9, v0, v[4:5]
	v_mad_u64_u32 v[8:9], null, s9, v2, v[6:7]
	v_mov_b32_e32 v4, v7
	v_lshlrev_b32_e32 v7, 3, v0
	s_waitcnt lgkmcnt(0)
	s_cmp_eq_u32 s6, 0
	v_lshlrev_b64 v[3:4], 3, v[3:4]
	v_mov_b32_e32 v6, v8
	v_add_co_u32 v3, vcc_lo, s24, v3
	v_lshlrev_b64 v[5:6], 3, v[5:6]
	v_add_co_ci_u32_e64 v4, null, s25, v4, vcc_lo
	v_add_co_u32 v5, vcc_lo, s24, v5
	v_add_co_ci_u32_e64 v6, null, s25, v6, vcc_lo
	v_add_co_u32 v8, vcc_lo, v3, v1
	;; [unrolled: 2-line block ×3, first 2 shown]
	v_add_co_ci_u32_e64 v6, null, 0, v6, vcc_lo
	s_cselect_b32 vcc_lo, -1, 0
	s_add_i32 s6, s27, s26
	s_mul_i32 s24, s9, s12
	v_cndmask_b32_e32 v8, v8, v5, vcc_lo
	s_add_i32 s25, s6, s24
	s_mul_i32 s24, s8, s12
	v_cndmask_b32_e32 v6, v9, v6, vcc_lo
	v_mad_u64_u32 v[3:4], null, v2, s23, s[24:25]
	s_lshl_b64 s[18:19], s[18:19], 3
	v_add_co_u32 v0, s6, v0, s22
	s_lshl_b64 s[0:1], s[0:1], 3
	s_lshl_b64 s[22:23], s[10:11], 3
	v_mov_b32_e32 v1, v4
	v_mul_lo_u32 v4, s9, v3
	v_mad_u64_u32 v[1:2], null, v2, s7, v[1:2]
	v_mad_u64_u32 v[2:3], null, s8, v3, 0
	v_mul_lo_u32 v10, s8, v1
	v_add_co_ci_u32_e64 v1, null, 0, 0, s6
	s_lshl_b64 s[6:7], s[16:17], 3
	s_lshl_b64 s[16:17], s[8:9], 3
	s_sub_u32 s0, s0, s22
	s_subb_u32 s1, s1, s23
	s_add_u32 s0, s20, s0
	v_add3_u32 v3, v3, v10, v4
	s_addc_u32 s1, s21, s1
	v_lshlrev_b64 v[4:5], 3, v[2:3]
	v_add_co_u32 v2, vcc_lo, v8, s18
	v_add_co_ci_u32_e64 v3, null, s19, v6, vcc_lo
	v_add_co_u32 v4, vcc_lo, v4, v7
	v_add_co_ci_u32_e64 v5, null, 0, v5, vcc_lo
	s_inst_prefetch 0x1
	.p2align	6
.LBB100_5:                              ; =>This Inner Loop Header: Depth=1
	global_load_dwordx2 v[6:7], v[2:3], off
	s_load_dwordx2 s[18:19], s[0:1], 0x0
	v_add_co_u32 v8, vcc_lo, s4, v4
	v_add_co_ci_u32_e64 v9, null, s5, v5, vcc_lo
	v_add_co_u32 v10, vcc_lo, s2, v4
	v_add_co_ci_u32_e64 v11, null, s3, v5, vcc_lo
	;; [unrolled: 2-line block ×4, first 2 shown]
	s_waitcnt lgkmcnt(0)
	s_sub_u32 s11, s18, s10
	s_subb_u32 s18, s19, 0
	v_mad_u64_u32 v[12:13], null, s11, s8, v[0:1]
	s_add_u32 s12, s12, 1
	s_addc_u32 s13, s13, 0
	s_mul_i32 s11, s11, s9
	v_cmp_lt_i64_e64 s19, s[12:13], s[14:15]
	s_mul_i32 s18, s18, s8
	s_add_u32 s0, s0, 8
	v_add3_u32 v13, s11, s18, v13
	s_addc_u32 s1, s1, 0
	global_store_dwordx2 v[8:9], v[12:13], off
	s_waitcnt vmcnt(0)
	global_store_dwordx2 v[10:11], v[6:7], off
	s_and_b32 vcc_lo, exec_lo, s19
	s_cbranch_vccnz .LBB100_5
.LBB100_6:
	s_inst_prefetch 0x2
	s_endpgm
	.section	.rodata,"a",@progbits
	.p2align	6, 0x0
	.amdhsa_kernel _ZN9rocsparseL33bsr2csr_block_per_row_8_32_kernelILj1024ELj32ElllEEv20rocsparse_direction_T3_S2_21rocsparse_index_base_PKT1_PKT2_PKS2_S2_S3_PS4_PS7_PS2_
		.amdhsa_group_segment_fixed_size 0
		.amdhsa_private_segment_fixed_size 0
		.amdhsa_kernarg_size 96
		.amdhsa_user_sgpr_count 6
		.amdhsa_user_sgpr_private_segment_buffer 1
		.amdhsa_user_sgpr_dispatch_ptr 0
		.amdhsa_user_sgpr_queue_ptr 0
		.amdhsa_user_sgpr_kernarg_segment_ptr 1
		.amdhsa_user_sgpr_dispatch_id 0
		.amdhsa_user_sgpr_flat_scratch_init 0
		.amdhsa_user_sgpr_private_segment_size 0
		.amdhsa_wavefront_size32 1
		.amdhsa_uses_dynamic_stack 0
		.amdhsa_system_sgpr_private_segment_wavefront_offset 0
		.amdhsa_system_sgpr_workgroup_id_x 1
		.amdhsa_system_sgpr_workgroup_id_y 0
		.amdhsa_system_sgpr_workgroup_id_z 0
		.amdhsa_system_sgpr_workgroup_info 0
		.amdhsa_system_vgpr_workitem_id 0
		.amdhsa_next_free_vgpr 14
		.amdhsa_next_free_sgpr 28
		.amdhsa_reserve_vcc 1
		.amdhsa_reserve_flat_scratch 0
		.amdhsa_float_round_mode_32 0
		.amdhsa_float_round_mode_16_64 0
		.amdhsa_float_denorm_mode_32 3
		.amdhsa_float_denorm_mode_16_64 3
		.amdhsa_dx10_clamp 1
		.amdhsa_ieee_mode 1
		.amdhsa_fp16_overflow 0
		.amdhsa_workgroup_processor_mode 1
		.amdhsa_memory_ordered 1
		.amdhsa_forward_progress 1
		.amdhsa_shared_vgpr_count 0
		.amdhsa_exception_fp_ieee_invalid_op 0
		.amdhsa_exception_fp_denorm_src 0
		.amdhsa_exception_fp_ieee_div_zero 0
		.amdhsa_exception_fp_ieee_overflow 0
		.amdhsa_exception_fp_ieee_underflow 0
		.amdhsa_exception_fp_ieee_inexact 0
		.amdhsa_exception_int_div_zero 0
	.end_amdhsa_kernel
	.section	.text._ZN9rocsparseL33bsr2csr_block_per_row_8_32_kernelILj1024ELj32ElllEEv20rocsparse_direction_T3_S2_21rocsparse_index_base_PKT1_PKT2_PKS2_S2_S3_PS4_PS7_PS2_,"axG",@progbits,_ZN9rocsparseL33bsr2csr_block_per_row_8_32_kernelILj1024ELj32ElllEEv20rocsparse_direction_T3_S2_21rocsparse_index_base_PKT1_PKT2_PKS2_S2_S3_PS4_PS7_PS2_,comdat
.Lfunc_end100:
	.size	_ZN9rocsparseL33bsr2csr_block_per_row_8_32_kernelILj1024ELj32ElllEEv20rocsparse_direction_T3_S2_21rocsparse_index_base_PKT1_PKT2_PKS2_S2_S3_PS4_PS7_PS2_, .Lfunc_end100-_ZN9rocsparseL33bsr2csr_block_per_row_8_32_kernelILj1024ELj32ElllEEv20rocsparse_direction_T3_S2_21rocsparse_index_base_PKT1_PKT2_PKS2_S2_S3_PS4_PS7_PS2_
                                        ; -- End function
	.set _ZN9rocsparseL33bsr2csr_block_per_row_8_32_kernelILj1024ELj32ElllEEv20rocsparse_direction_T3_S2_21rocsparse_index_base_PKT1_PKT2_PKS2_S2_S3_PS4_PS7_PS2_.num_vgpr, 14
	.set _ZN9rocsparseL33bsr2csr_block_per_row_8_32_kernelILj1024ELj32ElllEEv20rocsparse_direction_T3_S2_21rocsparse_index_base_PKT1_PKT2_PKS2_S2_S3_PS4_PS7_PS2_.num_agpr, 0
	.set _ZN9rocsparseL33bsr2csr_block_per_row_8_32_kernelILj1024ELj32ElllEEv20rocsparse_direction_T3_S2_21rocsparse_index_base_PKT1_PKT2_PKS2_S2_S3_PS4_PS7_PS2_.numbered_sgpr, 28
	.set _ZN9rocsparseL33bsr2csr_block_per_row_8_32_kernelILj1024ELj32ElllEEv20rocsparse_direction_T3_S2_21rocsparse_index_base_PKT1_PKT2_PKS2_S2_S3_PS4_PS7_PS2_.num_named_barrier, 0
	.set _ZN9rocsparseL33bsr2csr_block_per_row_8_32_kernelILj1024ELj32ElllEEv20rocsparse_direction_T3_S2_21rocsparse_index_base_PKT1_PKT2_PKS2_S2_S3_PS4_PS7_PS2_.private_seg_size, 0
	.set _ZN9rocsparseL33bsr2csr_block_per_row_8_32_kernelILj1024ELj32ElllEEv20rocsparse_direction_T3_S2_21rocsparse_index_base_PKT1_PKT2_PKS2_S2_S3_PS4_PS7_PS2_.uses_vcc, 1
	.set _ZN9rocsparseL33bsr2csr_block_per_row_8_32_kernelILj1024ELj32ElllEEv20rocsparse_direction_T3_S2_21rocsparse_index_base_PKT1_PKT2_PKS2_S2_S3_PS4_PS7_PS2_.uses_flat_scratch, 0
	.set _ZN9rocsparseL33bsr2csr_block_per_row_8_32_kernelILj1024ELj32ElllEEv20rocsparse_direction_T3_S2_21rocsparse_index_base_PKT1_PKT2_PKS2_S2_S3_PS4_PS7_PS2_.has_dyn_sized_stack, 0
	.set _ZN9rocsparseL33bsr2csr_block_per_row_8_32_kernelILj1024ELj32ElllEEv20rocsparse_direction_T3_S2_21rocsparse_index_base_PKT1_PKT2_PKS2_S2_S3_PS4_PS7_PS2_.has_recursion, 0
	.set _ZN9rocsparseL33bsr2csr_block_per_row_8_32_kernelILj1024ELj32ElllEEv20rocsparse_direction_T3_S2_21rocsparse_index_base_PKT1_PKT2_PKS2_S2_S3_PS4_PS7_PS2_.has_indirect_call, 0
	.section	.AMDGPU.csdata,"",@progbits
; Kernel info:
; codeLenInByte = 880
; TotalNumSgprs: 30
; NumVgprs: 14
; ScratchSize: 0
; MemoryBound: 0
; FloatMode: 240
; IeeeMode: 1
; LDSByteSize: 0 bytes/workgroup (compile time only)
; SGPRBlocks: 0
; VGPRBlocks: 1
; NumSGPRsForWavesPerEU: 30
; NumVGPRsForWavesPerEU: 14
; Occupancy: 16
; WaveLimiterHint : 0
; COMPUTE_PGM_RSRC2:SCRATCH_EN: 0
; COMPUTE_PGM_RSRC2:USER_SGPR: 6
; COMPUTE_PGM_RSRC2:TRAP_HANDLER: 0
; COMPUTE_PGM_RSRC2:TGID_X_EN: 1
; COMPUTE_PGM_RSRC2:TGID_Y_EN: 0
; COMPUTE_PGM_RSRC2:TGID_Z_EN: 0
; COMPUTE_PGM_RSRC2:TIDIG_COMP_CNT: 0
	.section	.text._ZN9rocsparseL35bsr2csr_block_per_row_33_256_kernelILj1024ELj64ELj32ElllEEv20rocsparse_direction_T4_S2_21rocsparse_index_base_PKT2_PKT3_PKS2_S2_S3_PS4_PS7_PS2_,"axG",@progbits,_ZN9rocsparseL35bsr2csr_block_per_row_33_256_kernelILj1024ELj64ELj32ElllEEv20rocsparse_direction_T4_S2_21rocsparse_index_base_PKT2_PKT3_PKS2_S2_S3_PS4_PS7_PS2_,comdat
	.globl	_ZN9rocsparseL35bsr2csr_block_per_row_33_256_kernelILj1024ELj64ELj32ElllEEv20rocsparse_direction_T4_S2_21rocsparse_index_base_PKT2_PKT3_PKS2_S2_S3_PS4_PS7_PS2_ ; -- Begin function _ZN9rocsparseL35bsr2csr_block_per_row_33_256_kernelILj1024ELj64ELj32ElllEEv20rocsparse_direction_T4_S2_21rocsparse_index_base_PKT2_PKT3_PKS2_S2_S3_PS4_PS7_PS2_
	.p2align	8
	.type	_ZN9rocsparseL35bsr2csr_block_per_row_33_256_kernelILj1024ELj64ELj32ElllEEv20rocsparse_direction_T4_S2_21rocsparse_index_base_PKT2_PKT3_PKS2_S2_S3_PS4_PS7_PS2_,@function
_ZN9rocsparseL35bsr2csr_block_per_row_33_256_kernelILj1024ELj64ELj32ElllEEv20rocsparse_direction_T4_S2_21rocsparse_index_base_PKT2_PKT3_PKS2_S2_S3_PS4_PS7_PS2_: ; @_ZN9rocsparseL35bsr2csr_block_per_row_33_256_kernelILj1024ELj64ELj32ElllEEv20rocsparse_direction_T4_S2_21rocsparse_index_base_PKT2_PKT3_PKS2_S2_S3_PS4_PS7_PS2_
; %bb.0:
	s_load_dwordx2 s[0:1], s[4:5], 0x28
	s_mov_b32 s13, 0
	s_clause 0x1
	s_load_dword s14, s[4:5], 0x40
	s_load_dwordx2 s[2:3], s[4:5], 0x50
	s_mov_b32 s7, s13
	v_or_b32_e32 v1, s6, v0
	s_lshl_b64 s[8:9], s[6:7], 3
	s_waitcnt lgkmcnt(0)
	s_add_u32 s0, s0, s8
	s_addc_u32 s1, s1, s9
	s_load_dwordx4 s[8:11], s[0:1], 0x0
	s_mov_b32 s0, exec_lo
	v_cmpx_eq_u32_e32 0, v1
	s_cbranch_execz .LBB101_2
; %bb.1:
	s_mov_b32 s15, s13
	v_mov_b32_e32 v1, s14
	v_mov_b32_e32 v3, 0
	;; [unrolled: 1-line block ×3, first 2 shown]
	global_store_dwordx2 v3, v[1:2], s[2:3]
.LBB101_2:
	s_or_b32 exec_lo, exec_lo, s0
	s_clause 0x1
	s_load_dword s12, s[4:5], 0x18
	s_load_dwordx2 s[16:17], s[4:5], 0x38
	v_mov_b32_e32 v10, 0
	v_lshrrev_b32_e32 v9, 5, v0
	v_lshlrev_b32_e32 v11, 3, v9
	s_waitcnt lgkmcnt(0)
	s_sub_u32 s18, s8, s12
	s_subb_u32 s19, s9, 0
	s_mul_hi_u32 s0, s16, s18
	s_mul_i32 s20, s16, s19
	s_mul_i32 s1, s17, s6
	s_mul_hi_u32 s25, s16, s6
	s_mul_i32 s24, s16, s6
	s_sub_u32 s6, s10, s12
	s_mul_i32 s15, s17, s18
	s_mul_i32 s22, s16, s18
	s_subb_u32 s7, s11, 0
	s_add_i32 s0, s0, s20
	s_mul_i32 s21, s22, s17
	s_mul_hi_u32 s20, s22, s16
	s_add_i32 s23, s0, s15
	s_add_i32 s0, s20, s21
	s_mul_i32 s15, s23, s16
	s_mul_i32 s20, s22, s16
	s_add_i32 s21, s0, s15
	s_sub_u32 s34, s6, s18
	s_subb_u32 s33, s7, s19
	s_mul_i32 s0, s34, s17
	s_mul_hi_u32 s15, s34, s16
	s_mul_i32 s26, s33, s16
	s_add_i32 s0, s15, s0
	s_mul_i32 s15, s34, s16
	s_add_i32 s0, s0, s26
	s_add_u32 s20, s20, s14
	s_addc_u32 s21, s21, 0
	s_add_u32 s20, s20, s15
	s_addc_u32 s21, s21, s0
	s_add_i32 s25, s25, s1
	v_cmp_gt_i64_e64 s1, s[16:17], v[9:10]
	s_lshl_b64 s[24:25], s[24:25], 3
	s_add_u32 s24, s2, s24
	s_addc_u32 s25, s3, s25
	s_and_saveexec_b32 s2, s1
	s_cbranch_execz .LBB101_4
; %bb.3:
	v_mad_u64_u32 v[1:2], null, v9, s15, s[20:21]
	v_mad_u64_u32 v[2:3], null, v9, s0, v[2:3]
	global_store_dwordx2 v11, v[1:2], s[24:25] offset:8
.LBB101_4:
	s_or_b32 exec_lo, exec_lo, s2
	v_or_b32_e32 v1, 32, v9
	v_mov_b32_e32 v2, v10
	v_cmp_gt_i64_e64 s2, s[16:17], v[1:2]
	s_and_saveexec_b32 s3, s2
	s_cbranch_execz .LBB101_6
; %bb.5:
	v_mad_u64_u32 v[2:3], null, v1, s15, s[20:21]
	v_mad_u64_u32 v[3:4], null, v1, s0, v[3:4]
	global_store_dwordx2 v11, v[2:3], s[24:25] offset:264
.LBB101_6:
	s_or_b32 exec_lo, exec_lo, s3
	v_cmp_lt_i64_e64 s0, s[8:9], s[10:11]
	s_and_b32 vcc_lo, exec_lo, s0
	s_cbranch_vccz .LBB101_17
; %bb.7:
	s_clause 0x4
	s_load_dwordx2 s[28:29], s[4:5], 0x30
	s_load_dwordx2 s[24:25], s[4:5], 0x48
	s_load_dword s0, s[4:5], 0x0
	s_load_dwordx2 s[20:21], s[4:5], 0x20
	s_load_dwordx2 s[26:27], s[4:5], 0x58
	v_and_b32_e32 v0, 31, v0
	v_mov_b32_e32 v1, 0
	s_mul_i32 s5, s16, s17
	s_mul_hi_u32 s31, s16, s16
	v_mad_u64_u32 v[14:15], null, v9, s34, s[22:23]
	v_or_b32_e32 v2, 32, v0
	v_mov_b32_e32 v3, v1
	v_cmp_gt_i64_e32 vcc_lo, s[16:17], v[0:1]
	v_mov_b32_e32 v12, v1
	v_lshlrev_b32_e32 v13, 3, v0
	s_mul_i32 s4, s16, s16
	v_cmp_gt_i64_e64 s3, s[16:17], v[2:3]
	v_mul_lo_u32 v25, s17, v14
	s_waitcnt lgkmcnt(0)
	s_cmp_eq_u32 s0, 0
	s_cselect_b32 s0, -1, 0
	s_lshl_b64 s[36:37], s[22:23], 3
	s_add_i32 s35, s31, s5
	v_add_co_u32 v1, s30, s36, v11
	v_add_co_ci_u32_e64 v5, null, s37, 0, s30
	s_and_b32 s15, s1, vcc_lo
	s_and_b32 s30, s1, s3
	v_add_co_u32 v3, s1, 0x100, v1
	s_add_i32 s5, s35, s5
	v_add_co_ci_u32_e64 v4, null, 0, v5, s1
	s_and_b32 s1, s2, vcc_lo
	s_and_b32 s31, s2, s3
	s_lshl_b64 s[2:3], s[4:5], 3
	v_add_co_u32 v19, s4, s36, v13
	v_add_co_ci_u32_e64 v10, null, s37, 0, s4
	v_mul_lo_u32 v20, s16, v5
	v_mul_lo_u32 v21, s17, v1
	v_mad_u64_u32 v[5:6], null, s16, v1, s[20:21]
	v_mov_b32_e32 v1, v15
	v_add_co_u32 v7, vcc_lo, 0x100, v19
	s_lshl_b64 s[4:5], s[8:9], 3
	s_lshl_b64 s[22:23], s[12:13], 3
	v_add_co_ci_u32_e64 v8, null, 0, v10, vcc_lo
	v_mul_lo_u32 v24, s16, v10
	v_mad_u64_u32 v[9:10], null, v9, s33, v[1:2]
	s_sub_u32 s4, s4, s22
	s_subb_u32 s5, s5, s23
	s_add_u32 s4, s28, s4
	s_addc_u32 s5, s29, s5
	s_lshl_b64 s[10:11], s[10:11], 5
	s_lshl_b64 s[8:9], s[8:9], 5
	v_add_co_u32 v10, vcc_lo, v14, s10
	v_mul_lo_u32 v26, s16, v9
	v_add_co_ci_u32_e64 v9, null, s11, v9, vcc_lo
	v_mad_u64_u32 v[15:16], null, s16, v14, 0
	v_sub_co_u32 v14, vcc_lo, v10, s8
	v_subrev_co_ci_u32_e64 v27, null, s9, v9, vcc_lo
	v_mul_lo_u32 v22, s16, v8
	v_mul_lo_u32 v23, s17, v7
	v_mad_u64_u32 v[7:8], null, s16, v7, v[11:12]
	v_mul_lo_u32 v1, s17, v19
	v_mad_u64_u32 v[9:10], null, s16, v19, v[11:12]
	v_add3_u32 v16, v16, v26, v25
	v_mul_lo_u32 v19, s17, v14
	v_mul_lo_u32 v25, s16, v27
	v_mad_u64_u32 v[11:12], null, s16, v14, 0
	v_mul_lo_u32 v17, s16, v4
	v_mul_lo_u32 v18, s17, v3
	v_mad_u64_u32 v[3:4], null, s16, v3, s[20:21]
	v_lshlrev_b64 v[14:15], 3, v[15:16]
	v_add3_u32 v10, v1, v10, v24
	v_add3_u32 v12, v12, v25, v19
	;; [unrolled: 1-line block ×4, first 2 shown]
	s_lshl_b64 s[8:9], s[16:17], 3
	v_add3_u32 v4, v18, v4, v17
	v_add_co_u32 v17, vcc_lo, 0x100, v14
	v_add_co_ci_u32_e64 v18, null, 0, v15, vcc_lo
	v_lshlrev_b64 v[15:16], 3, v[11:12]
	v_add_co_u32 v1, vcc_lo, s26, v17
	v_add_co_ci_u32_e64 v11, null, s27, v18, vcc_lo
	v_add_co_u32 v12, vcc_lo, s24, v15
	v_add_co_ci_u32_e64 v14, null, s25, v16, vcc_lo
	v_add_co_u32 v15, vcc_lo, s26, v15
	v_add_co_ci_u32_e64 v16, null, s27, v16, vcc_lo
	v_add_co_u32 v17, vcc_lo, s24, v17
	v_add_co_ci_u32_e64 v18, null, s25, v18, vcc_lo
	s_branch .LBB101_9
.LBB101_8:                              ;   in Loop: Header=BB101_9 Depth=1
	s_or_b32 exec_lo, exec_lo, s13
	v_add_co_u32 v3, vcc_lo, v3, s2
	v_add_co_ci_u32_e64 v4, null, s3, v4, vcc_lo
	v_add_co_u32 v5, vcc_lo, v5, s2
	v_add_co_ci_u32_e64 v6, null, s3, v6, vcc_lo
	v_add_co_u32 v1, vcc_lo, v1, s8
	s_add_u32 s18, s18, 1
	v_add_co_ci_u32_e64 v11, null, s9, v11, vcc_lo
	v_add_co_u32 v12, vcc_lo, v12, s8
	s_addc_u32 s19, s19, 0
	v_add_co_ci_u32_e64 v14, null, s9, v14, vcc_lo
	v_add_co_u32 v15, vcc_lo, v15, s8
	v_cmp_ge_i64_e64 s10, s[18:19], s[6:7]
	v_add_co_ci_u32_e64 v16, null, s9, v16, vcc_lo
	v_add_co_u32 v17, vcc_lo, v17, s8
	s_add_u32 s20, s20, s2
	v_add_co_ci_u32_e64 v18, null, s9, v18, vcc_lo
	s_addc_u32 s21, s21, s3
	s_add_u32 s4, s4, 8
	s_addc_u32 s5, s5, 0
	s_and_b32 vcc_lo, exec_lo, s10
	s_cbranch_vccnz .LBB101_17
.LBB101_9:                              ; =>This Inner Loop Header: Depth=1
	s_load_dwordx2 s[10:11], s[4:5], 0x0
	s_waitcnt lgkmcnt(0)
	s_sub_u32 s10, s10, s12
	s_subb_u32 s11, s11, 0
	s_mul_i32 s13, s10, s17
	s_mul_hi_u32 s22, s10, s16
	s_mul_i32 s11, s11, s16
	s_add_i32 s13, s22, s13
	s_mul_i32 s10, s10, s16
	s_add_i32 s13, s13, s11
	s_add_u32 s10, s10, s14
	s_addc_u32 s11, s13, 0
	s_and_saveexec_b32 s13, s15
	s_cbranch_execnz .LBB101_13
; %bb.10:                               ;   in Loop: Header=BB101_9 Depth=1
	s_or_b32 exec_lo, exec_lo, s13
	s_and_saveexec_b32 s13, s30
	s_cbranch_execnz .LBB101_14
.LBB101_11:                             ;   in Loop: Header=BB101_9 Depth=1
	s_or_b32 exec_lo, exec_lo, s13
	s_and_saveexec_b32 s13, s1
	s_cbranch_execnz .LBB101_15
.LBB101_12:                             ;   in Loop: Header=BB101_9 Depth=1
	s_or_b32 exec_lo, exec_lo, s13
	s_and_saveexec_b32 s13, s31
	s_cbranch_execz .LBB101_8
	s_branch .LBB101_16
.LBB101_13:                             ;   in Loop: Header=BB101_9 Depth=1
	v_add_co_u32 v19, vcc_lo, v5, v13
	v_add_co_ci_u32_e64 v20, null, 0, v6, vcc_lo
	v_add_co_u32 v21, vcc_lo, s20, v9
	v_add_co_ci_u32_e64 v22, null, s21, v10, vcc_lo
	v_add_co_u32 v23, vcc_lo, v1, v13
	v_cndmask_b32_e64 v19, v21, v19, s0
	v_cndmask_b32_e64 v20, v22, v20, s0
	v_add_co_u32 v21, s22, s10, v0
	v_add_co_ci_u32_e64 v24, null, 0, v11, vcc_lo
	global_load_dwordx2 v[19:20], v[19:20], off
	v_add_co_u32 v25, vcc_lo, v17, v13
	v_add_co_ci_u32_e64 v22, null, s11, 0, s22
	v_add_co_ci_u32_e64 v26, null, 0, v18, vcc_lo
	global_store_dwordx2 v[23:24], v[21:22], off offset:-256
	s_waitcnt vmcnt(0)
	global_store_dwordx2 v[25:26], v[19:20], off offset:-256
	s_or_b32 exec_lo, exec_lo, s13
	s_and_saveexec_b32 s13, s30
	s_cbranch_execz .LBB101_11
.LBB101_14:                             ;   in Loop: Header=BB101_9 Depth=1
	v_add_co_u32 v19, vcc_lo, v5, v13
	v_add_co_ci_u32_e64 v20, null, 0, v6, vcc_lo
	v_add_co_u32 v19, vcc_lo, 0x100, v19
	v_add_co_ci_u32_e64 v20, null, 0, v20, vcc_lo
	;; [unrolled: 2-line block ×3, first 2 shown]
	v_add_co_u32 v23, vcc_lo, v1, v13
	v_cndmask_b32_e64 v19, v21, v19, s0
	v_cndmask_b32_e64 v20, v22, v20, s0
	v_add_co_u32 v21, s22, s10, v2
	v_add_co_ci_u32_e64 v24, null, 0, v11, vcc_lo
	global_load_dwordx2 v[19:20], v[19:20], off
	v_add_co_u32 v25, vcc_lo, v17, v13
	v_add_co_ci_u32_e64 v22, null, s11, 0, s22
	v_add_co_ci_u32_e64 v26, null, 0, v18, vcc_lo
	global_store_dwordx2 v[23:24], v[21:22], off
	s_waitcnt vmcnt(0)
	global_store_dwordx2 v[25:26], v[19:20], off
	s_or_b32 exec_lo, exec_lo, s13
	s_and_saveexec_b32 s13, s1
	s_cbranch_execz .LBB101_12
.LBB101_15:                             ;   in Loop: Header=BB101_9 Depth=1
	v_add_co_u32 v19, vcc_lo, s20, v9
	v_add_co_ci_u32_e64 v20, null, s21, v10, vcc_lo
	v_add_co_u32 v21, vcc_lo, v3, v13
	v_add_co_ci_u32_e64 v22, null, 0, v4, vcc_lo
	;; [unrolled: 2-line block ×3, first 2 shown]
	v_add_co_u32 v23, vcc_lo, v15, v13
	v_cndmask_b32_e64 v19, v19, v21, s0
	v_cndmask_b32_e64 v20, v20, v22, s0
	v_add_co_u32 v21, s22, s10, v0
	v_add_co_ci_u32_e64 v24, null, 0, v16, vcc_lo
	global_load_dwordx2 v[19:20], v[19:20], off
	v_add_co_u32 v25, vcc_lo, v12, v13
	v_add_co_ci_u32_e64 v22, null, s11, 0, s22
	v_add_co_ci_u32_e64 v26, null, 0, v14, vcc_lo
	global_store_dwordx2 v[23:24], v[21:22], off
	s_waitcnt vmcnt(0)
	global_store_dwordx2 v[25:26], v[19:20], off
	s_or_b32 exec_lo, exec_lo, s13
	s_and_saveexec_b32 s13, s31
	s_cbranch_execz .LBB101_8
.LBB101_16:                             ;   in Loop: Header=BB101_9 Depth=1
	v_add_co_u32 v19, vcc_lo, v3, v13
	v_add_co_ci_u32_e64 v20, null, 0, v4, vcc_lo
	v_add_co_u32 v21, vcc_lo, s20, v7
	v_add_co_ci_u32_e64 v22, null, s21, v8, vcc_lo
	v_add_co_u32 v23, vcc_lo, v15, v13
	v_cndmask_b32_e64 v19, v21, v19, s0
	v_cndmask_b32_e64 v20, v22, v20, s0
	v_add_co_u32 v21, s10, s10, v2
	v_add_co_ci_u32_e64 v24, null, 0, v16, vcc_lo
	global_load_dwordx2 v[19:20], v[19:20], off offset:256
	v_add_co_u32 v25, vcc_lo, v12, v13
	v_add_co_ci_u32_e64 v22, null, s11, 0, s10
	v_add_co_ci_u32_e64 v26, null, 0, v14, vcc_lo
	global_store_dwordx2 v[23:24], v[21:22], off offset:256
	s_waitcnt vmcnt(0)
	global_store_dwordx2 v[25:26], v[19:20], off offset:256
	s_branch .LBB101_8
.LBB101_17:
	s_endpgm
	.section	.rodata,"a",@progbits
	.p2align	6, 0x0
	.amdhsa_kernel _ZN9rocsparseL35bsr2csr_block_per_row_33_256_kernelILj1024ELj64ELj32ElllEEv20rocsparse_direction_T4_S2_21rocsparse_index_base_PKT2_PKT3_PKS2_S2_S3_PS4_PS7_PS2_
		.amdhsa_group_segment_fixed_size 0
		.amdhsa_private_segment_fixed_size 0
		.amdhsa_kernarg_size 96
		.amdhsa_user_sgpr_count 6
		.amdhsa_user_sgpr_private_segment_buffer 1
		.amdhsa_user_sgpr_dispatch_ptr 0
		.amdhsa_user_sgpr_queue_ptr 0
		.amdhsa_user_sgpr_kernarg_segment_ptr 1
		.amdhsa_user_sgpr_dispatch_id 0
		.amdhsa_user_sgpr_flat_scratch_init 0
		.amdhsa_user_sgpr_private_segment_size 0
		.amdhsa_wavefront_size32 1
		.amdhsa_uses_dynamic_stack 0
		.amdhsa_system_sgpr_private_segment_wavefront_offset 0
		.amdhsa_system_sgpr_workgroup_id_x 1
		.amdhsa_system_sgpr_workgroup_id_y 0
		.amdhsa_system_sgpr_workgroup_id_z 0
		.amdhsa_system_sgpr_workgroup_info 0
		.amdhsa_system_vgpr_workitem_id 0
		.amdhsa_next_free_vgpr 28
		.amdhsa_next_free_sgpr 38
		.amdhsa_reserve_vcc 1
		.amdhsa_reserve_flat_scratch 0
		.amdhsa_float_round_mode_32 0
		.amdhsa_float_round_mode_16_64 0
		.amdhsa_float_denorm_mode_32 3
		.amdhsa_float_denorm_mode_16_64 3
		.amdhsa_dx10_clamp 1
		.amdhsa_ieee_mode 1
		.amdhsa_fp16_overflow 0
		.amdhsa_workgroup_processor_mode 1
		.amdhsa_memory_ordered 1
		.amdhsa_forward_progress 1
		.amdhsa_shared_vgpr_count 0
		.amdhsa_exception_fp_ieee_invalid_op 0
		.amdhsa_exception_fp_denorm_src 0
		.amdhsa_exception_fp_ieee_div_zero 0
		.amdhsa_exception_fp_ieee_overflow 0
		.amdhsa_exception_fp_ieee_underflow 0
		.amdhsa_exception_fp_ieee_inexact 0
		.amdhsa_exception_int_div_zero 0
	.end_amdhsa_kernel
	.section	.text._ZN9rocsparseL35bsr2csr_block_per_row_33_256_kernelILj1024ELj64ELj32ElllEEv20rocsparse_direction_T4_S2_21rocsparse_index_base_PKT2_PKT3_PKS2_S2_S3_PS4_PS7_PS2_,"axG",@progbits,_ZN9rocsparseL35bsr2csr_block_per_row_33_256_kernelILj1024ELj64ELj32ElllEEv20rocsparse_direction_T4_S2_21rocsparse_index_base_PKT2_PKT3_PKS2_S2_S3_PS4_PS7_PS2_,comdat
.Lfunc_end101:
	.size	_ZN9rocsparseL35bsr2csr_block_per_row_33_256_kernelILj1024ELj64ELj32ElllEEv20rocsparse_direction_T4_S2_21rocsparse_index_base_PKT2_PKT3_PKS2_S2_S3_PS4_PS7_PS2_, .Lfunc_end101-_ZN9rocsparseL35bsr2csr_block_per_row_33_256_kernelILj1024ELj64ELj32ElllEEv20rocsparse_direction_T4_S2_21rocsparse_index_base_PKT2_PKT3_PKS2_S2_S3_PS4_PS7_PS2_
                                        ; -- End function
	.set _ZN9rocsparseL35bsr2csr_block_per_row_33_256_kernelILj1024ELj64ELj32ElllEEv20rocsparse_direction_T4_S2_21rocsparse_index_base_PKT2_PKT3_PKS2_S2_S3_PS4_PS7_PS2_.num_vgpr, 28
	.set _ZN9rocsparseL35bsr2csr_block_per_row_33_256_kernelILj1024ELj64ELj32ElllEEv20rocsparse_direction_T4_S2_21rocsparse_index_base_PKT2_PKT3_PKS2_S2_S3_PS4_PS7_PS2_.num_agpr, 0
	.set _ZN9rocsparseL35bsr2csr_block_per_row_33_256_kernelILj1024ELj64ELj32ElllEEv20rocsparse_direction_T4_S2_21rocsparse_index_base_PKT2_PKT3_PKS2_S2_S3_PS4_PS7_PS2_.numbered_sgpr, 38
	.set _ZN9rocsparseL35bsr2csr_block_per_row_33_256_kernelILj1024ELj64ELj32ElllEEv20rocsparse_direction_T4_S2_21rocsparse_index_base_PKT2_PKT3_PKS2_S2_S3_PS4_PS7_PS2_.num_named_barrier, 0
	.set _ZN9rocsparseL35bsr2csr_block_per_row_33_256_kernelILj1024ELj64ELj32ElllEEv20rocsparse_direction_T4_S2_21rocsparse_index_base_PKT2_PKT3_PKS2_S2_S3_PS4_PS7_PS2_.private_seg_size, 0
	.set _ZN9rocsparseL35bsr2csr_block_per_row_33_256_kernelILj1024ELj64ELj32ElllEEv20rocsparse_direction_T4_S2_21rocsparse_index_base_PKT2_PKT3_PKS2_S2_S3_PS4_PS7_PS2_.uses_vcc, 1
	.set _ZN9rocsparseL35bsr2csr_block_per_row_33_256_kernelILj1024ELj64ELj32ElllEEv20rocsparse_direction_T4_S2_21rocsparse_index_base_PKT2_PKT3_PKS2_S2_S3_PS4_PS7_PS2_.uses_flat_scratch, 0
	.set _ZN9rocsparseL35bsr2csr_block_per_row_33_256_kernelILj1024ELj64ELj32ElllEEv20rocsparse_direction_T4_S2_21rocsparse_index_base_PKT2_PKT3_PKS2_S2_S3_PS4_PS7_PS2_.has_dyn_sized_stack, 0
	.set _ZN9rocsparseL35bsr2csr_block_per_row_33_256_kernelILj1024ELj64ELj32ElllEEv20rocsparse_direction_T4_S2_21rocsparse_index_base_PKT2_PKT3_PKS2_S2_S3_PS4_PS7_PS2_.has_recursion, 0
	.set _ZN9rocsparseL35bsr2csr_block_per_row_33_256_kernelILj1024ELj64ELj32ElllEEv20rocsparse_direction_T4_S2_21rocsparse_index_base_PKT2_PKT3_PKS2_S2_S3_PS4_PS7_PS2_.has_indirect_call, 0
	.section	.AMDGPU.csdata,"",@progbits
; Kernel info:
; codeLenInByte = 1804
; TotalNumSgprs: 40
; NumVgprs: 28
; ScratchSize: 0
; MemoryBound: 0
; FloatMode: 240
; IeeeMode: 1
; LDSByteSize: 0 bytes/workgroup (compile time only)
; SGPRBlocks: 0
; VGPRBlocks: 3
; NumSGPRsForWavesPerEU: 40
; NumVGPRsForWavesPerEU: 28
; Occupancy: 16
; WaveLimiterHint : 1
; COMPUTE_PGM_RSRC2:SCRATCH_EN: 0
; COMPUTE_PGM_RSRC2:USER_SGPR: 6
; COMPUTE_PGM_RSRC2:TRAP_HANDLER: 0
; COMPUTE_PGM_RSRC2:TGID_X_EN: 1
; COMPUTE_PGM_RSRC2:TGID_Y_EN: 0
; COMPUTE_PGM_RSRC2:TGID_Z_EN: 0
; COMPUTE_PGM_RSRC2:TIDIG_COMP_CNT: 0
	.section	.text._ZN9rocsparseL35bsr2csr_block_per_row_33_256_kernelILj1024ELj128ELj32ElllEEv20rocsparse_direction_T4_S2_21rocsparse_index_base_PKT2_PKT3_PKS2_S2_S3_PS4_PS7_PS2_,"axG",@progbits,_ZN9rocsparseL35bsr2csr_block_per_row_33_256_kernelILj1024ELj128ELj32ElllEEv20rocsparse_direction_T4_S2_21rocsparse_index_base_PKT2_PKT3_PKS2_S2_S3_PS4_PS7_PS2_,comdat
	.globl	_ZN9rocsparseL35bsr2csr_block_per_row_33_256_kernelILj1024ELj128ELj32ElllEEv20rocsparse_direction_T4_S2_21rocsparse_index_base_PKT2_PKT3_PKS2_S2_S3_PS4_PS7_PS2_ ; -- Begin function _ZN9rocsparseL35bsr2csr_block_per_row_33_256_kernelILj1024ELj128ELj32ElllEEv20rocsparse_direction_T4_S2_21rocsparse_index_base_PKT2_PKT3_PKS2_S2_S3_PS4_PS7_PS2_
	.p2align	8
	.type	_ZN9rocsparseL35bsr2csr_block_per_row_33_256_kernelILj1024ELj128ELj32ElllEEv20rocsparse_direction_T4_S2_21rocsparse_index_base_PKT2_PKT3_PKS2_S2_S3_PS4_PS7_PS2_,@function
_ZN9rocsparseL35bsr2csr_block_per_row_33_256_kernelILj1024ELj128ELj32ElllEEv20rocsparse_direction_T4_S2_21rocsparse_index_base_PKT2_PKT3_PKS2_S2_S3_PS4_PS7_PS2_: ; @_ZN9rocsparseL35bsr2csr_block_per_row_33_256_kernelILj1024ELj128ELj32ElllEEv20rocsparse_direction_T4_S2_21rocsparse_index_base_PKT2_PKT3_PKS2_S2_S3_PS4_PS7_PS2_
; %bb.0:
	s_load_dwordx2 s[0:1], s[4:5], 0x28
	s_mov_b32 s11, 0
	s_clause 0x1
	s_load_dword s16, s[4:5], 0x40
	s_load_dwordx2 s[2:3], s[4:5], 0x50
	s_mov_b32 s7, s11
	v_or_b32_e32 v1, s6, v0
	s_lshl_b64 s[8:9], s[6:7], 3
	s_waitcnt lgkmcnt(0)
	s_add_u32 s0, s0, s8
	s_addc_u32 s1, s1, s9
	s_load_dwordx4 s[12:15], s[0:1], 0x0
	s_mov_b32 s0, exec_lo
	v_cmpx_eq_u32_e32 0, v1
	s_cbranch_execz .LBB102_2
; %bb.1:
	s_mov_b32 s17, s11
	v_mov_b32_e32 v1, s16
	v_mov_b32_e32 v3, 0
	;; [unrolled: 1-line block ×3, first 2 shown]
	global_store_dwordx2 v3, v[1:2], s[2:3]
.LBB102_2:
	s_or_b32 exec_lo, exec_lo, s0
	s_clause 0x1
	s_load_dword s10, s[4:5], 0x18
	s_load_dwordx2 s[18:19], s[4:5], 0x38
	v_mov_b32_e32 v22, 0
	v_lshrrev_b32_e32 v21, 5, v0
	v_lshlrev_b32_e32 v23, 3, v21
	s_waitcnt lgkmcnt(0)
	s_sub_u32 s20, s12, s10
	s_subb_u32 s21, s13, 0
	s_mul_hi_u32 s0, s18, s20
	s_mul_i32 s7, s18, s21
	s_sub_u32 s22, s14, s10
	s_mul_i32 s1, s19, s6
	s_mul_hi_u32 s17, s18, s6
	s_mul_i32 s24, s18, s6
	s_mul_i32 s6, s19, s20
	;; [unrolled: 1-line block ×3, first 2 shown]
	s_subb_u32 s23, s15, 0
	s_add_i32 s0, s0, s7
	s_mul_i32 s8, s28, s19
	s_mul_hi_u32 s7, s28, s18
	s_add_i32 s29, s0, s6
	s_add_i32 s0, s7, s8
	s_mul_i32 s6, s29, s18
	s_mul_i32 s8, s28, s18
	s_add_i32 s6, s0, s6
	s_sub_u32 s48, s22, s20
	s_subb_u32 s47, s23, s21
	s_mul_i32 s0, s48, s19
	s_mul_hi_u32 s7, s48, s18
	s_mul_i32 s9, s47, s18
	s_add_i32 s0, s7, s0
	s_mul_i32 s7, s48, s18
	s_add_i32 s0, s0, s9
	s_add_u32 s8, s8, s16
	s_addc_u32 s6, s6, 0
	s_add_u32 s8, s8, s7
	s_addc_u32 s9, s6, s0
	s_add_i32 s25, s17, s1
	v_cmp_gt_i64_e64 s1, s[18:19], v[21:22]
	s_lshl_b64 s[24:25], s[24:25], 3
	s_add_u32 s24, s2, s24
	s_addc_u32 s25, s3, s25
	s_and_saveexec_b32 s2, s1
	s_cbranch_execz .LBB102_4
; %bb.3:
	v_mad_u64_u32 v[1:2], null, v21, s7, s[8:9]
	v_mad_u64_u32 v[2:3], null, v21, s0, v[2:3]
	global_store_dwordx2 v23, v[1:2], s[24:25] offset:8
.LBB102_4:
	s_or_b32 exec_lo, exec_lo, s2
	v_or_b32_e32 v1, 32, v21
	v_mov_b32_e32 v2, v22
	v_cmp_gt_i64_e64 s2, s[18:19], v[1:2]
	s_and_saveexec_b32 s3, s2
	s_cbranch_execz .LBB102_6
; %bb.5:
	v_mad_u64_u32 v[2:3], null, v1, s7, s[8:9]
	v_mad_u64_u32 v[3:4], null, v1, s0, v[3:4]
	global_store_dwordx2 v23, v[2:3], s[24:25] offset:264
.LBB102_6:
	s_or_b32 exec_lo, exec_lo, s3
	v_or_b32_e32 v1, 64, v21
	v_mov_b32_e32 v2, v22
	v_cmp_gt_i64_e64 s3, s[18:19], v[1:2]
	;; [unrolled: 11-line block ×3, first 2 shown]
	s_and_saveexec_b32 s17, s6
	s_cbranch_execz .LBB102_10
; %bb.9:
	v_mad_u64_u32 v[2:3], null, v1, s7, s[8:9]
	v_mad_u64_u32 v[3:4], null, v1, s0, v[3:4]
	global_store_dwordx2 v23, v[2:3], s[24:25] offset:776
.LBB102_10:
	s_or_b32 exec_lo, exec_lo, s17
	v_cmp_lt_i64_e64 s0, s[12:13], s[14:15]
	s_and_b32 vcc_lo, exec_lo, s0
	s_cbranch_vccz .LBB102_45
; %bb.11:
	s_clause 0x2
	s_load_dwordx2 s[34:35], s[4:5], 0x30
	s_load_dwordx2 s[26:27], s[4:5], 0x48
	s_load_dword s0, s[4:5], 0x0
	v_and_b32_e32 v0, 31, v0
	v_mov_b32_e32 v1, 0
	s_clause 0x1
	s_load_dwordx2 s[24:25], s[4:5], 0x20
	s_load_dwordx2 s[30:31], s[4:5], 0x58
	v_or_b32_e32 v2, 32, v0
	v_mov_b32_e32 v3, v1
	v_or_b32_e32 v4, 64, v0
	v_mov_b32_e32 v5, v1
	;; [unrolled: 2-line block ×3, first 2 shown]
	v_cmp_gt_i64_e32 vcc_lo, s[18:19], v[0:1]
	v_cmp_gt_i64_e64 s7, s[18:19], v[2:3]
	v_cmp_gt_i64_e64 s8, s[18:19], v[4:5]
	v_mov_b32_e32 v24, v1
	v_cmp_gt_i64_e64 s9, s[18:19], v[6:7]
	s_waitcnt lgkmcnt(0)
	s_cmp_eq_u32 s0, 0
	s_cselect_b32 s0, -1, 0
	s_lshl_b64 s[4:5], s[28:29], 3
	s_and_b32 s17, s1, vcc_lo
	s_and_b32 s33, s1, s7
	s_and_b32 s36, s1, s8
	;; [unrolled: 1-line block ×3, first 2 shown]
	v_add_co_u32 v5, s1, s4, v23
	v_add_co_ci_u32_e64 v13, null, s5, 0, s1
	s_and_b32 s38, s2, vcc_lo
	v_add_co_u32 v3, s1, 0x300, v5
	v_add_co_ci_u32_e64 v7, null, 0, v13, s1
	s_and_b32 s42, s3, vcc_lo
	v_mul_lo_u32 v10, s19, v3
	s_and_b32 s1, s6, vcc_lo
	v_mul_lo_u32 v9, s18, v7
	v_mad_u64_u32 v[7:8], null, s18, v3, s[24:25]
	v_lshlrev_b32_e32 v3, 3, v0
	v_add_co_u32 v1, vcc_lo, 0x200, v5
	v_mul_lo_u32 v20, s18, v13
	v_mul_lo_u32 v25, s19, v5
	v_add_co_u32 v22, s4, s4, v3
	v_add3_u32 v8, v10, v8, v9
	v_add_co_ci_u32_e64 v9, null, 0, v13, vcc_lo
	v_add_co_u32 v11, vcc_lo, 0x100, v5
	v_add_co_ci_u32_e64 v27, null, s5, 0, s4
	v_add_co_ci_u32_e64 v12, null, 0, v13, vcc_lo
	v_mad_u64_u32 v[13:14], null, s18, v5, s[24:25]
	v_mul_lo_u32 v5, s18, v27
	v_mul_lo_u32 v26, s19, v22
	v_mad_u64_u32 v[15:16], null, s18, v22, v[23:24]
	v_mul_lo_u32 v17, s18, v9
	v_mul_lo_u32 v18, s19, v1
	;; [unrolled: 3-line block ×3, first 2 shown]
	v_mad_u64_u32 v[11:12], null, s18, v11, s[24:25]
	v_add_co_u32 v28, vcc_lo, 0x100, v22
	v_add3_u32 v14, v25, v14, v20
	v_add3_u32 v16, v26, v16, v5
	v_mad_u64_u32 v[25:26], null, v21, s48, s[28:29]
	v_add_co_ci_u32_e64 v29, null, 0, v27, vcc_lo
	v_add3_u32 v12, v19, v12, v1
	v_add_co_u32 v1, vcc_lo, 0x200, v22
	v_add_co_ci_u32_e64 v19, null, 0, v27, vcc_lo
	v_add_co_u32 v22, vcc_lo, 0x300, v22
	v_mul_lo_u32 v31, s19, v1
	v_mul_lo_u32 v30, s18, v19
	v_mad_u64_u32 v[19:20], null, s18, v1, v[23:24]
	v_mov_b32_e32 v1, v26
	v_add3_u32 v10, v18, v10, v17
	v_mul_lo_u32 v5, s18, v29
	v_mul_lo_u32 v29, s19, v28
	v_mad_u64_u32 v[17:18], null, s18, v28, v[23:24]
	v_add_co_ci_u32_e64 v26, null, 0, v27, vcc_lo
	v_mad_u64_u32 v[27:28], null, v21, s47, v[1:2]
	s_and_b32 s39, s2, s7
	s_and_b32 s40, s2, s8
	;; [unrolled: 1-line block ×6, first 2 shown]
	s_mul_i32 s2, s18, s19
	s_mul_hi_u32 s3, s18, s18
	s_and_b32 s46, s6, s7
	s_add_i32 s3, s3, s2
	s_and_b32 s8, s6, s8
	s_add_i32 s3, s3, s2
	s_mul_i32 s2, s18, s18
	s_and_b32 s9, s6, s9
	s_lshl_b64 s[4:5], s[12:13], 3
	s_lshl_b64 s[6:7], s[10:11], 3
	;; [unrolled: 1-line block ×3, first 2 shown]
	v_add3_u32 v18, v29, v18, v5
	v_add3_u32 v20, v31, v20, v30
	v_mul_lo_u32 v1, s18, v26
	v_mul_lo_u32 v30, s19, v25
	;; [unrolled: 1-line block ×3, first 2 shown]
	v_mad_u64_u32 v[28:29], null, s18, v25, 0
	v_mov_b32_e32 v26, v27
	s_sub_u32 s4, s4, s6
	s_subb_u32 s5, s5, s7
	s_add_u32 s4, s34, s4
	s_addc_u32 s5, s35, s5
	s_lshl_b64 s[6:7], s[14:15], 5
	v_mul_lo_u32 v5, s19, v22
	v_mad_u64_u32 v[21:22], null, s18, v22, v[23:24]
	v_mad_u64_u32 v[23:24], null, 0x60, s14, v[25:26]
	v_add_co_u32 v26, vcc_lo, v25, s6
	v_add3_u32 v29, v29, v31, v30
	v_add_co_ci_u32_e64 v30, null, s7, v27, vcc_lo
	s_lshl_b64 s[6:7], s[12:13], 5
	v_add3_u32 v22, v5, v22, v1
	v_sub_co_u32 v26, vcc_lo, v26, s6
	v_subrev_co_ci_u32_e64 v30, null, s7, v30, vcc_lo
	v_mov_b32_e32 v1, v24
	s_mul_i32 s6, s13, 0x60
	s_mul_hi_u32 s7, s12, 0x60
	v_mul_lo_u32 v33, s18, v30
	v_lshlrev_b64 v[28:29], 3, v[28:29]
	v_mad_u64_u32 v[30:31], null, 0x60, s15, v[1:2]
	v_mul_lo_u32 v24, s19, v26
	v_mad_u64_u32 v[31:32], null, s18, v26, 0
	s_add_i32 s7, s7, s6
	s_mul_i32 s6, s12, 0x60
	v_sub_co_u32 v23, vcc_lo, v23, s6
	v_subrev_co_ci_u32_e64 v26, null, s7, v30, vcc_lo
	v_add_co_u32 v1, vcc_lo, s30, v28
	s_lshl_b64 s[6:7], s[14:15], 6
	v_add_co_ci_u32_e64 v5, null, s31, v29, vcc_lo
	v_add3_u32 v32, v32, v33, v24
	v_mul_lo_u32 v30, s19, v23
	v_mad_u64_u32 v[33:34], null, s18, v23, 0
	v_add_co_u32 v23, vcc_lo, v25, s6
	v_add_co_ci_u32_e64 v24, null, s7, v27, vcc_lo
	s_lshl_b64 s[6:7], s[12:13], 6
	v_mul_lo_u32 v26, s18, v26
	v_sub_co_u32 v25, vcc_lo, v23, s6
	v_subrev_co_ci_u32_e64 v35, null, s7, v24, vcc_lo
	v_add_co_u32 v23, vcc_lo, s26, v28
	v_add_co_ci_u32_e64 v24, null, s27, v29, vcc_lo
	v_lshlrev_b64 v[27:28], 3, v[31:32]
	v_add3_u32 v34, v34, v26, v30
	v_mul_lo_u32 v29, s19, v25
	v_mul_lo_u32 v30, s18, v35
	v_mad_u64_u32 v[31:32], null, s18, v25, 0
	v_lshlrev_b64 v[33:34], 3, v[33:34]
	v_add_co_u32 v25, vcc_lo, s26, v27
	v_add_co_ci_u32_e64 v26, null, s27, v28, vcc_lo
	v_add_co_u32 v27, vcc_lo, s30, v27
	v_add3_u32 v32, v32, v30, v29
	v_add_co_ci_u32_e64 v28, null, s31, v28, vcc_lo
	v_add_co_u32 v29, vcc_lo, s30, v33
	v_lshlrev_b64 v[35:36], 3, v[31:32]
	v_add_co_ci_u32_e64 v30, null, s31, v34, vcc_lo
	v_add_co_u32 v31, vcc_lo, s26, v33
	v_add_co_ci_u32_e64 v32, null, s27, v34, vcc_lo
	v_add_co_u32 v33, vcc_lo, s26, v35
	;; [unrolled: 2-line block ×3, first 2 shown]
	v_add_co_ci_u32_e64 v36, null, s31, v36, vcc_lo
	s_lshl_b64 s[6:7], s[18:19], 3
	s_branch .LBB102_13
.LBB102_12:                             ;   in Loop: Header=BB102_13 Depth=1
	s_or_b32 exec_lo, exec_lo, s13
	v_add_co_u32 v7, vcc_lo, v7, s2
	v_add_co_ci_u32_e64 v8, null, s3, v8, vcc_lo
	v_add_co_u32 v9, vcc_lo, v9, s2
	v_add_co_ci_u32_e64 v10, null, s3, v10, vcc_lo
	;; [unrolled: 2-line block ×8, first 2 shown]
	v_add_co_u32 v29, vcc_lo, v29, s6
	s_add_u32 s20, s20, 1
	v_add_co_ci_u32_e64 v30, null, s7, v30, vcc_lo
	v_add_co_u32 v31, vcc_lo, v31, s6
	s_addc_u32 s21, s21, 0
	v_add_co_ci_u32_e64 v32, null, s7, v32, vcc_lo
	v_add_co_u32 v33, vcc_lo, v33, s6
	v_cmp_ge_i64_e64 s11, s[20:21], s[22:23]
	v_add_co_ci_u32_e64 v34, null, s7, v34, vcc_lo
	v_add_co_u32 v35, vcc_lo, v35, s6
	s_add_u32 s24, s24, s2
	v_add_co_ci_u32_e64 v36, null, s7, v36, vcc_lo
	s_addc_u32 s25, s25, s3
	s_add_u32 s4, s4, 8
	s_addc_u32 s5, s5, 0
	s_and_b32 vcc_lo, exec_lo, s11
	s_cbranch_vccnz .LBB102_45
.LBB102_13:                             ; =>This Inner Loop Header: Depth=1
	s_load_dwordx2 s[12:13], s[4:5], 0x0
	s_waitcnt lgkmcnt(0)
	s_sub_u32 s11, s12, s10
	s_subb_u32 s13, s13, 0
	s_mul_i32 s12, s11, s19
	s_mul_hi_u32 s14, s11, s18
	s_mul_i32 s13, s13, s18
	s_add_i32 s12, s14, s12
	s_mul_i32 s11, s11, s18
	s_add_i32 s12, s12, s13
	s_add_u32 s11, s11, s16
	s_addc_u32 s12, s12, 0
	s_and_saveexec_b32 s13, s17
	s_cbranch_execnz .LBB102_29
; %bb.14:                               ;   in Loop: Header=BB102_13 Depth=1
	s_or_b32 exec_lo, exec_lo, s13
	s_and_saveexec_b32 s13, s33
	s_cbranch_execnz .LBB102_30
.LBB102_15:                             ;   in Loop: Header=BB102_13 Depth=1
	s_or_b32 exec_lo, exec_lo, s13
	s_and_saveexec_b32 s13, s36
	s_cbranch_execnz .LBB102_31
.LBB102_16:                             ;   in Loop: Header=BB102_13 Depth=1
	s_or_b32 exec_lo, exec_lo, s13
	s_and_saveexec_b32 s13, s37
	s_cbranch_execnz .LBB102_32
.LBB102_17:                             ;   in Loop: Header=BB102_13 Depth=1
	s_or_b32 exec_lo, exec_lo, s13
	s_and_saveexec_b32 s13, s38
	s_cbranch_execnz .LBB102_33
.LBB102_18:                             ;   in Loop: Header=BB102_13 Depth=1
	s_or_b32 exec_lo, exec_lo, s13
	s_and_saveexec_b32 s13, s39
	s_cbranch_execnz .LBB102_34
.LBB102_19:                             ;   in Loop: Header=BB102_13 Depth=1
	s_or_b32 exec_lo, exec_lo, s13
	s_and_saveexec_b32 s13, s40
	s_cbranch_execnz .LBB102_35
.LBB102_20:                             ;   in Loop: Header=BB102_13 Depth=1
	s_or_b32 exec_lo, exec_lo, s13
	s_and_saveexec_b32 s13, s41
	s_cbranch_execnz .LBB102_36
.LBB102_21:                             ;   in Loop: Header=BB102_13 Depth=1
	s_or_b32 exec_lo, exec_lo, s13
	s_and_saveexec_b32 s13, s42
	s_cbranch_execnz .LBB102_37
.LBB102_22:                             ;   in Loop: Header=BB102_13 Depth=1
	s_or_b32 exec_lo, exec_lo, s13
	s_and_saveexec_b32 s13, s43
	s_cbranch_execnz .LBB102_38
.LBB102_23:                             ;   in Loop: Header=BB102_13 Depth=1
	s_or_b32 exec_lo, exec_lo, s13
	s_and_saveexec_b32 s13, s44
	s_cbranch_execnz .LBB102_39
.LBB102_24:                             ;   in Loop: Header=BB102_13 Depth=1
	s_or_b32 exec_lo, exec_lo, s13
	s_and_saveexec_b32 s13, s45
	s_cbranch_execnz .LBB102_40
.LBB102_25:                             ;   in Loop: Header=BB102_13 Depth=1
	s_or_b32 exec_lo, exec_lo, s13
	s_and_saveexec_b32 s13, s1
	s_cbranch_execnz .LBB102_41
.LBB102_26:                             ;   in Loop: Header=BB102_13 Depth=1
	s_or_b32 exec_lo, exec_lo, s13
	s_and_saveexec_b32 s13, s46
	s_cbranch_execnz .LBB102_42
.LBB102_27:                             ;   in Loop: Header=BB102_13 Depth=1
	s_or_b32 exec_lo, exec_lo, s13
	s_and_saveexec_b32 s13, s8
	s_cbranch_execnz .LBB102_43
.LBB102_28:                             ;   in Loop: Header=BB102_13 Depth=1
	s_or_b32 exec_lo, exec_lo, s13
	s_and_saveexec_b32 s13, s9
	s_cbranch_execz .LBB102_12
	s_branch .LBB102_44
.LBB102_29:                             ;   in Loop: Header=BB102_13 Depth=1
	v_add_co_u32 v37, vcc_lo, v13, v3
	v_add_co_ci_u32_e64 v38, null, 0, v14, vcc_lo
	v_add_co_u32 v39, vcc_lo, s24, v15
	v_add_co_ci_u32_e64 v40, null, s25, v16, vcc_lo
	v_add_co_u32 v41, vcc_lo, v1, v3
	v_cndmask_b32_e64 v37, v39, v37, s0
	v_cndmask_b32_e64 v38, v40, v38, s0
	v_add_co_u32 v39, s14, s11, v0
	v_add_co_ci_u32_e64 v42, null, 0, v5, vcc_lo
	global_load_dwordx2 v[37:38], v[37:38], off
	v_add_co_u32 v43, vcc_lo, v23, v3
	v_add_co_ci_u32_e64 v40, null, s12, 0, s14
	v_add_co_ci_u32_e64 v44, null, 0, v24, vcc_lo
	global_store_dwordx2 v[41:42], v[39:40], off
	s_waitcnt vmcnt(0)
	global_store_dwordx2 v[43:44], v[37:38], off
	s_or_b32 exec_lo, exec_lo, s13
	s_and_saveexec_b32 s13, s33
	s_cbranch_execz .LBB102_15
.LBB102_30:                             ;   in Loop: Header=BB102_13 Depth=1
	v_add_co_u32 v37, vcc_lo, v13, v3
	v_add_co_ci_u32_e64 v38, null, 0, v14, vcc_lo
	v_add_co_u32 v37, vcc_lo, 0x100, v37
	v_add_co_ci_u32_e64 v38, null, 0, v38, vcc_lo
	;; [unrolled: 2-line block ×3, first 2 shown]
	v_add_co_u32 v41, vcc_lo, v1, v3
	v_cndmask_b32_e64 v37, v39, v37, s0
	v_cndmask_b32_e64 v38, v40, v38, s0
	v_add_co_u32 v39, s14, s11, v2
	v_add_co_ci_u32_e64 v42, null, 0, v5, vcc_lo
	global_load_dwordx2 v[37:38], v[37:38], off
	v_add_co_u32 v43, vcc_lo, v23, v3
	v_add_co_ci_u32_e64 v40, null, s12, 0, s14
	v_add_co_ci_u32_e64 v44, null, 0, v24, vcc_lo
	global_store_dwordx2 v[41:42], v[39:40], off offset:256
	s_waitcnt vmcnt(0)
	global_store_dwordx2 v[43:44], v[37:38], off offset:256
	s_or_b32 exec_lo, exec_lo, s13
	s_and_saveexec_b32 s13, s36
	s_cbranch_execz .LBB102_16
.LBB102_31:                             ;   in Loop: Header=BB102_13 Depth=1
	v_add_co_u32 v37, vcc_lo, v13, v3
	v_add_co_ci_u32_e64 v38, null, 0, v14, vcc_lo
	v_add_co_u32 v37, vcc_lo, 0x200, v37
	v_add_co_ci_u32_e64 v38, null, 0, v38, vcc_lo
	;; [unrolled: 2-line block ×3, first 2 shown]
	v_add_co_u32 v41, vcc_lo, v1, v3
	v_cndmask_b32_e64 v37, v39, v37, s0
	v_cndmask_b32_e64 v38, v40, v38, s0
	v_add_co_u32 v39, s14, s11, v4
	v_add_co_ci_u32_e64 v42, null, 0, v5, vcc_lo
	global_load_dwordx2 v[37:38], v[37:38], off
	v_add_co_u32 v43, vcc_lo, v23, v3
	v_add_co_ci_u32_e64 v40, null, s12, 0, s14
	v_add_co_ci_u32_e64 v44, null, 0, v24, vcc_lo
	global_store_dwordx2 v[41:42], v[39:40], off offset:512
	s_waitcnt vmcnt(0)
	global_store_dwordx2 v[43:44], v[37:38], off offset:512
	s_or_b32 exec_lo, exec_lo, s13
	s_and_saveexec_b32 s13, s37
	s_cbranch_execz .LBB102_17
.LBB102_32:                             ;   in Loop: Header=BB102_13 Depth=1
	v_add_co_u32 v37, vcc_lo, v13, v3
	v_add_co_ci_u32_e64 v38, null, 0, v14, vcc_lo
	v_add_co_u32 v37, vcc_lo, 0x300, v37
	v_add_co_ci_u32_e64 v38, null, 0, v38, vcc_lo
	;; [unrolled: 2-line block ×3, first 2 shown]
	v_add_co_u32 v41, vcc_lo, v1, v3
	v_cndmask_b32_e64 v37, v39, v37, s0
	v_cndmask_b32_e64 v38, v40, v38, s0
	v_add_co_u32 v39, s14, s11, v6
	v_add_co_ci_u32_e64 v42, null, 0, v5, vcc_lo
	global_load_dwordx2 v[37:38], v[37:38], off
	v_add_co_u32 v43, vcc_lo, v23, v3
	v_add_co_ci_u32_e64 v40, null, s12, 0, s14
	v_add_co_ci_u32_e64 v44, null, 0, v24, vcc_lo
	global_store_dwordx2 v[41:42], v[39:40], off offset:768
	s_waitcnt vmcnt(0)
	global_store_dwordx2 v[43:44], v[37:38], off offset:768
	s_or_b32 exec_lo, exec_lo, s13
	s_and_saveexec_b32 s13, s38
	s_cbranch_execz .LBB102_18
.LBB102_33:                             ;   in Loop: Header=BB102_13 Depth=1
	v_add_co_u32 v37, vcc_lo, s24, v15
	v_add_co_ci_u32_e64 v38, null, s25, v16, vcc_lo
	v_add_co_u32 v39, vcc_lo, v11, v3
	v_add_co_ci_u32_e64 v40, null, 0, v12, vcc_lo
	;; [unrolled: 2-line block ×3, first 2 shown]
	v_add_co_u32 v41, vcc_lo, v27, v3
	v_cndmask_b32_e64 v37, v37, v39, s0
	v_cndmask_b32_e64 v38, v38, v40, s0
	v_add_co_u32 v39, s14, s11, v0
	v_add_co_ci_u32_e64 v42, null, 0, v28, vcc_lo
	global_load_dwordx2 v[37:38], v[37:38], off
	v_add_co_u32 v43, vcc_lo, v25, v3
	v_add_co_ci_u32_e64 v40, null, s12, 0, s14
	v_add_co_ci_u32_e64 v44, null, 0, v26, vcc_lo
	global_store_dwordx2 v[41:42], v[39:40], off
	s_waitcnt vmcnt(0)
	global_store_dwordx2 v[43:44], v[37:38], off
	s_or_b32 exec_lo, exec_lo, s13
	s_and_saveexec_b32 s13, s39
	s_cbranch_execz .LBB102_19
.LBB102_34:                             ;   in Loop: Header=BB102_13 Depth=1
	v_add_co_u32 v37, vcc_lo, v11, v3
	v_add_co_ci_u32_e64 v38, null, 0, v12, vcc_lo
	v_add_co_u32 v39, vcc_lo, s24, v17
	v_add_co_ci_u32_e64 v40, null, s25, v18, vcc_lo
	v_add_co_u32 v41, vcc_lo, v27, v3
	v_cndmask_b32_e64 v37, v39, v37, s0
	v_cndmask_b32_e64 v38, v40, v38, s0
	v_add_co_u32 v39, s14, s11, v2
	v_add_co_ci_u32_e64 v42, null, 0, v28, vcc_lo
	global_load_dwordx2 v[37:38], v[37:38], off offset:256
	v_add_co_u32 v43, vcc_lo, v25, v3
	v_add_co_ci_u32_e64 v40, null, s12, 0, s14
	v_add_co_ci_u32_e64 v44, null, 0, v26, vcc_lo
	global_store_dwordx2 v[41:42], v[39:40], off offset:256
	s_waitcnt vmcnt(0)
	global_store_dwordx2 v[43:44], v[37:38], off offset:256
	s_or_b32 exec_lo, exec_lo, s13
	s_and_saveexec_b32 s13, s40
	s_cbranch_execz .LBB102_20
.LBB102_35:                             ;   in Loop: Header=BB102_13 Depth=1
	v_add_co_u32 v37, vcc_lo, v11, v3
	v_add_co_ci_u32_e64 v38, null, 0, v12, vcc_lo
	v_add_co_u32 v39, vcc_lo, s24, v19
	v_add_co_ci_u32_e64 v40, null, s25, v20, vcc_lo
	;; [unrolled: 2-line block ×4, first 2 shown]
	v_add_co_u32 v41, vcc_lo, v27, v3
	v_cndmask_b32_e64 v37, v39, v37, s0
	v_cndmask_b32_e64 v38, v40, v38, s0
	v_add_co_u32 v39, s14, s11, v4
	v_add_co_ci_u32_e64 v42, null, 0, v28, vcc_lo
	global_load_dwordx2 v[37:38], v[37:38], off
	v_add_co_u32 v43, vcc_lo, v25, v3
	v_add_co_ci_u32_e64 v40, null, s12, 0, s14
	v_add_co_ci_u32_e64 v44, null, 0, v26, vcc_lo
	global_store_dwordx2 v[41:42], v[39:40], off offset:512
	s_waitcnt vmcnt(0)
	global_store_dwordx2 v[43:44], v[37:38], off offset:512
	s_or_b32 exec_lo, exec_lo, s13
	s_and_saveexec_b32 s13, s41
	s_cbranch_execz .LBB102_21
.LBB102_36:                             ;   in Loop: Header=BB102_13 Depth=1
	v_add_co_u32 v37, vcc_lo, v11, v3
	v_add_co_ci_u32_e64 v38, null, 0, v12, vcc_lo
	v_add_co_u32 v39, vcc_lo, s24, v21
	v_add_co_ci_u32_e64 v40, null, s25, v22, vcc_lo
	;; [unrolled: 2-line block ×4, first 2 shown]
	v_add_co_u32 v41, vcc_lo, v27, v3
	v_cndmask_b32_e64 v37, v39, v37, s0
	v_cndmask_b32_e64 v38, v40, v38, s0
	v_add_co_u32 v39, s14, s11, v6
	v_add_co_ci_u32_e64 v42, null, 0, v28, vcc_lo
	global_load_dwordx2 v[37:38], v[37:38], off
	v_add_co_u32 v43, vcc_lo, v25, v3
	v_add_co_ci_u32_e64 v40, null, s12, 0, s14
	v_add_co_ci_u32_e64 v44, null, 0, v26, vcc_lo
	global_store_dwordx2 v[41:42], v[39:40], off offset:768
	s_waitcnt vmcnt(0)
	global_store_dwordx2 v[43:44], v[37:38], off offset:768
	s_or_b32 exec_lo, exec_lo, s13
	s_and_saveexec_b32 s13, s42
	s_cbranch_execz .LBB102_22
.LBB102_37:                             ;   in Loop: Header=BB102_13 Depth=1
	v_add_co_u32 v37, vcc_lo, s24, v15
	v_add_co_ci_u32_e64 v38, null, s25, v16, vcc_lo
	v_add_co_u32 v39, vcc_lo, v9, v3
	v_add_co_ci_u32_e64 v40, null, 0, v10, vcc_lo
	;; [unrolled: 2-line block ×3, first 2 shown]
	v_add_co_u32 v41, vcc_lo, v35, v3
	v_cndmask_b32_e64 v37, v37, v39, s0
	v_cndmask_b32_e64 v38, v38, v40, s0
	v_add_co_u32 v39, s14, s11, v0
	v_add_co_ci_u32_e64 v42, null, 0, v36, vcc_lo
	global_load_dwordx2 v[37:38], v[37:38], off
	v_add_co_u32 v43, vcc_lo, v33, v3
	v_add_co_ci_u32_e64 v40, null, s12, 0, s14
	v_add_co_ci_u32_e64 v44, null, 0, v34, vcc_lo
	global_store_dwordx2 v[41:42], v[39:40], off
	s_waitcnt vmcnt(0)
	global_store_dwordx2 v[43:44], v[37:38], off
	s_or_b32 exec_lo, exec_lo, s13
	s_and_saveexec_b32 s13, s43
	s_cbranch_execz .LBB102_23
.LBB102_38:                             ;   in Loop: Header=BB102_13 Depth=1
	v_add_co_u32 v37, vcc_lo, v9, v3
	v_add_co_ci_u32_e64 v38, null, 0, v10, vcc_lo
	v_add_co_u32 v39, vcc_lo, s24, v17
	v_add_co_ci_u32_e64 v40, null, s25, v18, vcc_lo
	;; [unrolled: 2-line block ×4, first 2 shown]
	v_add_co_u32 v41, vcc_lo, v35, v3
	v_cndmask_b32_e64 v37, v39, v37, s0
	v_cndmask_b32_e64 v38, v40, v38, s0
	v_add_co_u32 v39, s14, s11, v2
	v_add_co_ci_u32_e64 v42, null, 0, v36, vcc_lo
	global_load_dwordx2 v[37:38], v[37:38], off
	v_add_co_u32 v43, vcc_lo, v33, v3
	v_add_co_ci_u32_e64 v40, null, s12, 0, s14
	v_add_co_ci_u32_e64 v44, null, 0, v34, vcc_lo
	global_store_dwordx2 v[41:42], v[39:40], off offset:256
	s_waitcnt vmcnt(0)
	global_store_dwordx2 v[43:44], v[37:38], off offset:256
	s_or_b32 exec_lo, exec_lo, s13
	s_and_saveexec_b32 s13, s44
	s_cbranch_execz .LBB102_24
.LBB102_39:                             ;   in Loop: Header=BB102_13 Depth=1
	v_add_co_u32 v37, vcc_lo, v9, v3
	v_add_co_ci_u32_e64 v38, null, 0, v10, vcc_lo
	v_add_co_u32 v39, vcc_lo, s24, v19
	v_add_co_ci_u32_e64 v40, null, s25, v20, vcc_lo
	v_add_co_u32 v41, vcc_lo, v35, v3
	v_cndmask_b32_e64 v37, v39, v37, s0
	v_cndmask_b32_e64 v38, v40, v38, s0
	v_add_co_u32 v39, s14, s11, v4
	v_add_co_ci_u32_e64 v42, null, 0, v36, vcc_lo
	global_load_dwordx2 v[37:38], v[37:38], off offset:512
	v_add_co_u32 v43, vcc_lo, v33, v3
	v_add_co_ci_u32_e64 v40, null, s12, 0, s14
	v_add_co_ci_u32_e64 v44, null, 0, v34, vcc_lo
	global_store_dwordx2 v[41:42], v[39:40], off offset:512
	s_waitcnt vmcnt(0)
	global_store_dwordx2 v[43:44], v[37:38], off offset:512
	s_or_b32 exec_lo, exec_lo, s13
	s_and_saveexec_b32 s13, s45
	s_cbranch_execz .LBB102_25
.LBB102_40:                             ;   in Loop: Header=BB102_13 Depth=1
	v_add_co_u32 v37, vcc_lo, v9, v3
	v_add_co_ci_u32_e64 v38, null, 0, v10, vcc_lo
	v_add_co_u32 v39, vcc_lo, s24, v21
	v_add_co_ci_u32_e64 v40, null, s25, v22, vcc_lo
	;; [unrolled: 2-line block ×4, first 2 shown]
	v_add_co_u32 v41, vcc_lo, v35, v3
	v_cndmask_b32_e64 v37, v39, v37, s0
	v_cndmask_b32_e64 v38, v40, v38, s0
	v_add_co_u32 v39, s14, s11, v6
	v_add_co_ci_u32_e64 v42, null, 0, v36, vcc_lo
	global_load_dwordx2 v[37:38], v[37:38], off
	v_add_co_u32 v43, vcc_lo, v33, v3
	v_add_co_ci_u32_e64 v40, null, s12, 0, s14
	v_add_co_ci_u32_e64 v44, null, 0, v34, vcc_lo
	global_store_dwordx2 v[41:42], v[39:40], off offset:768
	s_waitcnt vmcnt(0)
	global_store_dwordx2 v[43:44], v[37:38], off offset:768
	s_or_b32 exec_lo, exec_lo, s13
	s_and_saveexec_b32 s13, s1
	s_cbranch_execz .LBB102_26
.LBB102_41:                             ;   in Loop: Header=BB102_13 Depth=1
	v_add_co_u32 v37, vcc_lo, s24, v15
	v_add_co_ci_u32_e64 v38, null, s25, v16, vcc_lo
	v_add_co_u32 v39, vcc_lo, v7, v3
	v_add_co_ci_u32_e64 v40, null, 0, v8, vcc_lo
	;; [unrolled: 2-line block ×3, first 2 shown]
	v_add_co_u32 v41, vcc_lo, v29, v3
	v_cndmask_b32_e64 v37, v37, v39, s0
	v_cndmask_b32_e64 v38, v38, v40, s0
	v_add_co_u32 v39, s14, s11, v0
	v_add_co_ci_u32_e64 v42, null, 0, v30, vcc_lo
	global_load_dwordx2 v[37:38], v[37:38], off
	v_add_co_u32 v43, vcc_lo, v31, v3
	v_add_co_ci_u32_e64 v40, null, s12, 0, s14
	v_add_co_ci_u32_e64 v44, null, 0, v32, vcc_lo
	global_store_dwordx2 v[41:42], v[39:40], off
	s_waitcnt vmcnt(0)
	global_store_dwordx2 v[43:44], v[37:38], off
	s_or_b32 exec_lo, exec_lo, s13
	s_and_saveexec_b32 s13, s46
	s_cbranch_execz .LBB102_27
.LBB102_42:                             ;   in Loop: Header=BB102_13 Depth=1
	v_add_co_u32 v37, vcc_lo, v7, v3
	v_add_co_ci_u32_e64 v38, null, 0, v8, vcc_lo
	v_add_co_u32 v39, vcc_lo, s24, v17
	v_add_co_ci_u32_e64 v40, null, s25, v18, vcc_lo
	;; [unrolled: 2-line block ×4, first 2 shown]
	v_add_co_u32 v41, vcc_lo, v29, v3
	v_cndmask_b32_e64 v37, v39, v37, s0
	v_cndmask_b32_e64 v38, v40, v38, s0
	v_add_co_u32 v39, s14, s11, v2
	v_add_co_ci_u32_e64 v42, null, 0, v30, vcc_lo
	global_load_dwordx2 v[37:38], v[37:38], off
	v_add_co_u32 v43, vcc_lo, v31, v3
	v_add_co_ci_u32_e64 v40, null, s12, 0, s14
	v_add_co_ci_u32_e64 v44, null, 0, v32, vcc_lo
	global_store_dwordx2 v[41:42], v[39:40], off offset:256
	s_waitcnt vmcnt(0)
	global_store_dwordx2 v[43:44], v[37:38], off offset:256
	s_or_b32 exec_lo, exec_lo, s13
	s_and_saveexec_b32 s13, s8
	s_cbranch_execz .LBB102_28
.LBB102_43:                             ;   in Loop: Header=BB102_13 Depth=1
	v_add_co_u32 v37, vcc_lo, v7, v3
	v_add_co_ci_u32_e64 v38, null, 0, v8, vcc_lo
	v_add_co_u32 v39, vcc_lo, s24, v19
	v_add_co_ci_u32_e64 v40, null, s25, v20, vcc_lo
	;; [unrolled: 2-line block ×4, first 2 shown]
	v_add_co_u32 v41, vcc_lo, v29, v3
	v_cndmask_b32_e64 v37, v39, v37, s0
	v_cndmask_b32_e64 v38, v40, v38, s0
	v_add_co_u32 v39, s14, s11, v4
	v_add_co_ci_u32_e64 v42, null, 0, v30, vcc_lo
	global_load_dwordx2 v[37:38], v[37:38], off
	v_add_co_u32 v43, vcc_lo, v31, v3
	v_add_co_ci_u32_e64 v40, null, s12, 0, s14
	v_add_co_ci_u32_e64 v44, null, 0, v32, vcc_lo
	global_store_dwordx2 v[41:42], v[39:40], off offset:512
	s_waitcnt vmcnt(0)
	global_store_dwordx2 v[43:44], v[37:38], off offset:512
	s_or_b32 exec_lo, exec_lo, s13
	s_and_saveexec_b32 s13, s9
	s_cbranch_execz .LBB102_12
.LBB102_44:                             ;   in Loop: Header=BB102_13 Depth=1
	v_add_co_u32 v37, vcc_lo, v7, v3
	v_add_co_ci_u32_e64 v38, null, 0, v8, vcc_lo
	v_add_co_u32 v39, vcc_lo, s24, v21
	v_add_co_ci_u32_e64 v40, null, s25, v22, vcc_lo
	v_add_co_u32 v41, vcc_lo, v29, v3
	v_cndmask_b32_e64 v37, v39, v37, s0
	v_cndmask_b32_e64 v38, v40, v38, s0
	v_add_co_u32 v39, s11, s11, v6
	v_add_co_ci_u32_e64 v42, null, 0, v30, vcc_lo
	global_load_dwordx2 v[37:38], v[37:38], off offset:768
	v_add_co_u32 v43, vcc_lo, v31, v3
	v_add_co_ci_u32_e64 v40, null, s12, 0, s11
	v_add_co_ci_u32_e64 v44, null, 0, v32, vcc_lo
	global_store_dwordx2 v[41:42], v[39:40], off offset:768
	s_waitcnt vmcnt(0)
	global_store_dwordx2 v[43:44], v[37:38], off offset:768
	s_branch .LBB102_12
.LBB102_45:
	s_endpgm
	.section	.rodata,"a",@progbits
	.p2align	6, 0x0
	.amdhsa_kernel _ZN9rocsparseL35bsr2csr_block_per_row_33_256_kernelILj1024ELj128ELj32ElllEEv20rocsparse_direction_T4_S2_21rocsparse_index_base_PKT2_PKT3_PKS2_S2_S3_PS4_PS7_PS2_
		.amdhsa_group_segment_fixed_size 0
		.amdhsa_private_segment_fixed_size 0
		.amdhsa_kernarg_size 96
		.amdhsa_user_sgpr_count 6
		.amdhsa_user_sgpr_private_segment_buffer 1
		.amdhsa_user_sgpr_dispatch_ptr 0
		.amdhsa_user_sgpr_queue_ptr 0
		.amdhsa_user_sgpr_kernarg_segment_ptr 1
		.amdhsa_user_sgpr_dispatch_id 0
		.amdhsa_user_sgpr_flat_scratch_init 0
		.amdhsa_user_sgpr_private_segment_size 0
		.amdhsa_wavefront_size32 1
		.amdhsa_uses_dynamic_stack 0
		.amdhsa_system_sgpr_private_segment_wavefront_offset 0
		.amdhsa_system_sgpr_workgroup_id_x 1
		.amdhsa_system_sgpr_workgroup_id_y 0
		.amdhsa_system_sgpr_workgroup_id_z 0
		.amdhsa_system_sgpr_workgroup_info 0
		.amdhsa_system_vgpr_workitem_id 0
		.amdhsa_next_free_vgpr 45
		.amdhsa_next_free_sgpr 49
		.amdhsa_reserve_vcc 1
		.amdhsa_reserve_flat_scratch 0
		.amdhsa_float_round_mode_32 0
		.amdhsa_float_round_mode_16_64 0
		.amdhsa_float_denorm_mode_32 3
		.amdhsa_float_denorm_mode_16_64 3
		.amdhsa_dx10_clamp 1
		.amdhsa_ieee_mode 1
		.amdhsa_fp16_overflow 0
		.amdhsa_workgroup_processor_mode 1
		.amdhsa_memory_ordered 1
		.amdhsa_forward_progress 1
		.amdhsa_shared_vgpr_count 0
		.amdhsa_exception_fp_ieee_invalid_op 0
		.amdhsa_exception_fp_denorm_src 0
		.amdhsa_exception_fp_ieee_div_zero 0
		.amdhsa_exception_fp_ieee_overflow 0
		.amdhsa_exception_fp_ieee_underflow 0
		.amdhsa_exception_fp_ieee_inexact 0
		.amdhsa_exception_int_div_zero 0
	.end_amdhsa_kernel
	.section	.text._ZN9rocsparseL35bsr2csr_block_per_row_33_256_kernelILj1024ELj128ELj32ElllEEv20rocsparse_direction_T4_S2_21rocsparse_index_base_PKT2_PKT3_PKS2_S2_S3_PS4_PS7_PS2_,"axG",@progbits,_ZN9rocsparseL35bsr2csr_block_per_row_33_256_kernelILj1024ELj128ELj32ElllEEv20rocsparse_direction_T4_S2_21rocsparse_index_base_PKT2_PKT3_PKS2_S2_S3_PS4_PS7_PS2_,comdat
.Lfunc_end102:
	.size	_ZN9rocsparseL35bsr2csr_block_per_row_33_256_kernelILj1024ELj128ELj32ElllEEv20rocsparse_direction_T4_S2_21rocsparse_index_base_PKT2_PKT3_PKS2_S2_S3_PS4_PS7_PS2_, .Lfunc_end102-_ZN9rocsparseL35bsr2csr_block_per_row_33_256_kernelILj1024ELj128ELj32ElllEEv20rocsparse_direction_T4_S2_21rocsparse_index_base_PKT2_PKT3_PKS2_S2_S3_PS4_PS7_PS2_
                                        ; -- End function
	.set _ZN9rocsparseL35bsr2csr_block_per_row_33_256_kernelILj1024ELj128ELj32ElllEEv20rocsparse_direction_T4_S2_21rocsparse_index_base_PKT2_PKT3_PKS2_S2_S3_PS4_PS7_PS2_.num_vgpr, 45
	.set _ZN9rocsparseL35bsr2csr_block_per_row_33_256_kernelILj1024ELj128ELj32ElllEEv20rocsparse_direction_T4_S2_21rocsparse_index_base_PKT2_PKT3_PKS2_S2_S3_PS4_PS7_PS2_.num_agpr, 0
	.set _ZN9rocsparseL35bsr2csr_block_per_row_33_256_kernelILj1024ELj128ELj32ElllEEv20rocsparse_direction_T4_S2_21rocsparse_index_base_PKT2_PKT3_PKS2_S2_S3_PS4_PS7_PS2_.numbered_sgpr, 49
	.set _ZN9rocsparseL35bsr2csr_block_per_row_33_256_kernelILj1024ELj128ELj32ElllEEv20rocsparse_direction_T4_S2_21rocsparse_index_base_PKT2_PKT3_PKS2_S2_S3_PS4_PS7_PS2_.num_named_barrier, 0
	.set _ZN9rocsparseL35bsr2csr_block_per_row_33_256_kernelILj1024ELj128ELj32ElllEEv20rocsparse_direction_T4_S2_21rocsparse_index_base_PKT2_PKT3_PKS2_S2_S3_PS4_PS7_PS2_.private_seg_size, 0
	.set _ZN9rocsparseL35bsr2csr_block_per_row_33_256_kernelILj1024ELj128ELj32ElllEEv20rocsparse_direction_T4_S2_21rocsparse_index_base_PKT2_PKT3_PKS2_S2_S3_PS4_PS7_PS2_.uses_vcc, 1
	.set _ZN9rocsparseL35bsr2csr_block_per_row_33_256_kernelILj1024ELj128ELj32ElllEEv20rocsparse_direction_T4_S2_21rocsparse_index_base_PKT2_PKT3_PKS2_S2_S3_PS4_PS7_PS2_.uses_flat_scratch, 0
	.set _ZN9rocsparseL35bsr2csr_block_per_row_33_256_kernelILj1024ELj128ELj32ElllEEv20rocsparse_direction_T4_S2_21rocsparse_index_base_PKT2_PKT3_PKS2_S2_S3_PS4_PS7_PS2_.has_dyn_sized_stack, 0
	.set _ZN9rocsparseL35bsr2csr_block_per_row_33_256_kernelILj1024ELj128ELj32ElllEEv20rocsparse_direction_T4_S2_21rocsparse_index_base_PKT2_PKT3_PKS2_S2_S3_PS4_PS7_PS2_.has_recursion, 0
	.set _ZN9rocsparseL35bsr2csr_block_per_row_33_256_kernelILj1024ELj128ELj32ElllEEv20rocsparse_direction_T4_S2_21rocsparse_index_base_PKT2_PKT3_PKS2_S2_S3_PS4_PS7_PS2_.has_indirect_call, 0
	.section	.AMDGPU.csdata,"",@progbits
; Kernel info:
; codeLenInByte = 4640
; TotalNumSgprs: 51
; NumVgprs: 45
; ScratchSize: 0
; MemoryBound: 0
; FloatMode: 240
; IeeeMode: 1
; LDSByteSize: 0 bytes/workgroup (compile time only)
; SGPRBlocks: 0
; VGPRBlocks: 5
; NumSGPRsForWavesPerEU: 51
; NumVGPRsForWavesPerEU: 45
; Occupancy: 16
; WaveLimiterHint : 1
; COMPUTE_PGM_RSRC2:SCRATCH_EN: 0
; COMPUTE_PGM_RSRC2:USER_SGPR: 6
; COMPUTE_PGM_RSRC2:TRAP_HANDLER: 0
; COMPUTE_PGM_RSRC2:TGID_X_EN: 1
; COMPUTE_PGM_RSRC2:TGID_Y_EN: 0
; COMPUTE_PGM_RSRC2:TGID_Z_EN: 0
; COMPUTE_PGM_RSRC2:TIDIG_COMP_CNT: 0
	.section	.text._ZN9rocsparseL35bsr2csr_block_per_row_33_256_kernelILj1024ELj256ELj32ElllEEv20rocsparse_direction_T4_S2_21rocsparse_index_base_PKT2_PKT3_PKS2_S2_S3_PS4_PS7_PS2_,"axG",@progbits,_ZN9rocsparseL35bsr2csr_block_per_row_33_256_kernelILj1024ELj256ELj32ElllEEv20rocsparse_direction_T4_S2_21rocsparse_index_base_PKT2_PKT3_PKS2_S2_S3_PS4_PS7_PS2_,comdat
	.globl	_ZN9rocsparseL35bsr2csr_block_per_row_33_256_kernelILj1024ELj256ELj32ElllEEv20rocsparse_direction_T4_S2_21rocsparse_index_base_PKT2_PKT3_PKS2_S2_S3_PS4_PS7_PS2_ ; -- Begin function _ZN9rocsparseL35bsr2csr_block_per_row_33_256_kernelILj1024ELj256ELj32ElllEEv20rocsparse_direction_T4_S2_21rocsparse_index_base_PKT2_PKT3_PKS2_S2_S3_PS4_PS7_PS2_
	.p2align	8
	.type	_ZN9rocsparseL35bsr2csr_block_per_row_33_256_kernelILj1024ELj256ELj32ElllEEv20rocsparse_direction_T4_S2_21rocsparse_index_base_PKT2_PKT3_PKS2_S2_S3_PS4_PS7_PS2_,@function
_ZN9rocsparseL35bsr2csr_block_per_row_33_256_kernelILj1024ELj256ELj32ElllEEv20rocsparse_direction_T4_S2_21rocsparse_index_base_PKT2_PKT3_PKS2_S2_S3_PS4_PS7_PS2_: ; @_ZN9rocsparseL35bsr2csr_block_per_row_33_256_kernelILj1024ELj256ELj32ElllEEv20rocsparse_direction_T4_S2_21rocsparse_index_base_PKT2_PKT3_PKS2_S2_S3_PS4_PS7_PS2_
; %bb.0:
	s_load_dwordx2 s[0:1], s[4:5], 0x28
	s_mov_b32 s19, 0
	s_clause 0x1
	s_load_dword s18, s[4:5], 0x40
	s_load_dwordx2 s[2:3], s[4:5], 0x50
	s_mov_b32 s7, s19
	v_or_b32_e32 v1, s6, v0
	s_lshl_b64 s[8:9], s[6:7], 3
	s_waitcnt lgkmcnt(0)
	s_add_u32 s0, s0, s8
	s_addc_u32 s1, s1, s9
	s_load_dwordx4 s[12:15], s[0:1], 0x0
	s_mov_b32 s0, exec_lo
	v_cmpx_eq_u32_e32 0, v1
	s_cbranch_execz .LBB103_2
; %bb.1:
	v_mov_b32_e32 v1, s18
	v_mov_b32_e32 v3, 0
	;; [unrolled: 1-line block ×3, first 2 shown]
	global_store_dwordx2 v3, v[1:2], s[2:3]
.LBB103_2:
	s_or_b32 exec_lo, exec_lo, s0
	s_clause 0x1
	s_load_dword s19, s[4:5], 0x18
	s_load_dwordx2 s[20:21], s[4:5], 0x38
	v_mov_b32_e32 v13, 0
	v_lshrrev_b32_e32 v12, 5, v0
	v_lshlrev_b32_e32 v47, 3, v12
	s_waitcnt lgkmcnt(0)
	s_sub_u32 s22, s12, s19
	s_subb_u32 s23, s13, 0
	s_mul_hi_u32 s0, s20, s22
	s_mul_i32 s10, s20, s23
	s_sub_u32 s24, s14, s19
	s_mul_i32 s8, s21, s22
	s_mul_i32 s9, s20, s22
	s_subb_u32 s25, s15, 0
	s_add_i32 s0, s0, s10
	s_mul_i32 s11, s9, s21
	s_mul_hi_u32 s10, s9, s20
	s_add_i32 s0, s0, s8
	s_add_i32 s8, s10, s11
	s_mul_i32 s0, s0, s20
	s_mul_i32 s9, s9, s20
	s_add_i32 s8, s8, s0
	s_sub_u32 s40, s24, s22
	s_subb_u32 s41, s25, s23
	s_mul_i32 s0, s40, s21
	s_mul_hi_u32 s10, s40, s20
	s_mul_i32 s16, s41, s20
	s_add_i32 s0, s10, s0
	s_mul_i32 s11, s40, s20
	s_add_i32 s0, s0, s16
	s_add_u32 s9, s9, s18
	s_mul_i32 s1, s21, s6
	s_mul_hi_u32 s7, s20, s6
	s_addc_u32 s8, s8, 0
	s_add_u32 s16, s9, s11
	s_mul_i32 s6, s20, s6
	s_addc_u32 s17, s8, s0
	s_add_i32 s7, s7, s1
	v_cmp_gt_i64_e64 s1, s[20:21], v[12:13]
	s_lshl_b64 s[6:7], s[6:7], 3
	s_add_u32 s26, s2, s6
	s_addc_u32 s27, s3, s7
	s_and_saveexec_b32 s2, s1
	s_cbranch_execz .LBB103_4
; %bb.3:
	v_mad_u64_u32 v[1:2], null, v12, s11, s[16:17]
	v_mad_u64_u32 v[2:3], null, v12, s0, v[2:3]
	global_store_dwordx2 v47, v[1:2], s[26:27] offset:8
.LBB103_4:
	s_or_b32 exec_lo, exec_lo, s2
	v_or_b32_e32 v1, 32, v12
	v_mov_b32_e32 v2, v13
	v_cmp_gt_i64_e64 s2, s[20:21], v[1:2]
	s_and_saveexec_b32 s3, s2
	s_cbranch_execz .LBB103_6
; %bb.5:
	v_mad_u64_u32 v[2:3], null, v1, s11, s[16:17]
	v_mad_u64_u32 v[3:4], null, v1, s0, v[3:4]
	global_store_dwordx2 v47, v[2:3], s[26:27] offset:264
.LBB103_6:
	s_or_b32 exec_lo, exec_lo, s3
	v_or_b32_e32 v1, 64, v12
	v_mov_b32_e32 v2, v13
	v_cmp_gt_i64_e64 s3, s[20:21], v[1:2]
	;; [unrolled: 11-line block ×7, first 2 shown]
	s_and_saveexec_b32 s28, s9
	s_cbranch_execz .LBB103_18
; %bb.17:
	v_mad_u64_u32 v[2:3], null, v1, s11, s[16:17]
	v_mad_u64_u32 v[3:4], null, v1, s0, v[3:4]
	global_store_dwordx2 v47, v[2:3], s[26:27] offset:1800
.LBB103_18:
	s_or_b32 exec_lo, exec_lo, s28
	v_cmp_lt_i64_e64 s0, s[12:13], s[14:15]
	s_and_b32 vcc_lo, exec_lo, s0
	s_cbranch_vccz .LBB103_149
; %bb.19:
	v_and_b32_e32 v0, 31, v0
	s_clause 0x2
	s_load_dwordx2 s[26:27], s[4:5], 0x30
	s_load_dwordx2 s[28:29], s[4:5], 0x48
	s_load_dword s0, s[4:5], 0x0
	s_mul_i32 s11, s20, s21
	s_mul_hi_u32 s12, s20, s20
	v_mov_b32_e32 v1, 0
	v_mad_u64_u32 v[13:14], null, v0, s20, 0
	s_add_i32 s12, s12, s11
	s_mul_i32 s33, s20, s20
	s_add_i32 s17, s12, s11
	s_clause 0x1
	s_load_dwordx2 s[30:31], s[4:5], 0x20
	s_load_dwordx2 s[34:35], s[4:5], 0x58
	s_mul_i32 s4, s22, s17
	v_mov_b32_e32 v2, v14
	s_mul_hi_u32 s5, s22, s33
	v_mov_b32_e32 v4, v1
	s_add_i32 s4, s5, s4
	s_mul_i32 s5, s23, s33
	v_mad_u64_u32 v[5:6], null, v0, s21, v[2:3]
	v_or_b32_e32 v2, 32, v0
	v_mov_b32_e32 v3, v1
	s_add_i32 s37, s4, s5
	s_waitcnt lgkmcnt(0)
	s_cmp_eq_u32 s0, 0
	v_mov_b32_e32 v6, v1
	s_cselect_b32 s0, -1, 0
	v_cmp_gt_i64_e64 s4, s[20:21], v[2:3]
	v_or_b32_e32 v3, 64, v0
	s_lshl_b64 s[38:39], s[20:21], 5
	v_mov_b32_e32 v14, v5
	v_add_co_u32 v15, s5, v13, s38
	v_add_co_ci_u32_e64 v16, null, s39, v5, s5
	v_cmp_gt_i64_e64 s5, s[20:21], v[3:4]
	v_or_b32_e32 v4, 0x60, v0
	v_mov_b32_e32 v5, v1
	v_add_co_u32 v17, s11, v15, s38
	v_add_co_ci_u32_e64 v18, null, s39, v16, s11
	v_cmp_gt_i64_e64 s11, s[20:21], v[4:5]
	v_or_b32_e32 v5, 0x80, v0
	v_add_co_u32 v19, s12, v17, s38
	v_add_co_ci_u32_e64 v20, null, s39, v18, s12
	v_cmp_gt_i64_e64 s12, s[20:21], v[5:6]
	v_or_b32_e32 v6, 0xa0, v0
	v_mov_b32_e32 v7, v1
	v_mad_u64_u32 v[9:10], null, v12, s40, 0
	v_add_co_u32 v21, s13, v19, s38
	v_add_co_ci_u32_e64 v22, null, s39, v20, s13
	v_cmp_gt_i64_e64 s13, s[20:21], v[6:7]
	v_or_b32_e32 v7, 0xc0, v0
	v_mov_b32_e32 v8, v1
	v_mad_u64_u32 v[23:24], null, v12, s20, 0
	v_add_co_u32 v25, s14, v21, s38
	v_add_co_ci_u32_e64 v26, null, s39, v22, s14
	v_cmp_gt_i64_e64 s14, s[20:21], v[7:8]
	v_mov_b32_e32 v8, v10
	v_or_b32_e32 v10, 0xe0, v0
	v_mov_b32_e32 v11, v1
	v_cmp_gt_i64_e32 vcc_lo, s[20:21], v[0:1]
	s_lshl_b64 s[92:93], s[40:41], 5
	v_mad_u64_u32 v[27:28], null, v12, s41, v[8:9]
	v_mad_u64_u32 v[28:29], null, v12, s21, v[24:25]
	v_add_co_u32 v29, s15, v25, s38
	v_add_co_ci_u32_e64 v30, null, s39, v26, s15
	v_cmp_gt_i64_e64 s15, s[20:21], v[10:11]
	v_add_co_u32 v31, s16, v29, s38
	v_add_co_ci_u32_e64 v32, null, s39, v30, s16
	s_and_b32 s16, s1, vcc_lo
	s_and_b32 s42, s1, s4
	s_and_b32 s43, s1, s5
	;; [unrolled: 1-line block ×7, first 2 shown]
	v_add_co_u32 v8, s1, v9, s92
	v_add_co_ci_u32_e64 v48, null, s93, v27, s1
	v_mov_b32_e32 v24, v28
	v_add_co_u32 v49, s1, v8, s92
	v_add_co_ci_u32_e64 v50, null, s93, v48, s1
	v_mov_b32_e32 v1, v27
	v_add_co_u32 v51, s1, v49, s92
	v_add_co_ci_u32_e64 v52, null, s93, v50, s1
	v_lshlrev_b64 v[11:12], 3, v[23:24]
	v_add_co_u32 v53, s1, v51, s92
	v_add_co_ci_u32_e64 v54, null, s93, v52, s1
	v_lshlrev_b64 v[13:14], 3, v[13:14]
	;; [unrolled: 3-line block ×4, first 2 shown]
	v_add_co_u32 v59, s1, v57, s92
	v_lshlrev_b64 v[19:20], 3, v[19:20]
	v_lshlrev_b64 v[21:22], 3, v[21:22]
	;; [unrolled: 1-line block ×5, first 2 shown]
	v_add_co_ci_u32_e64 v60, null, s93, v58, s1
	s_mul_i32 s36, s22, s33
	s_and_b32 s40, s2, vcc_lo
	s_and_b32 s41, s2, s4
	s_and_b32 s49, s2, s5
	s_and_b32 s50, s2, s11
	s_and_b32 s51, s2, s12
	s_and_b32 s52, s2, s13
	s_and_b32 s53, s2, s14
	s_and_b32 s54, s2, s15
	s_and_b32 s55, s3, vcc_lo
	s_and_b32 s56, s3, s4
	s_and_b32 s57, s3, s5
	s_and_b32 s58, s3, s11
	s_and_b32 s59, s3, s12
	s_and_b32 s60, s3, s13
	s_and_b32 s61, s3, s14
	s_and_b32 s62, s3, s15
	;; [unrolled: 8-line block ×7, first 2 shown]
	s_mov_b64 s[2:3], s[22:23]
	s_branch .LBB103_21
.LBB103_20:                             ;   in Loop: Header=BB103_21 Depth=1
	s_or_b32 exec_lo, exec_lo, s4
	s_add_u32 s2, s2, 1
	s_addc_u32 s3, s3, 0
	v_cmp_ge_i64_e64 s4, s[2:3], s[24:25]
	s_and_b32 vcc_lo, exec_lo, s4
	s_cbranch_vccnz .LBB103_149
.LBB103_21:                             ; =>This Inner Loop Header: Depth=1
	s_lshl_b64 s[4:5], s[2:3], 3
	s_mul_i32 s95, s2, s17
	s_add_u32 s4, s26, s4
	s_addc_u32 s5, s27, s5
	s_mul_hi_u32 s96, s2, s33
	s_load_dwordx2 s[4:5], s[4:5], 0x0
	s_mul_i32 s97, s3, s33
	s_mul_i32 s94, s2, s33
	v_lshlrev_b32_e32 v63, 3, v0
	s_waitcnt lgkmcnt(0)
	s_sub_u32 s4, s4, s19
	s_subb_u32 s5, s5, 0
	s_sub_u32 s15, s2, s22
	s_mul_i32 s98, s4, s21
	s_mul_hi_u32 s99, s4, s20
	s_subb_u32 s93, s3, s23
	v_add_co_u32 v29, vcc_lo, v9, s15
	s_mul_i32 s5, s5, s20
	s_add_i32 s98, s99, s98
	s_mul_i32 s4, s4, s20
	v_add_co_ci_u32_e64 v30, null, s93, v1, vcc_lo
	s_add_i32 s98, s98, s5
	s_add_u32 s4, s4, s18
	s_addc_u32 s5, s98, 0
	s_add_i32 s95, s96, s95
	v_mul_lo_u32 v31, v29, s21
	v_mad_u64_u32 v[45:46], null, v29, s20, s[36:37]
	s_add_i32 s95, s95, s97
	v_mul_lo_u32 v32, v30, s20
	s_lshl_b64 s[94:95], s[94:95], 3
	v_add_co_u32 v29, s96, s4, v0
	s_add_u32 s94, s30, s94
	v_add_co_ci_u32_e64 v30, null, s5, 0, s96
	s_addc_u32 s95, s31, s95
	v_add_co_u32 v61, s96, s94, v47
	v_add_co_u32 v64, vcc_lo, s94, v11
	v_add_co_ci_u32_e64 v62, null, s95, 0, s96
	v_add3_u32 v46, v32, v46, v31
	v_add_co_ci_u32_e64 v65, null, s95, v12, vcc_lo
	s_and_saveexec_b32 s94, s16
	s_cbranch_execz .LBB103_23
; %bb.22:                               ;   in Loop: Header=BB103_21 Depth=1
	v_add_co_u32 v31, vcc_lo, v64, v63
	v_add_co_ci_u32_e64 v32, null, 0, v65, vcc_lo
	v_add_co_u32 v33, vcc_lo, v61, v13
	v_add_co_ci_u32_e64 v34, null, v62, v14, vcc_lo
	v_cndmask_b32_e64 v31, v33, v31, s0
	v_add_co_u32 v33, vcc_lo, v45, v0
	v_cndmask_b32_e64 v32, v34, v32, s0
	v_add_co_ci_u32_e64 v34, null, 0, v46, vcc_lo
	global_load_dwordx2 v[31:32], v[31:32], off
	v_lshlrev_b64 v[33:34], 3, v[33:34]
	v_add_co_u32 v35, vcc_lo, s34, v33
	v_add_co_ci_u32_e64 v36, null, s35, v34, vcc_lo
	v_add_co_u32 v33, vcc_lo, s28, v33
	v_add_co_ci_u32_e64 v34, null, s29, v34, vcc_lo
	global_store_dwordx2 v[35:36], v[29:30], off
	s_waitcnt vmcnt(0)
	global_store_dwordx2 v[33:34], v[31:32], off
.LBB103_23:                             ;   in Loop: Header=BB103_21 Depth=1
	s_or_b32 exec_lo, exec_lo, s94
	v_add_co_u32 v31, s94, s4, v2
	v_add_co_ci_u32_e64 v32, null, s5, 0, s94
	s_and_saveexec_b32 s94, s42
	s_cbranch_execz .LBB103_25
; %bb.24:                               ;   in Loop: Header=BB103_21 Depth=1
	v_add_co_u32 v33, vcc_lo, v64, v63
	v_add_co_ci_u32_e64 v34, null, 0, v65, vcc_lo
	v_add_co_u32 v33, vcc_lo, 0x100, v33
	v_add_co_ci_u32_e64 v34, null, 0, v34, vcc_lo
	v_add_co_u32 v35, vcc_lo, v61, v15
	v_add_co_ci_u32_e64 v36, null, v62, v16, vcc_lo
	v_cndmask_b32_e64 v33, v35, v33, s0
	v_add_co_u32 v35, vcc_lo, v45, v0
	v_cndmask_b32_e64 v34, v36, v34, s0
	v_add_co_ci_u32_e64 v36, null, 0, v46, vcc_lo
	global_load_dwordx2 v[33:34], v[33:34], off
	v_lshlrev_b64 v[35:36], 3, v[35:36]
	v_add_co_u32 v37, vcc_lo, s34, v35
	v_add_co_ci_u32_e64 v38, null, s35, v36, vcc_lo
	v_add_co_u32 v35, vcc_lo, s28, v35
	v_add_co_ci_u32_e64 v36, null, s29, v36, vcc_lo
	global_store_dwordx2 v[37:38], v[31:32], off offset:256
	s_waitcnt vmcnt(0)
	global_store_dwordx2 v[35:36], v[33:34], off offset:256
.LBB103_25:                             ;   in Loop: Header=BB103_21 Depth=1
	s_or_b32 exec_lo, exec_lo, s94
	v_add_co_u32 v33, s94, s4, v3
	v_add_co_ci_u32_e64 v34, null, s5, 0, s94
	s_and_saveexec_b32 s94, s43
	s_cbranch_execz .LBB103_27
; %bb.26:                               ;   in Loop: Header=BB103_21 Depth=1
	v_add_co_u32 v35, vcc_lo, v64, v63
	v_add_co_ci_u32_e64 v36, null, 0, v65, vcc_lo
	v_add_co_u32 v35, vcc_lo, 0x200, v35
	v_add_co_ci_u32_e64 v36, null, 0, v36, vcc_lo
	v_add_co_u32 v37, vcc_lo, v61, v17
	v_add_co_ci_u32_e64 v38, null, v62, v18, vcc_lo
	v_cndmask_b32_e64 v35, v37, v35, s0
	v_add_co_u32 v37, vcc_lo, v45, v0
	v_cndmask_b32_e64 v36, v38, v36, s0
	v_add_co_ci_u32_e64 v38, null, 0, v46, vcc_lo
	global_load_dwordx2 v[35:36], v[35:36], off
	v_lshlrev_b64 v[37:38], 3, v[37:38]
	v_add_co_u32 v39, vcc_lo, s34, v37
	v_add_co_ci_u32_e64 v40, null, s35, v38, vcc_lo
	v_add_co_u32 v37, vcc_lo, s28, v37
	v_add_co_ci_u32_e64 v38, null, s29, v38, vcc_lo
	global_store_dwordx2 v[39:40], v[33:34], off offset:512
	s_waitcnt vmcnt(0)
	global_store_dwordx2 v[37:38], v[35:36], off offset:512
.LBB103_27:                             ;   in Loop: Header=BB103_21 Depth=1
	;; [unrolled: 26-line block ×6, first 2 shown]
	s_or_b32 exec_lo, exec_lo, s94
	v_add_co_u32 v43, s4, s4, v10
	v_add_co_ci_u32_e64 v44, null, s5, 0, s4
	s_and_saveexec_b32 s4, s48
	s_cbranch_execz .LBB103_37
; %bb.36:                               ;   in Loop: Header=BB103_21 Depth=1
	v_add_co_u32 v66, vcc_lo, v64, v63
	v_add_co_ci_u32_e64 v67, null, 0, v65, vcc_lo
	v_add_co_u32 v66, vcc_lo, 0x700, v66
	v_add_co_ci_u32_e64 v67, null, 0, v67, vcc_lo
	;; [unrolled: 2-line block ×3, first 2 shown]
	v_add_co_u32 v45, vcc_lo, v45, v0
	v_cndmask_b32_e64 v66, v68, v66, s0
	v_cndmask_b32_e64 v67, v69, v67, s0
	v_add_co_ci_u32_e64 v46, null, 0, v46, vcc_lo
	global_load_dwordx2 v[66:67], v[66:67], off
	v_lshlrev_b64 v[45:46], 3, v[45:46]
	v_add_co_u32 v68, vcc_lo, s34, v45
	v_add_co_ci_u32_e64 v69, null, s35, v46, vcc_lo
	v_add_co_u32 v45, vcc_lo, s28, v45
	v_add_co_ci_u32_e64 v46, null, s29, v46, vcc_lo
	global_store_dwordx2 v[68:69], v[43:44], off offset:1792
	s_waitcnt vmcnt(0)
	global_store_dwordx2 v[45:46], v[66:67], off offset:1792
.LBB103_37:                             ;   in Loop: Header=BB103_21 Depth=1
	s_or_b32 exec_lo, exec_lo, s4
	v_add_co_u32 v45, vcc_lo, v8, s15
	v_add_co_ci_u32_e64 v46, null, s93, v48, vcc_lo
	s_lshl_b64 s[4:5], s[38:39], 3
	v_mul_lo_u32 v66, v45, s21
	v_add_co_u32 v64, vcc_lo, v64, s4
	v_mul_lo_u32 v67, v46, s20
	v_mad_u64_u32 v[45:46], null, v45, s20, s[36:37]
	v_add_co_ci_u32_e64 v65, null, s5, v65, vcc_lo
	v_add3_u32 v46, v67, v46, v66
	s_and_saveexec_b32 s94, s40
	s_cbranch_execnz .LBB103_99
; %bb.38:                               ;   in Loop: Header=BB103_21 Depth=1
	s_or_b32 exec_lo, exec_lo, s94
	s_and_saveexec_b32 s94, s41
	s_cbranch_execnz .LBB103_100
.LBB103_39:                             ;   in Loop: Header=BB103_21 Depth=1
	s_or_b32 exec_lo, exec_lo, s94
	s_and_saveexec_b32 s94, s49
	s_cbranch_execnz .LBB103_101
.LBB103_40:                             ;   in Loop: Header=BB103_21 Depth=1
	s_or_b32 exec_lo, exec_lo, s94
	s_and_saveexec_b32 s94, s50
	s_cbranch_execnz .LBB103_102
.LBB103_41:                             ;   in Loop: Header=BB103_21 Depth=1
	s_or_b32 exec_lo, exec_lo, s94
	s_and_saveexec_b32 s94, s51
	s_cbranch_execnz .LBB103_103
.LBB103_42:                             ;   in Loop: Header=BB103_21 Depth=1
	s_or_b32 exec_lo, exec_lo, s94
	s_and_saveexec_b32 s94, s52
	s_cbranch_execnz .LBB103_104
.LBB103_43:                             ;   in Loop: Header=BB103_21 Depth=1
	s_or_b32 exec_lo, exec_lo, s94
	s_and_saveexec_b32 s94, s53
	s_cbranch_execnz .LBB103_105
.LBB103_44:                             ;   in Loop: Header=BB103_21 Depth=1
	s_or_b32 exec_lo, exec_lo, s94
	s_and_saveexec_b32 s94, s54
	s_cbranch_execz .LBB103_46
.LBB103_45:                             ;   in Loop: Header=BB103_21 Depth=1
	v_add_co_u32 v66, vcc_lo, v64, v63
	v_add_co_ci_u32_e64 v67, null, 0, v65, vcc_lo
	v_add_co_u32 v68, vcc_lo, v61, v27
	v_add_co_ci_u32_e64 v69, null, v62, v28, vcc_lo
	;; [unrolled: 2-line block ×4, first 2 shown]
	v_add_co_u32 v45, vcc_lo, v45, v0
	v_cndmask_b32_e64 v66, v68, v66, s0
	v_cndmask_b32_e64 v67, v69, v67, s0
	v_add_co_ci_u32_e64 v46, null, 0, v46, vcc_lo
	global_load_dwordx2 v[66:67], v[66:67], off
	v_lshlrev_b64 v[45:46], 3, v[45:46]
	v_add_co_u32 v68, vcc_lo, s34, v45
	v_add_co_ci_u32_e64 v69, null, s35, v46, vcc_lo
	v_add_co_u32 v45, vcc_lo, s28, v45
	v_add_co_ci_u32_e64 v46, null, s29, v46, vcc_lo
	global_store_dwordx2 v[68:69], v[43:44], off offset:1792
	s_waitcnt vmcnt(0)
	global_store_dwordx2 v[45:46], v[66:67], off offset:1792
.LBB103_46:                             ;   in Loop: Header=BB103_21 Depth=1
	s_or_b32 exec_lo, exec_lo, s94
	v_add_co_u32 v45, vcc_lo, v49, s15
	v_add_co_ci_u32_e64 v46, null, s93, v50, vcc_lo
	v_add_co_u32 v64, vcc_lo, v64, s4
	v_mul_lo_u32 v66, v45, s21
	v_mul_lo_u32 v67, v46, s20
	v_mad_u64_u32 v[45:46], null, v45, s20, s[36:37]
	v_add_co_ci_u32_e64 v65, null, s5, v65, vcc_lo
	v_add3_u32 v46, v67, v46, v66
	s_and_saveexec_b32 s94, s55
	s_cbranch_execnz .LBB103_106
; %bb.47:                               ;   in Loop: Header=BB103_21 Depth=1
	s_or_b32 exec_lo, exec_lo, s94
	s_and_saveexec_b32 s94, s56
	s_cbranch_execnz .LBB103_107
.LBB103_48:                             ;   in Loop: Header=BB103_21 Depth=1
	s_or_b32 exec_lo, exec_lo, s94
	s_and_saveexec_b32 s94, s57
	s_cbranch_execnz .LBB103_108
.LBB103_49:                             ;   in Loop: Header=BB103_21 Depth=1
	s_or_b32 exec_lo, exec_lo, s94
	s_and_saveexec_b32 s94, s58
	s_cbranch_execnz .LBB103_109
.LBB103_50:                             ;   in Loop: Header=BB103_21 Depth=1
	s_or_b32 exec_lo, exec_lo, s94
	s_and_saveexec_b32 s94, s59
	s_cbranch_execnz .LBB103_110
.LBB103_51:                             ;   in Loop: Header=BB103_21 Depth=1
	s_or_b32 exec_lo, exec_lo, s94
	s_and_saveexec_b32 s94, s60
	s_cbranch_execnz .LBB103_111
.LBB103_52:                             ;   in Loop: Header=BB103_21 Depth=1
	s_or_b32 exec_lo, exec_lo, s94
	s_and_saveexec_b32 s94, s61
	s_cbranch_execnz .LBB103_112
.LBB103_53:                             ;   in Loop: Header=BB103_21 Depth=1
	s_or_b32 exec_lo, exec_lo, s94
	s_and_saveexec_b32 s94, s62
	s_cbranch_execz .LBB103_55
.LBB103_54:                             ;   in Loop: Header=BB103_21 Depth=1
	v_add_co_u32 v66, vcc_lo, v64, v63
	v_add_co_ci_u32_e64 v67, null, 0, v65, vcc_lo
	v_add_co_u32 v68, vcc_lo, v61, v27
	v_add_co_ci_u32_e64 v69, null, v62, v28, vcc_lo
	;; [unrolled: 2-line block ×4, first 2 shown]
	v_add_co_u32 v45, vcc_lo, v45, v0
	v_cndmask_b32_e64 v66, v68, v66, s0
	v_cndmask_b32_e64 v67, v69, v67, s0
	v_add_co_ci_u32_e64 v46, null, 0, v46, vcc_lo
	global_load_dwordx2 v[66:67], v[66:67], off
	v_lshlrev_b64 v[45:46], 3, v[45:46]
	v_add_co_u32 v68, vcc_lo, s34, v45
	v_add_co_ci_u32_e64 v69, null, s35, v46, vcc_lo
	v_add_co_u32 v45, vcc_lo, s28, v45
	v_add_co_ci_u32_e64 v46, null, s29, v46, vcc_lo
	global_store_dwordx2 v[68:69], v[43:44], off offset:1792
	s_waitcnt vmcnt(0)
	global_store_dwordx2 v[45:46], v[66:67], off offset:1792
.LBB103_55:                             ;   in Loop: Header=BB103_21 Depth=1
	s_or_b32 exec_lo, exec_lo, s94
	v_add_co_u32 v45, vcc_lo, v51, s15
	v_add_co_ci_u32_e64 v46, null, s93, v52, vcc_lo
	v_add_co_u32 v64, vcc_lo, v64, s4
	v_mul_lo_u32 v66, v45, s21
	v_mul_lo_u32 v67, v46, s20
	v_mad_u64_u32 v[45:46], null, v45, s20, s[36:37]
	v_add_co_ci_u32_e64 v65, null, s5, v65, vcc_lo
	v_add3_u32 v46, v67, v46, v66
	s_and_saveexec_b32 s94, s63
	s_cbranch_execnz .LBB103_113
; %bb.56:                               ;   in Loop: Header=BB103_21 Depth=1
	s_or_b32 exec_lo, exec_lo, s94
	s_and_saveexec_b32 s94, s64
	s_cbranch_execnz .LBB103_114
.LBB103_57:                             ;   in Loop: Header=BB103_21 Depth=1
	s_or_b32 exec_lo, exec_lo, s94
	s_and_saveexec_b32 s94, s65
	s_cbranch_execnz .LBB103_115
.LBB103_58:                             ;   in Loop: Header=BB103_21 Depth=1
	s_or_b32 exec_lo, exec_lo, s94
	s_and_saveexec_b32 s94, s66
	s_cbranch_execnz .LBB103_116
.LBB103_59:                             ;   in Loop: Header=BB103_21 Depth=1
	s_or_b32 exec_lo, exec_lo, s94
	s_and_saveexec_b32 s94, s67
	s_cbranch_execnz .LBB103_117
.LBB103_60:                             ;   in Loop: Header=BB103_21 Depth=1
	s_or_b32 exec_lo, exec_lo, s94
	s_and_saveexec_b32 s94, s68
	s_cbranch_execnz .LBB103_118
.LBB103_61:                             ;   in Loop: Header=BB103_21 Depth=1
	s_or_b32 exec_lo, exec_lo, s94
	s_and_saveexec_b32 s94, s69
	s_cbranch_execnz .LBB103_119
.LBB103_62:                             ;   in Loop: Header=BB103_21 Depth=1
	s_or_b32 exec_lo, exec_lo, s94
	s_and_saveexec_b32 s94, s6
	s_cbranch_execz .LBB103_64
.LBB103_63:                             ;   in Loop: Header=BB103_21 Depth=1
	v_add_co_u32 v66, vcc_lo, v64, v63
	v_add_co_ci_u32_e64 v67, null, 0, v65, vcc_lo
	v_add_co_u32 v68, vcc_lo, v61, v27
	v_add_co_ci_u32_e64 v69, null, v62, v28, vcc_lo
	;; [unrolled: 2-line block ×4, first 2 shown]
	v_add_co_u32 v45, vcc_lo, v45, v0
	v_cndmask_b32_e64 v66, v68, v66, s0
	v_cndmask_b32_e64 v67, v69, v67, s0
	v_add_co_ci_u32_e64 v46, null, 0, v46, vcc_lo
	global_load_dwordx2 v[66:67], v[66:67], off
	v_lshlrev_b64 v[45:46], 3, v[45:46]
	v_add_co_u32 v68, vcc_lo, s34, v45
	v_add_co_ci_u32_e64 v69, null, s35, v46, vcc_lo
	v_add_co_u32 v45, vcc_lo, s28, v45
	v_add_co_ci_u32_e64 v46, null, s29, v46, vcc_lo
	global_store_dwordx2 v[68:69], v[43:44], off offset:1792
	s_waitcnt vmcnt(0)
	global_store_dwordx2 v[45:46], v[66:67], off offset:1792
.LBB103_64:                             ;   in Loop: Header=BB103_21 Depth=1
	s_or_b32 exec_lo, exec_lo, s94
	v_add_co_u32 v45, vcc_lo, v53, s15
	v_add_co_ci_u32_e64 v46, null, s93, v54, vcc_lo
	v_add_co_u32 v64, vcc_lo, v64, s4
	v_mul_lo_u32 v66, v45, s21
	v_mul_lo_u32 v67, v46, s20
	v_mad_u64_u32 v[45:46], null, v45, s20, s[36:37]
	v_add_co_ci_u32_e64 v65, null, s5, v65, vcc_lo
	v_add3_u32 v46, v67, v46, v66
	s_and_saveexec_b32 s94, s70
	s_cbranch_execnz .LBB103_120
; %bb.65:                               ;   in Loop: Header=BB103_21 Depth=1
	s_or_b32 exec_lo, exec_lo, s94
	s_and_saveexec_b32 s94, s71
	s_cbranch_execnz .LBB103_121
.LBB103_66:                             ;   in Loop: Header=BB103_21 Depth=1
	s_or_b32 exec_lo, exec_lo, s94
	s_and_saveexec_b32 s94, s72
	s_cbranch_execnz .LBB103_122
.LBB103_67:                             ;   in Loop: Header=BB103_21 Depth=1
	s_or_b32 exec_lo, exec_lo, s94
	s_and_saveexec_b32 s94, s73
	s_cbranch_execnz .LBB103_123
.LBB103_68:                             ;   in Loop: Header=BB103_21 Depth=1
	s_or_b32 exec_lo, exec_lo, s94
	s_and_saveexec_b32 s94, s74
	s_cbranch_execnz .LBB103_124
.LBB103_69:                             ;   in Loop: Header=BB103_21 Depth=1
	s_or_b32 exec_lo, exec_lo, s94
	s_and_saveexec_b32 s94, s75
	s_cbranch_execnz .LBB103_125
.LBB103_70:                             ;   in Loop: Header=BB103_21 Depth=1
	s_or_b32 exec_lo, exec_lo, s94
	s_and_saveexec_b32 s94, s76
	s_cbranch_execnz .LBB103_126
.LBB103_71:                             ;   in Loop: Header=BB103_21 Depth=1
	s_or_b32 exec_lo, exec_lo, s94
	s_and_saveexec_b32 s94, s7
	s_cbranch_execz .LBB103_73
.LBB103_72:                             ;   in Loop: Header=BB103_21 Depth=1
	v_add_co_u32 v66, vcc_lo, v64, v63
	v_add_co_ci_u32_e64 v67, null, 0, v65, vcc_lo
	v_add_co_u32 v68, vcc_lo, v61, v27
	v_add_co_ci_u32_e64 v69, null, v62, v28, vcc_lo
	;; [unrolled: 2-line block ×4, first 2 shown]
	v_add_co_u32 v45, vcc_lo, v45, v0
	v_cndmask_b32_e64 v66, v68, v66, s0
	v_cndmask_b32_e64 v67, v69, v67, s0
	v_add_co_ci_u32_e64 v46, null, 0, v46, vcc_lo
	global_load_dwordx2 v[66:67], v[66:67], off
	v_lshlrev_b64 v[45:46], 3, v[45:46]
	v_add_co_u32 v68, vcc_lo, s34, v45
	v_add_co_ci_u32_e64 v69, null, s35, v46, vcc_lo
	v_add_co_u32 v45, vcc_lo, s28, v45
	v_add_co_ci_u32_e64 v46, null, s29, v46, vcc_lo
	global_store_dwordx2 v[68:69], v[43:44], off offset:1792
	s_waitcnt vmcnt(0)
	global_store_dwordx2 v[45:46], v[66:67], off offset:1792
.LBB103_73:                             ;   in Loop: Header=BB103_21 Depth=1
	s_or_b32 exec_lo, exec_lo, s94
	v_add_co_u32 v45, vcc_lo, v55, s15
	v_add_co_ci_u32_e64 v46, null, s93, v56, vcc_lo
	v_add_co_u32 v64, vcc_lo, v64, s4
	v_mul_lo_u32 v66, v45, s21
	v_mul_lo_u32 v67, v46, s20
	v_mad_u64_u32 v[45:46], null, v45, s20, s[36:37]
	v_add_co_ci_u32_e64 v65, null, s5, v65, vcc_lo
	v_add3_u32 v46, v67, v46, v66
	s_and_saveexec_b32 s94, s77
	s_cbranch_execnz .LBB103_127
; %bb.74:                               ;   in Loop: Header=BB103_21 Depth=1
	s_or_b32 exec_lo, exec_lo, s94
	s_and_saveexec_b32 s94, s78
	s_cbranch_execnz .LBB103_128
.LBB103_75:                             ;   in Loop: Header=BB103_21 Depth=1
	s_or_b32 exec_lo, exec_lo, s94
	s_and_saveexec_b32 s94, s79
	s_cbranch_execnz .LBB103_129
.LBB103_76:                             ;   in Loop: Header=BB103_21 Depth=1
	s_or_b32 exec_lo, exec_lo, s94
	s_and_saveexec_b32 s94, s80
	s_cbranch_execnz .LBB103_130
.LBB103_77:                             ;   in Loop: Header=BB103_21 Depth=1
	s_or_b32 exec_lo, exec_lo, s94
	s_and_saveexec_b32 s94, s81
	s_cbranch_execnz .LBB103_131
.LBB103_78:                             ;   in Loop: Header=BB103_21 Depth=1
	s_or_b32 exec_lo, exec_lo, s94
	s_and_saveexec_b32 s94, s82
	s_cbranch_execnz .LBB103_132
.LBB103_79:                             ;   in Loop: Header=BB103_21 Depth=1
	s_or_b32 exec_lo, exec_lo, s94
	s_and_saveexec_b32 s94, s83
	s_cbranch_execnz .LBB103_133
.LBB103_80:                             ;   in Loop: Header=BB103_21 Depth=1
	s_or_b32 exec_lo, exec_lo, s94
	s_and_saveexec_b32 s94, s8
	s_cbranch_execz .LBB103_82
.LBB103_81:                             ;   in Loop: Header=BB103_21 Depth=1
	v_add_co_u32 v66, vcc_lo, v64, v63
	v_add_co_ci_u32_e64 v67, null, 0, v65, vcc_lo
	v_add_co_u32 v68, vcc_lo, v61, v27
	v_add_co_ci_u32_e64 v69, null, v62, v28, vcc_lo
	;; [unrolled: 2-line block ×4, first 2 shown]
	v_add_co_u32 v45, vcc_lo, v45, v0
	v_cndmask_b32_e64 v66, v68, v66, s0
	v_cndmask_b32_e64 v67, v69, v67, s0
	v_add_co_ci_u32_e64 v46, null, 0, v46, vcc_lo
	global_load_dwordx2 v[66:67], v[66:67], off
	v_lshlrev_b64 v[45:46], 3, v[45:46]
	v_add_co_u32 v68, vcc_lo, s34, v45
	v_add_co_ci_u32_e64 v69, null, s35, v46, vcc_lo
	v_add_co_u32 v45, vcc_lo, s28, v45
	v_add_co_ci_u32_e64 v46, null, s29, v46, vcc_lo
	global_store_dwordx2 v[68:69], v[43:44], off offset:1792
	s_waitcnt vmcnt(0)
	global_store_dwordx2 v[45:46], v[66:67], off offset:1792
.LBB103_82:                             ;   in Loop: Header=BB103_21 Depth=1
	s_or_b32 exec_lo, exec_lo, s94
	v_add_co_u32 v45, vcc_lo, v57, s15
	v_add_co_ci_u32_e64 v46, null, s93, v58, vcc_lo
	v_add_co_u32 v64, vcc_lo, v64, s4
	v_mul_lo_u32 v66, v45, s21
	v_mul_lo_u32 v67, v46, s20
	v_mad_u64_u32 v[45:46], null, v45, s20, s[36:37]
	v_add_co_ci_u32_e64 v65, null, s5, v65, vcc_lo
	v_add3_u32 v46, v67, v46, v66
	s_and_saveexec_b32 s94, s84
	s_cbranch_execnz .LBB103_134
; %bb.83:                               ;   in Loop: Header=BB103_21 Depth=1
	s_or_b32 exec_lo, exec_lo, s94
	s_and_saveexec_b32 s94, s85
	s_cbranch_execnz .LBB103_135
.LBB103_84:                             ;   in Loop: Header=BB103_21 Depth=1
	s_or_b32 exec_lo, exec_lo, s94
	s_and_saveexec_b32 s94, s86
	s_cbranch_execnz .LBB103_136
.LBB103_85:                             ;   in Loop: Header=BB103_21 Depth=1
	s_or_b32 exec_lo, exec_lo, s94
	s_and_saveexec_b32 s94, s87
	s_cbranch_execnz .LBB103_137
.LBB103_86:                             ;   in Loop: Header=BB103_21 Depth=1
	s_or_b32 exec_lo, exec_lo, s94
	s_and_saveexec_b32 s94, s88
	s_cbranch_execnz .LBB103_138
.LBB103_87:                             ;   in Loop: Header=BB103_21 Depth=1
	s_or_b32 exec_lo, exec_lo, s94
	s_and_saveexec_b32 s94, s89
	s_cbranch_execnz .LBB103_139
.LBB103_88:                             ;   in Loop: Header=BB103_21 Depth=1
	s_or_b32 exec_lo, exec_lo, s94
	s_and_saveexec_b32 s94, s90
	s_cbranch_execnz .LBB103_140
.LBB103_89:                             ;   in Loop: Header=BB103_21 Depth=1
	s_or_b32 exec_lo, exec_lo, s94
	s_and_saveexec_b32 s94, s10
	s_cbranch_execz .LBB103_91
.LBB103_90:                             ;   in Loop: Header=BB103_21 Depth=1
	v_add_co_u32 v66, vcc_lo, v64, v63
	v_add_co_ci_u32_e64 v67, null, 0, v65, vcc_lo
	v_add_co_u32 v68, vcc_lo, v61, v27
	v_add_co_ci_u32_e64 v69, null, v62, v28, vcc_lo
	;; [unrolled: 2-line block ×4, first 2 shown]
	v_add_co_u32 v45, vcc_lo, v45, v0
	v_cndmask_b32_e64 v66, v68, v66, s0
	v_cndmask_b32_e64 v67, v69, v67, s0
	v_add_co_ci_u32_e64 v46, null, 0, v46, vcc_lo
	global_load_dwordx2 v[66:67], v[66:67], off
	v_lshlrev_b64 v[45:46], 3, v[45:46]
	v_add_co_u32 v68, vcc_lo, s34, v45
	v_add_co_ci_u32_e64 v69, null, s35, v46, vcc_lo
	v_add_co_u32 v45, vcc_lo, s28, v45
	v_add_co_ci_u32_e64 v46, null, s29, v46, vcc_lo
	global_store_dwordx2 v[68:69], v[43:44], off offset:1792
	s_waitcnt vmcnt(0)
	global_store_dwordx2 v[45:46], v[66:67], off offset:1792
.LBB103_91:                             ;   in Loop: Header=BB103_21 Depth=1
	s_or_b32 exec_lo, exec_lo, s94
	v_add_co_u32 v45, vcc_lo, v59, s15
	v_add_co_ci_u32_e64 v46, null, s93, v60, vcc_lo
	v_add_co_u32 v64, vcc_lo, v64, s4
	v_mul_lo_u32 v66, v45, s21
	v_mul_lo_u32 v67, v46, s20
	v_mad_u64_u32 v[45:46], null, v45, s20, s[36:37]
	v_add_co_ci_u32_e64 v65, null, s5, v65, vcc_lo
	v_add3_u32 v46, v67, v46, v66
	s_and_saveexec_b32 s4, s1
	s_cbranch_execnz .LBB103_141
; %bb.92:                               ;   in Loop: Header=BB103_21 Depth=1
	s_or_b32 exec_lo, exec_lo, s4
	s_and_saveexec_b32 s4, s91
	s_cbranch_execnz .LBB103_142
.LBB103_93:                             ;   in Loop: Header=BB103_21 Depth=1
	s_or_b32 exec_lo, exec_lo, s4
	s_and_saveexec_b32 s4, s92
	s_cbranch_execnz .LBB103_143
.LBB103_94:                             ;   in Loop: Header=BB103_21 Depth=1
	s_or_b32 exec_lo, exec_lo, s4
	s_and_saveexec_b32 s4, s11
	s_cbranch_execnz .LBB103_144
.LBB103_95:                             ;   in Loop: Header=BB103_21 Depth=1
	s_or_b32 exec_lo, exec_lo, s4
	s_and_saveexec_b32 s4, s12
	s_cbranch_execnz .LBB103_145
.LBB103_96:                             ;   in Loop: Header=BB103_21 Depth=1
	s_or_b32 exec_lo, exec_lo, s4
	s_and_saveexec_b32 s4, s13
	s_cbranch_execnz .LBB103_146
.LBB103_97:                             ;   in Loop: Header=BB103_21 Depth=1
	s_or_b32 exec_lo, exec_lo, s4
	s_and_saveexec_b32 s4, s14
	s_cbranch_execnz .LBB103_147
.LBB103_98:                             ;   in Loop: Header=BB103_21 Depth=1
	s_or_b32 exec_lo, exec_lo, s4
	s_and_saveexec_b32 s4, s9
	s_cbranch_execz .LBB103_20
	s_branch .LBB103_148
.LBB103_99:                             ;   in Loop: Header=BB103_21 Depth=1
	v_add_co_u32 v66, vcc_lo, v61, v13
	v_add_co_ci_u32_e64 v67, null, v62, v14, vcc_lo
	v_add_co_u32 v68, vcc_lo, v64, v63
	v_add_co_ci_u32_e64 v69, null, 0, v65, vcc_lo
	;; [unrolled: 2-line block ×3, first 2 shown]
	v_cndmask_b32_e64 v66, v66, v68, s0
	v_add_co_u32 v68, vcc_lo, v45, v0
	v_cndmask_b32_e64 v67, v67, v69, s0
	v_add_co_ci_u32_e64 v69, null, 0, v46, vcc_lo
	global_load_dwordx2 v[66:67], v[66:67], off
	v_lshlrev_b64 v[68:69], 3, v[68:69]
	v_add_co_u32 v70, vcc_lo, s34, v68
	v_add_co_ci_u32_e64 v71, null, s35, v69, vcc_lo
	v_add_co_u32 v68, vcc_lo, s28, v68
	v_add_co_ci_u32_e64 v69, null, s29, v69, vcc_lo
	global_store_dwordx2 v[70:71], v[29:30], off
	s_waitcnt vmcnt(0)
	global_store_dwordx2 v[68:69], v[66:67], off
	s_or_b32 exec_lo, exec_lo, s94
	s_and_saveexec_b32 s94, s41
	s_cbranch_execz .LBB103_39
.LBB103_100:                            ;   in Loop: Header=BB103_21 Depth=1
	v_add_co_u32 v66, vcc_lo, v64, v63
	v_add_co_ci_u32_e64 v67, null, 0, v65, vcc_lo
	v_add_co_u32 v68, vcc_lo, v61, v15
	v_add_co_ci_u32_e64 v69, null, v62, v16, vcc_lo
	v_cndmask_b32_e64 v66, v68, v66, s0
	v_add_co_u32 v68, vcc_lo, v45, v0
	v_cndmask_b32_e64 v67, v69, v67, s0
	v_add_co_ci_u32_e64 v69, null, 0, v46, vcc_lo
	global_load_dwordx2 v[66:67], v[66:67], off offset:256
	v_lshlrev_b64 v[68:69], 3, v[68:69]
	v_add_co_u32 v70, vcc_lo, s34, v68
	v_add_co_ci_u32_e64 v71, null, s35, v69, vcc_lo
	v_add_co_u32 v68, vcc_lo, s28, v68
	v_add_co_ci_u32_e64 v69, null, s29, v69, vcc_lo
	global_store_dwordx2 v[70:71], v[31:32], off offset:256
	s_waitcnt vmcnt(0)
	global_store_dwordx2 v[68:69], v[66:67], off offset:256
	s_or_b32 exec_lo, exec_lo, s94
	s_and_saveexec_b32 s94, s49
	s_cbranch_execz .LBB103_40
.LBB103_101:                            ;   in Loop: Header=BB103_21 Depth=1
	v_add_co_u32 v66, vcc_lo, v64, v63
	v_add_co_ci_u32_e64 v67, null, 0, v65, vcc_lo
	v_add_co_u32 v68, vcc_lo, v61, v17
	v_add_co_ci_u32_e64 v69, null, v62, v18, vcc_lo
	v_add_co_u32 v66, vcc_lo, 0x200, v66
	v_add_co_ci_u32_e64 v67, null, 0, v67, vcc_lo
	v_add_co_u32 v68, vcc_lo, 0x100, v68
	v_add_co_ci_u32_e64 v69, null, 0, v69, vcc_lo
	v_cndmask_b32_e64 v66, v68, v66, s0
	v_add_co_u32 v68, vcc_lo, v45, v0
	v_cndmask_b32_e64 v67, v69, v67, s0
	v_add_co_ci_u32_e64 v69, null, 0, v46, vcc_lo
	global_load_dwordx2 v[66:67], v[66:67], off
	v_lshlrev_b64 v[68:69], 3, v[68:69]
	v_add_co_u32 v70, vcc_lo, s34, v68
	v_add_co_ci_u32_e64 v71, null, s35, v69, vcc_lo
	v_add_co_u32 v68, vcc_lo, s28, v68
	v_add_co_ci_u32_e64 v69, null, s29, v69, vcc_lo
	global_store_dwordx2 v[70:71], v[33:34], off offset:512
	s_waitcnt vmcnt(0)
	global_store_dwordx2 v[68:69], v[66:67], off offset:512
	s_or_b32 exec_lo, exec_lo, s94
	s_and_saveexec_b32 s94, s50
	s_cbranch_execz .LBB103_41
.LBB103_102:                            ;   in Loop: Header=BB103_21 Depth=1
	v_add_co_u32 v66, vcc_lo, v64, v63
	v_add_co_ci_u32_e64 v67, null, 0, v65, vcc_lo
	v_add_co_u32 v68, vcc_lo, v61, v19
	v_add_co_ci_u32_e64 v69, null, v62, v20, vcc_lo
	;; [unrolled: 2-line block ×4, first 2 shown]
	v_cndmask_b32_e64 v66, v68, v66, s0
	v_add_co_u32 v68, vcc_lo, v45, v0
	v_cndmask_b32_e64 v67, v69, v67, s0
	v_add_co_ci_u32_e64 v69, null, 0, v46, vcc_lo
	global_load_dwordx2 v[66:67], v[66:67], off
	v_lshlrev_b64 v[68:69], 3, v[68:69]
	v_add_co_u32 v70, vcc_lo, s34, v68
	v_add_co_ci_u32_e64 v71, null, s35, v69, vcc_lo
	v_add_co_u32 v68, vcc_lo, s28, v68
	v_add_co_ci_u32_e64 v69, null, s29, v69, vcc_lo
	global_store_dwordx2 v[70:71], v[35:36], off offset:768
	s_waitcnt vmcnt(0)
	global_store_dwordx2 v[68:69], v[66:67], off offset:768
	s_or_b32 exec_lo, exec_lo, s94
	s_and_saveexec_b32 s94, s51
	s_cbranch_execz .LBB103_42
.LBB103_103:                            ;   in Loop: Header=BB103_21 Depth=1
	v_add_co_u32 v66, vcc_lo, v64, v63
	v_add_co_ci_u32_e64 v67, null, 0, v65, vcc_lo
	v_add_co_u32 v68, vcc_lo, v61, v21
	v_add_co_ci_u32_e64 v69, null, v62, v22, vcc_lo
	;; [unrolled: 2-line block ×4, first 2 shown]
	v_cndmask_b32_e64 v66, v68, v66, s0
	v_add_co_u32 v68, vcc_lo, v45, v0
	v_cndmask_b32_e64 v67, v69, v67, s0
	v_add_co_ci_u32_e64 v69, null, 0, v46, vcc_lo
	global_load_dwordx2 v[66:67], v[66:67], off
	v_lshlrev_b64 v[68:69], 3, v[68:69]
	v_add_co_u32 v70, vcc_lo, s34, v68
	v_add_co_ci_u32_e64 v71, null, s35, v69, vcc_lo
	v_add_co_u32 v68, vcc_lo, s28, v68
	v_add_co_ci_u32_e64 v69, null, s29, v69, vcc_lo
	global_store_dwordx2 v[70:71], v[37:38], off offset:1024
	s_waitcnt vmcnt(0)
	global_store_dwordx2 v[68:69], v[66:67], off offset:1024
	s_or_b32 exec_lo, exec_lo, s94
	s_and_saveexec_b32 s94, s52
	s_cbranch_execz .LBB103_43
.LBB103_104:                            ;   in Loop: Header=BB103_21 Depth=1
	v_add_co_u32 v66, vcc_lo, v64, v63
	v_add_co_ci_u32_e64 v67, null, 0, v65, vcc_lo
	v_add_co_u32 v68, vcc_lo, v61, v23
	v_add_co_ci_u32_e64 v69, null, v62, v24, vcc_lo
	;; [unrolled: 2-line block ×4, first 2 shown]
	v_cndmask_b32_e64 v66, v68, v66, s0
	v_add_co_u32 v68, vcc_lo, v45, v0
	v_cndmask_b32_e64 v67, v69, v67, s0
	v_add_co_ci_u32_e64 v69, null, 0, v46, vcc_lo
	global_load_dwordx2 v[66:67], v[66:67], off
	v_lshlrev_b64 v[68:69], 3, v[68:69]
	v_add_co_u32 v70, vcc_lo, s34, v68
	v_add_co_ci_u32_e64 v71, null, s35, v69, vcc_lo
	v_add_co_u32 v68, vcc_lo, s28, v68
	v_add_co_ci_u32_e64 v69, null, s29, v69, vcc_lo
	global_store_dwordx2 v[70:71], v[39:40], off offset:1280
	s_waitcnt vmcnt(0)
	global_store_dwordx2 v[68:69], v[66:67], off offset:1280
	s_or_b32 exec_lo, exec_lo, s94
	s_and_saveexec_b32 s94, s53
	s_cbranch_execz .LBB103_44
.LBB103_105:                            ;   in Loop: Header=BB103_21 Depth=1
	v_add_co_u32 v66, vcc_lo, v64, v63
	v_add_co_ci_u32_e64 v67, null, 0, v65, vcc_lo
	v_add_co_u32 v68, vcc_lo, v61, v25
	v_add_co_ci_u32_e64 v69, null, v62, v26, vcc_lo
	;; [unrolled: 2-line block ×4, first 2 shown]
	v_cndmask_b32_e64 v66, v68, v66, s0
	v_add_co_u32 v68, vcc_lo, v45, v0
	v_cndmask_b32_e64 v67, v69, v67, s0
	v_add_co_ci_u32_e64 v69, null, 0, v46, vcc_lo
	global_load_dwordx2 v[66:67], v[66:67], off
	v_lshlrev_b64 v[68:69], 3, v[68:69]
	v_add_co_u32 v70, vcc_lo, s34, v68
	v_add_co_ci_u32_e64 v71, null, s35, v69, vcc_lo
	v_add_co_u32 v68, vcc_lo, s28, v68
	v_add_co_ci_u32_e64 v69, null, s29, v69, vcc_lo
	global_store_dwordx2 v[70:71], v[41:42], off offset:1536
	s_waitcnt vmcnt(0)
	global_store_dwordx2 v[68:69], v[66:67], off offset:1536
	s_or_b32 exec_lo, exec_lo, s94
	s_and_saveexec_b32 s94, s54
	s_cbranch_execnz .LBB103_45
	s_branch .LBB103_46
.LBB103_106:                            ;   in Loop: Header=BB103_21 Depth=1
	v_add_co_u32 v66, vcc_lo, v61, v13
	v_add_co_ci_u32_e64 v67, null, v62, v14, vcc_lo
	v_add_co_u32 v68, vcc_lo, v64, v63
	v_add_co_ci_u32_e64 v69, null, 0, v65, vcc_lo
	;; [unrolled: 2-line block ×3, first 2 shown]
	v_cndmask_b32_e64 v66, v66, v68, s0
	v_add_co_u32 v68, vcc_lo, v45, v0
	v_cndmask_b32_e64 v67, v67, v69, s0
	v_add_co_ci_u32_e64 v69, null, 0, v46, vcc_lo
	global_load_dwordx2 v[66:67], v[66:67], off
	v_lshlrev_b64 v[68:69], 3, v[68:69]
	v_add_co_u32 v70, vcc_lo, s34, v68
	v_add_co_ci_u32_e64 v71, null, s35, v69, vcc_lo
	v_add_co_u32 v68, vcc_lo, s28, v68
	v_add_co_ci_u32_e64 v69, null, s29, v69, vcc_lo
	global_store_dwordx2 v[70:71], v[29:30], off
	s_waitcnt vmcnt(0)
	global_store_dwordx2 v[68:69], v[66:67], off
	s_or_b32 exec_lo, exec_lo, s94
	s_and_saveexec_b32 s94, s56
	s_cbranch_execz .LBB103_48
.LBB103_107:                            ;   in Loop: Header=BB103_21 Depth=1
	v_add_co_u32 v66, vcc_lo, v64, v63
	v_add_co_ci_u32_e64 v67, null, 0, v65, vcc_lo
	v_add_co_u32 v68, vcc_lo, v61, v15
	v_add_co_ci_u32_e64 v69, null, v62, v16, vcc_lo
	;; [unrolled: 2-line block ×4, first 2 shown]
	v_cndmask_b32_e64 v66, v68, v66, s0
	v_add_co_u32 v68, vcc_lo, v45, v0
	v_cndmask_b32_e64 v67, v69, v67, s0
	v_add_co_ci_u32_e64 v69, null, 0, v46, vcc_lo
	global_load_dwordx2 v[66:67], v[66:67], off
	v_lshlrev_b64 v[68:69], 3, v[68:69]
	v_add_co_u32 v70, vcc_lo, s34, v68
	v_add_co_ci_u32_e64 v71, null, s35, v69, vcc_lo
	v_add_co_u32 v68, vcc_lo, s28, v68
	v_add_co_ci_u32_e64 v69, null, s29, v69, vcc_lo
	global_store_dwordx2 v[70:71], v[31:32], off offset:256
	s_waitcnt vmcnt(0)
	global_store_dwordx2 v[68:69], v[66:67], off offset:256
	s_or_b32 exec_lo, exec_lo, s94
	s_and_saveexec_b32 s94, s57
	s_cbranch_execz .LBB103_49
.LBB103_108:                            ;   in Loop: Header=BB103_21 Depth=1
	v_add_co_u32 v66, vcc_lo, v64, v63
	v_add_co_ci_u32_e64 v67, null, 0, v65, vcc_lo
	v_add_co_u32 v68, vcc_lo, v61, v17
	v_add_co_ci_u32_e64 v69, null, v62, v18, vcc_lo
	v_cndmask_b32_e64 v66, v68, v66, s0
	v_add_co_u32 v68, vcc_lo, v45, v0
	v_cndmask_b32_e64 v67, v69, v67, s0
	v_add_co_ci_u32_e64 v69, null, 0, v46, vcc_lo
	global_load_dwordx2 v[66:67], v[66:67], off offset:512
	v_lshlrev_b64 v[68:69], 3, v[68:69]
	v_add_co_u32 v70, vcc_lo, s34, v68
	v_add_co_ci_u32_e64 v71, null, s35, v69, vcc_lo
	v_add_co_u32 v68, vcc_lo, s28, v68
	v_add_co_ci_u32_e64 v69, null, s29, v69, vcc_lo
	global_store_dwordx2 v[70:71], v[33:34], off offset:512
	s_waitcnt vmcnt(0)
	global_store_dwordx2 v[68:69], v[66:67], off offset:512
	s_or_b32 exec_lo, exec_lo, s94
	s_and_saveexec_b32 s94, s58
	s_cbranch_execz .LBB103_50
.LBB103_109:                            ;   in Loop: Header=BB103_21 Depth=1
	v_add_co_u32 v66, vcc_lo, v64, v63
	v_add_co_ci_u32_e64 v67, null, 0, v65, vcc_lo
	v_add_co_u32 v68, vcc_lo, v61, v19
	v_add_co_ci_u32_e64 v69, null, v62, v20, vcc_lo
	;; [unrolled: 2-line block ×4, first 2 shown]
	v_cndmask_b32_e64 v66, v68, v66, s0
	v_add_co_u32 v68, vcc_lo, v45, v0
	v_cndmask_b32_e64 v67, v69, v67, s0
	v_add_co_ci_u32_e64 v69, null, 0, v46, vcc_lo
	global_load_dwordx2 v[66:67], v[66:67], off
	v_lshlrev_b64 v[68:69], 3, v[68:69]
	v_add_co_u32 v70, vcc_lo, s34, v68
	v_add_co_ci_u32_e64 v71, null, s35, v69, vcc_lo
	v_add_co_u32 v68, vcc_lo, s28, v68
	v_add_co_ci_u32_e64 v69, null, s29, v69, vcc_lo
	global_store_dwordx2 v[70:71], v[35:36], off offset:768
	s_waitcnt vmcnt(0)
	global_store_dwordx2 v[68:69], v[66:67], off offset:768
	s_or_b32 exec_lo, exec_lo, s94
	s_and_saveexec_b32 s94, s59
	s_cbranch_execz .LBB103_51
.LBB103_110:                            ;   in Loop: Header=BB103_21 Depth=1
	v_add_co_u32 v66, vcc_lo, v64, v63
	v_add_co_ci_u32_e64 v67, null, 0, v65, vcc_lo
	v_add_co_u32 v68, vcc_lo, v61, v21
	v_add_co_ci_u32_e64 v69, null, v62, v22, vcc_lo
	v_add_co_u32 v66, vcc_lo, 0x400, v66
	v_add_co_ci_u32_e64 v67, null, 0, v67, vcc_lo
	v_add_co_u32 v68, vcc_lo, 0x200, v68
	v_add_co_ci_u32_e64 v69, null, 0, v69, vcc_lo
	v_cndmask_b32_e64 v66, v68, v66, s0
	v_add_co_u32 v68, vcc_lo, v45, v0
	v_cndmask_b32_e64 v67, v69, v67, s0
	v_add_co_ci_u32_e64 v69, null, 0, v46, vcc_lo
	global_load_dwordx2 v[66:67], v[66:67], off
	v_lshlrev_b64 v[68:69], 3, v[68:69]
	v_add_co_u32 v70, vcc_lo, s34, v68
	v_add_co_ci_u32_e64 v71, null, s35, v69, vcc_lo
	v_add_co_u32 v68, vcc_lo, s28, v68
	v_add_co_ci_u32_e64 v69, null, s29, v69, vcc_lo
	global_store_dwordx2 v[70:71], v[37:38], off offset:1024
	s_waitcnt vmcnt(0)
	global_store_dwordx2 v[68:69], v[66:67], off offset:1024
	s_or_b32 exec_lo, exec_lo, s94
	s_and_saveexec_b32 s94, s60
	s_cbranch_execz .LBB103_52
.LBB103_111:                            ;   in Loop: Header=BB103_21 Depth=1
	v_add_co_u32 v66, vcc_lo, v64, v63
	v_add_co_ci_u32_e64 v67, null, 0, v65, vcc_lo
	v_add_co_u32 v68, vcc_lo, v61, v23
	v_add_co_ci_u32_e64 v69, null, v62, v24, vcc_lo
	;; [unrolled: 2-line block ×4, first 2 shown]
	v_cndmask_b32_e64 v66, v68, v66, s0
	v_add_co_u32 v68, vcc_lo, v45, v0
	v_cndmask_b32_e64 v67, v69, v67, s0
	v_add_co_ci_u32_e64 v69, null, 0, v46, vcc_lo
	global_load_dwordx2 v[66:67], v[66:67], off
	v_lshlrev_b64 v[68:69], 3, v[68:69]
	v_add_co_u32 v70, vcc_lo, s34, v68
	v_add_co_ci_u32_e64 v71, null, s35, v69, vcc_lo
	v_add_co_u32 v68, vcc_lo, s28, v68
	v_add_co_ci_u32_e64 v69, null, s29, v69, vcc_lo
	global_store_dwordx2 v[70:71], v[39:40], off offset:1280
	s_waitcnt vmcnt(0)
	global_store_dwordx2 v[68:69], v[66:67], off offset:1280
	s_or_b32 exec_lo, exec_lo, s94
	s_and_saveexec_b32 s94, s61
	s_cbranch_execz .LBB103_53
.LBB103_112:                            ;   in Loop: Header=BB103_21 Depth=1
	v_add_co_u32 v66, vcc_lo, v64, v63
	v_add_co_ci_u32_e64 v67, null, 0, v65, vcc_lo
	v_add_co_u32 v68, vcc_lo, v61, v25
	v_add_co_ci_u32_e64 v69, null, v62, v26, vcc_lo
	;; [unrolled: 2-line block ×4, first 2 shown]
	v_cndmask_b32_e64 v66, v68, v66, s0
	v_add_co_u32 v68, vcc_lo, v45, v0
	v_cndmask_b32_e64 v67, v69, v67, s0
	v_add_co_ci_u32_e64 v69, null, 0, v46, vcc_lo
	global_load_dwordx2 v[66:67], v[66:67], off
	v_lshlrev_b64 v[68:69], 3, v[68:69]
	v_add_co_u32 v70, vcc_lo, s34, v68
	v_add_co_ci_u32_e64 v71, null, s35, v69, vcc_lo
	v_add_co_u32 v68, vcc_lo, s28, v68
	v_add_co_ci_u32_e64 v69, null, s29, v69, vcc_lo
	global_store_dwordx2 v[70:71], v[41:42], off offset:1536
	s_waitcnt vmcnt(0)
	global_store_dwordx2 v[68:69], v[66:67], off offset:1536
	s_or_b32 exec_lo, exec_lo, s94
	s_and_saveexec_b32 s94, s62
	s_cbranch_execnz .LBB103_54
	s_branch .LBB103_55
.LBB103_113:                            ;   in Loop: Header=BB103_21 Depth=1
	v_add_co_u32 v66, vcc_lo, v61, v13
	v_add_co_ci_u32_e64 v67, null, v62, v14, vcc_lo
	v_add_co_u32 v68, vcc_lo, v64, v63
	v_add_co_ci_u32_e64 v69, null, 0, v65, vcc_lo
	;; [unrolled: 2-line block ×3, first 2 shown]
	v_cndmask_b32_e64 v66, v66, v68, s0
	v_add_co_u32 v68, vcc_lo, v45, v0
	v_cndmask_b32_e64 v67, v67, v69, s0
	v_add_co_ci_u32_e64 v69, null, 0, v46, vcc_lo
	global_load_dwordx2 v[66:67], v[66:67], off
	v_lshlrev_b64 v[68:69], 3, v[68:69]
	v_add_co_u32 v70, vcc_lo, s34, v68
	v_add_co_ci_u32_e64 v71, null, s35, v69, vcc_lo
	v_add_co_u32 v68, vcc_lo, s28, v68
	v_add_co_ci_u32_e64 v69, null, s29, v69, vcc_lo
	global_store_dwordx2 v[70:71], v[29:30], off
	s_waitcnt vmcnt(0)
	global_store_dwordx2 v[68:69], v[66:67], off
	s_or_b32 exec_lo, exec_lo, s94
	s_and_saveexec_b32 s94, s64
	s_cbranch_execz .LBB103_57
.LBB103_114:                            ;   in Loop: Header=BB103_21 Depth=1
	v_add_co_u32 v66, vcc_lo, v64, v63
	v_add_co_ci_u32_e64 v67, null, 0, v65, vcc_lo
	v_add_co_u32 v68, vcc_lo, v61, v15
	v_add_co_ci_u32_e64 v69, null, v62, v16, vcc_lo
	;; [unrolled: 2-line block ×4, first 2 shown]
	v_cndmask_b32_e64 v66, v68, v66, s0
	v_add_co_u32 v68, vcc_lo, v45, v0
	v_cndmask_b32_e64 v67, v69, v67, s0
	v_add_co_ci_u32_e64 v69, null, 0, v46, vcc_lo
	global_load_dwordx2 v[66:67], v[66:67], off
	v_lshlrev_b64 v[68:69], 3, v[68:69]
	v_add_co_u32 v70, vcc_lo, s34, v68
	v_add_co_ci_u32_e64 v71, null, s35, v69, vcc_lo
	v_add_co_u32 v68, vcc_lo, s28, v68
	v_add_co_ci_u32_e64 v69, null, s29, v69, vcc_lo
	global_store_dwordx2 v[70:71], v[31:32], off offset:256
	s_waitcnt vmcnt(0)
	global_store_dwordx2 v[68:69], v[66:67], off offset:256
	s_or_b32 exec_lo, exec_lo, s94
	s_and_saveexec_b32 s94, s65
	s_cbranch_execz .LBB103_58
.LBB103_115:                            ;   in Loop: Header=BB103_21 Depth=1
	v_add_co_u32 v66, vcc_lo, v64, v63
	v_add_co_ci_u32_e64 v67, null, 0, v65, vcc_lo
	v_add_co_u32 v68, vcc_lo, v61, v17
	v_add_co_ci_u32_e64 v69, null, v62, v18, vcc_lo
	v_add_co_u32 v66, vcc_lo, 0x200, v66
	v_add_co_ci_u32_e64 v67, null, 0, v67, vcc_lo
	v_add_co_u32 v68, vcc_lo, 0x300, v68
	v_add_co_ci_u32_e64 v69, null, 0, v69, vcc_lo
	v_cndmask_b32_e64 v66, v68, v66, s0
	v_add_co_u32 v68, vcc_lo, v45, v0
	v_cndmask_b32_e64 v67, v69, v67, s0
	v_add_co_ci_u32_e64 v69, null, 0, v46, vcc_lo
	global_load_dwordx2 v[66:67], v[66:67], off
	v_lshlrev_b64 v[68:69], 3, v[68:69]
	v_add_co_u32 v70, vcc_lo, s34, v68
	v_add_co_ci_u32_e64 v71, null, s35, v69, vcc_lo
	v_add_co_u32 v68, vcc_lo, s28, v68
	v_add_co_ci_u32_e64 v69, null, s29, v69, vcc_lo
	global_store_dwordx2 v[70:71], v[33:34], off offset:512
	s_waitcnt vmcnt(0)
	global_store_dwordx2 v[68:69], v[66:67], off offset:512
	s_or_b32 exec_lo, exec_lo, s94
	s_and_saveexec_b32 s94, s66
	s_cbranch_execz .LBB103_59
.LBB103_116:                            ;   in Loop: Header=BB103_21 Depth=1
	v_add_co_u32 v66, vcc_lo, v64, v63
	v_add_co_ci_u32_e64 v67, null, 0, v65, vcc_lo
	v_add_co_u32 v68, vcc_lo, v61, v19
	v_add_co_ci_u32_e64 v69, null, v62, v20, vcc_lo
	v_cndmask_b32_e64 v66, v68, v66, s0
	v_add_co_u32 v68, vcc_lo, v45, v0
	v_cndmask_b32_e64 v67, v69, v67, s0
	v_add_co_ci_u32_e64 v69, null, 0, v46, vcc_lo
	global_load_dwordx2 v[66:67], v[66:67], off offset:768
	v_lshlrev_b64 v[68:69], 3, v[68:69]
	v_add_co_u32 v70, vcc_lo, s34, v68
	v_add_co_ci_u32_e64 v71, null, s35, v69, vcc_lo
	v_add_co_u32 v68, vcc_lo, s28, v68
	v_add_co_ci_u32_e64 v69, null, s29, v69, vcc_lo
	global_store_dwordx2 v[70:71], v[35:36], off offset:768
	s_waitcnt vmcnt(0)
	global_store_dwordx2 v[68:69], v[66:67], off offset:768
	s_or_b32 exec_lo, exec_lo, s94
	s_and_saveexec_b32 s94, s67
	s_cbranch_execz .LBB103_60
.LBB103_117:                            ;   in Loop: Header=BB103_21 Depth=1
	v_add_co_u32 v66, vcc_lo, v64, v63
	v_add_co_ci_u32_e64 v67, null, 0, v65, vcc_lo
	v_add_co_u32 v68, vcc_lo, v61, v21
	v_add_co_ci_u32_e64 v69, null, v62, v22, vcc_lo
	;; [unrolled: 2-line block ×4, first 2 shown]
	v_cndmask_b32_e64 v66, v68, v66, s0
	v_add_co_u32 v68, vcc_lo, v45, v0
	v_cndmask_b32_e64 v67, v69, v67, s0
	v_add_co_ci_u32_e64 v69, null, 0, v46, vcc_lo
	global_load_dwordx2 v[66:67], v[66:67], off
	v_lshlrev_b64 v[68:69], 3, v[68:69]
	v_add_co_u32 v70, vcc_lo, s34, v68
	v_add_co_ci_u32_e64 v71, null, s35, v69, vcc_lo
	v_add_co_u32 v68, vcc_lo, s28, v68
	v_add_co_ci_u32_e64 v69, null, s29, v69, vcc_lo
	global_store_dwordx2 v[70:71], v[37:38], off offset:1024
	s_waitcnt vmcnt(0)
	global_store_dwordx2 v[68:69], v[66:67], off offset:1024
	s_or_b32 exec_lo, exec_lo, s94
	s_and_saveexec_b32 s94, s68
	s_cbranch_execz .LBB103_61
.LBB103_118:                            ;   in Loop: Header=BB103_21 Depth=1
	v_add_co_u32 v66, vcc_lo, v64, v63
	v_add_co_ci_u32_e64 v67, null, 0, v65, vcc_lo
	v_add_co_u32 v68, vcc_lo, v61, v23
	v_add_co_ci_u32_e64 v69, null, v62, v24, vcc_lo
	;; [unrolled: 2-line block ×4, first 2 shown]
	v_cndmask_b32_e64 v66, v68, v66, s0
	v_add_co_u32 v68, vcc_lo, v45, v0
	v_cndmask_b32_e64 v67, v69, v67, s0
	v_add_co_ci_u32_e64 v69, null, 0, v46, vcc_lo
	global_load_dwordx2 v[66:67], v[66:67], off
	v_lshlrev_b64 v[68:69], 3, v[68:69]
	v_add_co_u32 v70, vcc_lo, s34, v68
	v_add_co_ci_u32_e64 v71, null, s35, v69, vcc_lo
	v_add_co_u32 v68, vcc_lo, s28, v68
	v_add_co_ci_u32_e64 v69, null, s29, v69, vcc_lo
	global_store_dwordx2 v[70:71], v[39:40], off offset:1280
	s_waitcnt vmcnt(0)
	global_store_dwordx2 v[68:69], v[66:67], off offset:1280
	s_or_b32 exec_lo, exec_lo, s94
	s_and_saveexec_b32 s94, s69
	s_cbranch_execz .LBB103_62
.LBB103_119:                            ;   in Loop: Header=BB103_21 Depth=1
	v_add_co_u32 v66, vcc_lo, v64, v63
	v_add_co_ci_u32_e64 v67, null, 0, v65, vcc_lo
	v_add_co_u32 v68, vcc_lo, v61, v25
	v_add_co_ci_u32_e64 v69, null, v62, v26, vcc_lo
	v_add_co_u32 v66, vcc_lo, 0x600, v66
	v_add_co_ci_u32_e64 v67, null, 0, v67, vcc_lo
	v_add_co_u32 v68, vcc_lo, 0x300, v68
	v_add_co_ci_u32_e64 v69, null, 0, v69, vcc_lo
	v_cndmask_b32_e64 v66, v68, v66, s0
	v_add_co_u32 v68, vcc_lo, v45, v0
	v_cndmask_b32_e64 v67, v69, v67, s0
	v_add_co_ci_u32_e64 v69, null, 0, v46, vcc_lo
	global_load_dwordx2 v[66:67], v[66:67], off
	v_lshlrev_b64 v[68:69], 3, v[68:69]
	v_add_co_u32 v70, vcc_lo, s34, v68
	v_add_co_ci_u32_e64 v71, null, s35, v69, vcc_lo
	v_add_co_u32 v68, vcc_lo, s28, v68
	v_add_co_ci_u32_e64 v69, null, s29, v69, vcc_lo
	global_store_dwordx2 v[70:71], v[41:42], off offset:1536
	s_waitcnt vmcnt(0)
	global_store_dwordx2 v[68:69], v[66:67], off offset:1536
	s_or_b32 exec_lo, exec_lo, s94
	s_and_saveexec_b32 s94, s6
	s_cbranch_execnz .LBB103_63
	s_branch .LBB103_64
.LBB103_120:                            ;   in Loop: Header=BB103_21 Depth=1
	v_add_co_u32 v66, vcc_lo, v61, v13
	v_add_co_ci_u32_e64 v67, null, v62, v14, vcc_lo
	v_add_co_u32 v68, vcc_lo, v64, v63
	v_add_co_ci_u32_e64 v69, null, 0, v65, vcc_lo
	;; [unrolled: 2-line block ×3, first 2 shown]
	v_cndmask_b32_e64 v66, v66, v68, s0
	v_add_co_u32 v68, vcc_lo, v45, v0
	v_cndmask_b32_e64 v67, v67, v69, s0
	v_add_co_ci_u32_e64 v69, null, 0, v46, vcc_lo
	global_load_dwordx2 v[66:67], v[66:67], off
	v_lshlrev_b64 v[68:69], 3, v[68:69]
	v_add_co_u32 v70, vcc_lo, s34, v68
	v_add_co_ci_u32_e64 v71, null, s35, v69, vcc_lo
	v_add_co_u32 v68, vcc_lo, s28, v68
	v_add_co_ci_u32_e64 v69, null, s29, v69, vcc_lo
	global_store_dwordx2 v[70:71], v[29:30], off
	s_waitcnt vmcnt(0)
	global_store_dwordx2 v[68:69], v[66:67], off
	s_or_b32 exec_lo, exec_lo, s94
	s_and_saveexec_b32 s94, s71
	s_cbranch_execz .LBB103_66
.LBB103_121:                            ;   in Loop: Header=BB103_21 Depth=1
	v_add_co_u32 v66, vcc_lo, v64, v63
	v_add_co_ci_u32_e64 v67, null, 0, v65, vcc_lo
	v_add_co_u32 v68, vcc_lo, v61, v15
	v_add_co_ci_u32_e64 v69, null, v62, v16, vcc_lo
	;; [unrolled: 2-line block ×4, first 2 shown]
	v_cndmask_b32_e64 v66, v68, v66, s0
	v_add_co_u32 v68, vcc_lo, v45, v0
	v_cndmask_b32_e64 v67, v69, v67, s0
	v_add_co_ci_u32_e64 v69, null, 0, v46, vcc_lo
	global_load_dwordx2 v[66:67], v[66:67], off
	v_lshlrev_b64 v[68:69], 3, v[68:69]
	v_add_co_u32 v70, vcc_lo, s34, v68
	v_add_co_ci_u32_e64 v71, null, s35, v69, vcc_lo
	v_add_co_u32 v68, vcc_lo, s28, v68
	v_add_co_ci_u32_e64 v69, null, s29, v69, vcc_lo
	global_store_dwordx2 v[70:71], v[31:32], off offset:256
	s_waitcnt vmcnt(0)
	global_store_dwordx2 v[68:69], v[66:67], off offset:256
	s_or_b32 exec_lo, exec_lo, s94
	s_and_saveexec_b32 s94, s72
	s_cbranch_execz .LBB103_67
.LBB103_122:                            ;   in Loop: Header=BB103_21 Depth=1
	v_add_co_u32 v66, vcc_lo, v64, v63
	v_add_co_ci_u32_e64 v67, null, 0, v65, vcc_lo
	v_add_co_u32 v68, vcc_lo, v61, v17
	v_add_co_ci_u32_e64 v69, null, v62, v18, vcc_lo
	;; [unrolled: 2-line block ×4, first 2 shown]
	v_cndmask_b32_e64 v66, v68, v66, s0
	v_add_co_u32 v68, vcc_lo, v45, v0
	v_cndmask_b32_e64 v67, v69, v67, s0
	v_add_co_ci_u32_e64 v69, null, 0, v46, vcc_lo
	global_load_dwordx2 v[66:67], v[66:67], off
	v_lshlrev_b64 v[68:69], 3, v[68:69]
	v_add_co_u32 v70, vcc_lo, s34, v68
	v_add_co_ci_u32_e64 v71, null, s35, v69, vcc_lo
	v_add_co_u32 v68, vcc_lo, s28, v68
	v_add_co_ci_u32_e64 v69, null, s29, v69, vcc_lo
	global_store_dwordx2 v[70:71], v[33:34], off offset:512
	s_waitcnt vmcnt(0)
	global_store_dwordx2 v[68:69], v[66:67], off offset:512
	s_or_b32 exec_lo, exec_lo, s94
	s_and_saveexec_b32 s94, s73
	s_cbranch_execz .LBB103_68
.LBB103_123:                            ;   in Loop: Header=BB103_21 Depth=1
	v_add_co_u32 v66, vcc_lo, v64, v63
	v_add_co_ci_u32_e64 v67, null, 0, v65, vcc_lo
	v_add_co_u32 v68, vcc_lo, v61, v19
	v_add_co_ci_u32_e64 v69, null, v62, v20, vcc_lo
	v_add_co_u32 v66, vcc_lo, 0x300, v66
	v_add_co_ci_u32_e64 v67, null, 0, v67, vcc_lo
	v_add_co_u32 v68, vcc_lo, 0x400, v68
	v_add_co_ci_u32_e64 v69, null, 0, v69, vcc_lo
	v_cndmask_b32_e64 v66, v68, v66, s0
	v_add_co_u32 v68, vcc_lo, v45, v0
	v_cndmask_b32_e64 v67, v69, v67, s0
	v_add_co_ci_u32_e64 v69, null, 0, v46, vcc_lo
	global_load_dwordx2 v[66:67], v[66:67], off
	v_lshlrev_b64 v[68:69], 3, v[68:69]
	v_add_co_u32 v70, vcc_lo, s34, v68
	v_add_co_ci_u32_e64 v71, null, s35, v69, vcc_lo
	v_add_co_u32 v68, vcc_lo, s28, v68
	v_add_co_ci_u32_e64 v69, null, s29, v69, vcc_lo
	global_store_dwordx2 v[70:71], v[35:36], off offset:768
	s_waitcnt vmcnt(0)
	global_store_dwordx2 v[68:69], v[66:67], off offset:768
	s_or_b32 exec_lo, exec_lo, s94
	s_and_saveexec_b32 s94, s74
	s_cbranch_execz .LBB103_69
.LBB103_124:                            ;   in Loop: Header=BB103_21 Depth=1
	v_add_co_u32 v66, vcc_lo, v64, v63
	v_add_co_ci_u32_e64 v67, null, 0, v65, vcc_lo
	v_add_co_u32 v68, vcc_lo, v61, v21
	v_add_co_ci_u32_e64 v69, null, v62, v22, vcc_lo
	v_cndmask_b32_e64 v66, v68, v66, s0
	v_add_co_u32 v68, vcc_lo, v45, v0
	v_cndmask_b32_e64 v67, v69, v67, s0
	v_add_co_ci_u32_e64 v69, null, 0, v46, vcc_lo
	global_load_dwordx2 v[66:67], v[66:67], off offset:1024
	v_lshlrev_b64 v[68:69], 3, v[68:69]
	v_add_co_u32 v70, vcc_lo, s34, v68
	v_add_co_ci_u32_e64 v71, null, s35, v69, vcc_lo
	v_add_co_u32 v68, vcc_lo, s28, v68
	v_add_co_ci_u32_e64 v69, null, s29, v69, vcc_lo
	global_store_dwordx2 v[70:71], v[37:38], off offset:1024
	s_waitcnt vmcnt(0)
	global_store_dwordx2 v[68:69], v[66:67], off offset:1024
	s_or_b32 exec_lo, exec_lo, s94
	s_and_saveexec_b32 s94, s75
	s_cbranch_execz .LBB103_70
.LBB103_125:                            ;   in Loop: Header=BB103_21 Depth=1
	v_add_co_u32 v66, vcc_lo, v64, v63
	v_add_co_ci_u32_e64 v67, null, 0, v65, vcc_lo
	v_add_co_u32 v68, vcc_lo, v61, v23
	v_add_co_ci_u32_e64 v69, null, v62, v24, vcc_lo
	;; [unrolled: 2-line block ×4, first 2 shown]
	v_cndmask_b32_e64 v66, v68, v66, s0
	v_add_co_u32 v68, vcc_lo, v45, v0
	v_cndmask_b32_e64 v67, v69, v67, s0
	v_add_co_ci_u32_e64 v69, null, 0, v46, vcc_lo
	global_load_dwordx2 v[66:67], v[66:67], off
	v_lshlrev_b64 v[68:69], 3, v[68:69]
	v_add_co_u32 v70, vcc_lo, s34, v68
	v_add_co_ci_u32_e64 v71, null, s35, v69, vcc_lo
	v_add_co_u32 v68, vcc_lo, s28, v68
	v_add_co_ci_u32_e64 v69, null, s29, v69, vcc_lo
	global_store_dwordx2 v[70:71], v[39:40], off offset:1280
	s_waitcnt vmcnt(0)
	global_store_dwordx2 v[68:69], v[66:67], off offset:1280
	s_or_b32 exec_lo, exec_lo, s94
	s_and_saveexec_b32 s94, s76
	s_cbranch_execz .LBB103_71
.LBB103_126:                            ;   in Loop: Header=BB103_21 Depth=1
	v_add_co_u32 v66, vcc_lo, v64, v63
	v_add_co_ci_u32_e64 v67, null, 0, v65, vcc_lo
	v_add_co_u32 v68, vcc_lo, v61, v25
	v_add_co_ci_u32_e64 v69, null, v62, v26, vcc_lo
	;; [unrolled: 2-line block ×4, first 2 shown]
	v_cndmask_b32_e64 v66, v68, v66, s0
	v_add_co_u32 v68, vcc_lo, v45, v0
	v_cndmask_b32_e64 v67, v69, v67, s0
	v_add_co_ci_u32_e64 v69, null, 0, v46, vcc_lo
	global_load_dwordx2 v[66:67], v[66:67], off
	v_lshlrev_b64 v[68:69], 3, v[68:69]
	v_add_co_u32 v70, vcc_lo, s34, v68
	v_add_co_ci_u32_e64 v71, null, s35, v69, vcc_lo
	v_add_co_u32 v68, vcc_lo, s28, v68
	v_add_co_ci_u32_e64 v69, null, s29, v69, vcc_lo
	global_store_dwordx2 v[70:71], v[41:42], off offset:1536
	s_waitcnt vmcnt(0)
	global_store_dwordx2 v[68:69], v[66:67], off offset:1536
	s_or_b32 exec_lo, exec_lo, s94
	s_and_saveexec_b32 s94, s7
	s_cbranch_execnz .LBB103_72
	s_branch .LBB103_73
.LBB103_127:                            ;   in Loop: Header=BB103_21 Depth=1
	v_add_co_u32 v66, vcc_lo, v61, v13
	v_add_co_ci_u32_e64 v67, null, v62, v14, vcc_lo
	v_add_co_u32 v68, vcc_lo, v64, v63
	v_add_co_ci_u32_e64 v69, null, 0, v65, vcc_lo
	;; [unrolled: 2-line block ×3, first 2 shown]
	v_cndmask_b32_e64 v66, v66, v68, s0
	v_add_co_u32 v68, vcc_lo, v45, v0
	v_cndmask_b32_e64 v67, v67, v69, s0
	v_add_co_ci_u32_e64 v69, null, 0, v46, vcc_lo
	global_load_dwordx2 v[66:67], v[66:67], off
	v_lshlrev_b64 v[68:69], 3, v[68:69]
	v_add_co_u32 v70, vcc_lo, s34, v68
	v_add_co_ci_u32_e64 v71, null, s35, v69, vcc_lo
	v_add_co_u32 v68, vcc_lo, s28, v68
	v_add_co_ci_u32_e64 v69, null, s29, v69, vcc_lo
	global_store_dwordx2 v[70:71], v[29:30], off
	s_waitcnt vmcnt(0)
	global_store_dwordx2 v[68:69], v[66:67], off
	s_or_b32 exec_lo, exec_lo, s94
	s_and_saveexec_b32 s94, s78
	s_cbranch_execz .LBB103_75
.LBB103_128:                            ;   in Loop: Header=BB103_21 Depth=1
	v_add_co_u32 v66, vcc_lo, v64, v63
	v_add_co_ci_u32_e64 v67, null, 0, v65, vcc_lo
	v_add_co_u32 v68, vcc_lo, v61, v15
	v_add_co_ci_u32_e64 v69, null, v62, v16, vcc_lo
	v_add_co_u32 v66, vcc_lo, 0x100, v66
	v_add_co_ci_u32_e64 v67, null, 0, v67, vcc_lo
	v_add_co_u32 v68, vcc_lo, 0x500, v68
	v_add_co_ci_u32_e64 v69, null, 0, v69, vcc_lo
	v_cndmask_b32_e64 v66, v68, v66, s0
	v_add_co_u32 v68, vcc_lo, v45, v0
	v_cndmask_b32_e64 v67, v69, v67, s0
	v_add_co_ci_u32_e64 v69, null, 0, v46, vcc_lo
	global_load_dwordx2 v[66:67], v[66:67], off
	v_lshlrev_b64 v[68:69], 3, v[68:69]
	v_add_co_u32 v70, vcc_lo, s34, v68
	v_add_co_ci_u32_e64 v71, null, s35, v69, vcc_lo
	v_add_co_u32 v68, vcc_lo, s28, v68
	v_add_co_ci_u32_e64 v69, null, s29, v69, vcc_lo
	global_store_dwordx2 v[70:71], v[31:32], off offset:256
	s_waitcnt vmcnt(0)
	global_store_dwordx2 v[68:69], v[66:67], off offset:256
	s_or_b32 exec_lo, exec_lo, s94
	s_and_saveexec_b32 s94, s79
	s_cbranch_execz .LBB103_76
.LBB103_129:                            ;   in Loop: Header=BB103_21 Depth=1
	v_add_co_u32 v66, vcc_lo, v64, v63
	v_add_co_ci_u32_e64 v67, null, 0, v65, vcc_lo
	v_add_co_u32 v68, vcc_lo, v61, v17
	v_add_co_ci_u32_e64 v69, null, v62, v18, vcc_lo
	;; [unrolled: 2-line block ×4, first 2 shown]
	v_cndmask_b32_e64 v66, v68, v66, s0
	v_add_co_u32 v68, vcc_lo, v45, v0
	v_cndmask_b32_e64 v67, v69, v67, s0
	v_add_co_ci_u32_e64 v69, null, 0, v46, vcc_lo
	global_load_dwordx2 v[66:67], v[66:67], off
	v_lshlrev_b64 v[68:69], 3, v[68:69]
	v_add_co_u32 v70, vcc_lo, s34, v68
	v_add_co_ci_u32_e64 v71, null, s35, v69, vcc_lo
	v_add_co_u32 v68, vcc_lo, s28, v68
	v_add_co_ci_u32_e64 v69, null, s29, v69, vcc_lo
	global_store_dwordx2 v[70:71], v[33:34], off offset:512
	s_waitcnt vmcnt(0)
	global_store_dwordx2 v[68:69], v[66:67], off offset:512
	s_or_b32 exec_lo, exec_lo, s94
	s_and_saveexec_b32 s94, s80
	s_cbranch_execz .LBB103_77
.LBB103_130:                            ;   in Loop: Header=BB103_21 Depth=1
	v_add_co_u32 v66, vcc_lo, v64, v63
	v_add_co_ci_u32_e64 v67, null, 0, v65, vcc_lo
	v_add_co_u32 v68, vcc_lo, v61, v19
	v_add_co_ci_u32_e64 v69, null, v62, v20, vcc_lo
	;; [unrolled: 2-line block ×4, first 2 shown]
	v_cndmask_b32_e64 v66, v68, v66, s0
	v_add_co_u32 v68, vcc_lo, v45, v0
	v_cndmask_b32_e64 v67, v69, v67, s0
	v_add_co_ci_u32_e64 v69, null, 0, v46, vcc_lo
	global_load_dwordx2 v[66:67], v[66:67], off
	v_lshlrev_b64 v[68:69], 3, v[68:69]
	v_add_co_u32 v70, vcc_lo, s34, v68
	v_add_co_ci_u32_e64 v71, null, s35, v69, vcc_lo
	v_add_co_u32 v68, vcc_lo, s28, v68
	v_add_co_ci_u32_e64 v69, null, s29, v69, vcc_lo
	global_store_dwordx2 v[70:71], v[35:36], off offset:768
	s_waitcnt vmcnt(0)
	global_store_dwordx2 v[68:69], v[66:67], off offset:768
	s_or_b32 exec_lo, exec_lo, s94
	s_and_saveexec_b32 s94, s81
	s_cbranch_execz .LBB103_78
.LBB103_131:                            ;   in Loop: Header=BB103_21 Depth=1
	v_add_co_u32 v66, vcc_lo, v64, v63
	v_add_co_ci_u32_e64 v67, null, 0, v65, vcc_lo
	v_add_co_u32 v68, vcc_lo, v61, v21
	v_add_co_ci_u32_e64 v69, null, v62, v22, vcc_lo
	;; [unrolled: 2-line block ×4, first 2 shown]
	v_cndmask_b32_e64 v66, v68, v66, s0
	v_add_co_u32 v68, vcc_lo, v45, v0
	v_cndmask_b32_e64 v67, v69, v67, s0
	v_add_co_ci_u32_e64 v69, null, 0, v46, vcc_lo
	global_load_dwordx2 v[66:67], v[66:67], off
	v_lshlrev_b64 v[68:69], 3, v[68:69]
	v_add_co_u32 v70, vcc_lo, s34, v68
	v_add_co_ci_u32_e64 v71, null, s35, v69, vcc_lo
	v_add_co_u32 v68, vcc_lo, s28, v68
	v_add_co_ci_u32_e64 v69, null, s29, v69, vcc_lo
	global_store_dwordx2 v[70:71], v[37:38], off offset:1024
	s_waitcnt vmcnt(0)
	global_store_dwordx2 v[68:69], v[66:67], off offset:1024
	s_or_b32 exec_lo, exec_lo, s94
	s_and_saveexec_b32 s94, s82
	s_cbranch_execz .LBB103_79
.LBB103_132:                            ;   in Loop: Header=BB103_21 Depth=1
	v_add_co_u32 v66, vcc_lo, v64, v63
	v_add_co_ci_u32_e64 v67, null, 0, v65, vcc_lo
	v_add_co_u32 v68, vcc_lo, v61, v23
	v_add_co_ci_u32_e64 v69, null, v62, v24, vcc_lo
	v_cndmask_b32_e64 v66, v68, v66, s0
	v_add_co_u32 v68, vcc_lo, v45, v0
	v_cndmask_b32_e64 v67, v69, v67, s0
	v_add_co_ci_u32_e64 v69, null, 0, v46, vcc_lo
	global_load_dwordx2 v[66:67], v[66:67], off offset:1280
	v_lshlrev_b64 v[68:69], 3, v[68:69]
	v_add_co_u32 v70, vcc_lo, s34, v68
	v_add_co_ci_u32_e64 v71, null, s35, v69, vcc_lo
	v_add_co_u32 v68, vcc_lo, s28, v68
	v_add_co_ci_u32_e64 v69, null, s29, v69, vcc_lo
	global_store_dwordx2 v[70:71], v[39:40], off offset:1280
	s_waitcnt vmcnt(0)
	global_store_dwordx2 v[68:69], v[66:67], off offset:1280
	s_or_b32 exec_lo, exec_lo, s94
	s_and_saveexec_b32 s94, s83
	s_cbranch_execz .LBB103_80
.LBB103_133:                            ;   in Loop: Header=BB103_21 Depth=1
	v_add_co_u32 v66, vcc_lo, v64, v63
	v_add_co_ci_u32_e64 v67, null, 0, v65, vcc_lo
	v_add_co_u32 v68, vcc_lo, v61, v25
	v_add_co_ci_u32_e64 v69, null, v62, v26, vcc_lo
	;; [unrolled: 2-line block ×4, first 2 shown]
	v_cndmask_b32_e64 v66, v68, v66, s0
	v_add_co_u32 v68, vcc_lo, v45, v0
	v_cndmask_b32_e64 v67, v69, v67, s0
	v_add_co_ci_u32_e64 v69, null, 0, v46, vcc_lo
	global_load_dwordx2 v[66:67], v[66:67], off
	v_lshlrev_b64 v[68:69], 3, v[68:69]
	v_add_co_u32 v70, vcc_lo, s34, v68
	v_add_co_ci_u32_e64 v71, null, s35, v69, vcc_lo
	v_add_co_u32 v68, vcc_lo, s28, v68
	v_add_co_ci_u32_e64 v69, null, s29, v69, vcc_lo
	global_store_dwordx2 v[70:71], v[41:42], off offset:1536
	s_waitcnt vmcnt(0)
	global_store_dwordx2 v[68:69], v[66:67], off offset:1536
	s_or_b32 exec_lo, exec_lo, s94
	s_and_saveexec_b32 s94, s8
	s_cbranch_execnz .LBB103_81
	s_branch .LBB103_82
.LBB103_134:                            ;   in Loop: Header=BB103_21 Depth=1
	v_add_co_u32 v66, vcc_lo, v61, v13
	v_add_co_ci_u32_e64 v67, null, v62, v14, vcc_lo
	v_add_co_u32 v68, vcc_lo, v64, v63
	v_add_co_ci_u32_e64 v69, null, 0, v65, vcc_lo
	;; [unrolled: 2-line block ×3, first 2 shown]
	v_cndmask_b32_e64 v66, v66, v68, s0
	v_add_co_u32 v68, vcc_lo, v45, v0
	v_cndmask_b32_e64 v67, v67, v69, s0
	v_add_co_ci_u32_e64 v69, null, 0, v46, vcc_lo
	global_load_dwordx2 v[66:67], v[66:67], off
	v_lshlrev_b64 v[68:69], 3, v[68:69]
	v_add_co_u32 v70, vcc_lo, s34, v68
	v_add_co_ci_u32_e64 v71, null, s35, v69, vcc_lo
	v_add_co_u32 v68, vcc_lo, s28, v68
	v_add_co_ci_u32_e64 v69, null, s29, v69, vcc_lo
	global_store_dwordx2 v[70:71], v[29:30], off
	s_waitcnt vmcnt(0)
	global_store_dwordx2 v[68:69], v[66:67], off
	s_or_b32 exec_lo, exec_lo, s94
	s_and_saveexec_b32 s94, s85
	s_cbranch_execz .LBB103_84
.LBB103_135:                            ;   in Loop: Header=BB103_21 Depth=1
	v_add_co_u32 v66, vcc_lo, v64, v63
	v_add_co_ci_u32_e64 v67, null, 0, v65, vcc_lo
	v_add_co_u32 v68, vcc_lo, v61, v15
	v_add_co_ci_u32_e64 v69, null, v62, v16, vcc_lo
	;; [unrolled: 2-line block ×4, first 2 shown]
	v_cndmask_b32_e64 v66, v68, v66, s0
	v_add_co_u32 v68, vcc_lo, v45, v0
	v_cndmask_b32_e64 v67, v69, v67, s0
	v_add_co_ci_u32_e64 v69, null, 0, v46, vcc_lo
	global_load_dwordx2 v[66:67], v[66:67], off
	v_lshlrev_b64 v[68:69], 3, v[68:69]
	v_add_co_u32 v70, vcc_lo, s34, v68
	v_add_co_ci_u32_e64 v71, null, s35, v69, vcc_lo
	v_add_co_u32 v68, vcc_lo, s28, v68
	v_add_co_ci_u32_e64 v69, null, s29, v69, vcc_lo
	global_store_dwordx2 v[70:71], v[31:32], off offset:256
	s_waitcnt vmcnt(0)
	global_store_dwordx2 v[68:69], v[66:67], off offset:256
	s_or_b32 exec_lo, exec_lo, s94
	s_and_saveexec_b32 s94, s86
	s_cbranch_execz .LBB103_85
.LBB103_136:                            ;   in Loop: Header=BB103_21 Depth=1
	v_add_co_u32 v66, vcc_lo, v64, v63
	v_add_co_ci_u32_e64 v67, null, 0, v65, vcc_lo
	v_add_co_u32 v68, vcc_lo, v61, v17
	v_add_co_ci_u32_e64 v69, null, v62, v18, vcc_lo
	;; [unrolled: 2-line block ×4, first 2 shown]
	v_cndmask_b32_e64 v66, v68, v66, s0
	v_add_co_u32 v68, vcc_lo, v45, v0
	v_cndmask_b32_e64 v67, v69, v67, s0
	v_add_co_ci_u32_e64 v69, null, 0, v46, vcc_lo
	global_load_dwordx2 v[66:67], v[66:67], off
	v_lshlrev_b64 v[68:69], 3, v[68:69]
	v_add_co_u32 v70, vcc_lo, s34, v68
	v_add_co_ci_u32_e64 v71, null, s35, v69, vcc_lo
	v_add_co_u32 v68, vcc_lo, s28, v68
	v_add_co_ci_u32_e64 v69, null, s29, v69, vcc_lo
	global_store_dwordx2 v[70:71], v[33:34], off offset:512
	s_waitcnt vmcnt(0)
	global_store_dwordx2 v[68:69], v[66:67], off offset:512
	s_or_b32 exec_lo, exec_lo, s94
	s_and_saveexec_b32 s94, s87
	s_cbranch_execz .LBB103_86
.LBB103_137:                            ;   in Loop: Header=BB103_21 Depth=1
	v_add_co_u32 v66, vcc_lo, v64, v63
	v_add_co_ci_u32_e64 v67, null, 0, v65, vcc_lo
	v_add_co_u32 v68, vcc_lo, v61, v19
	v_add_co_ci_u32_e64 v69, null, v62, v20, vcc_lo
	;; [unrolled: 2-line block ×4, first 2 shown]
	v_cndmask_b32_e64 v66, v68, v66, s0
	v_add_co_u32 v68, vcc_lo, v45, v0
	v_cndmask_b32_e64 v67, v69, v67, s0
	v_add_co_ci_u32_e64 v69, null, 0, v46, vcc_lo
	global_load_dwordx2 v[66:67], v[66:67], off
	v_lshlrev_b64 v[68:69], 3, v[68:69]
	v_add_co_u32 v70, vcc_lo, s34, v68
	v_add_co_ci_u32_e64 v71, null, s35, v69, vcc_lo
	v_add_co_u32 v68, vcc_lo, s28, v68
	v_add_co_ci_u32_e64 v69, null, s29, v69, vcc_lo
	global_store_dwordx2 v[70:71], v[35:36], off offset:768
	s_waitcnt vmcnt(0)
	global_store_dwordx2 v[68:69], v[66:67], off offset:768
	s_or_b32 exec_lo, exec_lo, s94
	s_and_saveexec_b32 s94, s88
	s_cbranch_execz .LBB103_87
.LBB103_138:                            ;   in Loop: Header=BB103_21 Depth=1
	v_add_co_u32 v66, vcc_lo, v64, v63
	v_add_co_ci_u32_e64 v67, null, 0, v65, vcc_lo
	v_add_co_u32 v68, vcc_lo, v61, v21
	v_add_co_ci_u32_e64 v69, null, v62, v22, vcc_lo
	;; [unrolled: 2-line block ×4, first 2 shown]
	v_cndmask_b32_e64 v66, v68, v66, s0
	v_add_co_u32 v68, vcc_lo, v45, v0
	v_cndmask_b32_e64 v67, v69, v67, s0
	v_add_co_ci_u32_e64 v69, null, 0, v46, vcc_lo
	global_load_dwordx2 v[66:67], v[66:67], off
	v_lshlrev_b64 v[68:69], 3, v[68:69]
	v_add_co_u32 v70, vcc_lo, s34, v68
	v_add_co_ci_u32_e64 v71, null, s35, v69, vcc_lo
	v_add_co_u32 v68, vcc_lo, s28, v68
	v_add_co_ci_u32_e64 v69, null, s29, v69, vcc_lo
	global_store_dwordx2 v[70:71], v[37:38], off offset:1024
	s_waitcnt vmcnt(0)
	global_store_dwordx2 v[68:69], v[66:67], off offset:1024
	s_or_b32 exec_lo, exec_lo, s94
	s_and_saveexec_b32 s94, s89
	s_cbranch_execz .LBB103_88
.LBB103_139:                            ;   in Loop: Header=BB103_21 Depth=1
	v_add_co_u32 v66, vcc_lo, v64, v63
	v_add_co_ci_u32_e64 v67, null, 0, v65, vcc_lo
	v_add_co_u32 v68, vcc_lo, v61, v23
	v_add_co_ci_u32_e64 v69, null, v62, v24, vcc_lo
	;; [unrolled: 2-line block ×4, first 2 shown]
	v_cndmask_b32_e64 v66, v68, v66, s0
	v_add_co_u32 v68, vcc_lo, v45, v0
	v_cndmask_b32_e64 v67, v69, v67, s0
	v_add_co_ci_u32_e64 v69, null, 0, v46, vcc_lo
	global_load_dwordx2 v[66:67], v[66:67], off
	v_lshlrev_b64 v[68:69], 3, v[68:69]
	v_add_co_u32 v70, vcc_lo, s34, v68
	v_add_co_ci_u32_e64 v71, null, s35, v69, vcc_lo
	v_add_co_u32 v68, vcc_lo, s28, v68
	v_add_co_ci_u32_e64 v69, null, s29, v69, vcc_lo
	global_store_dwordx2 v[70:71], v[39:40], off offset:1280
	s_waitcnt vmcnt(0)
	global_store_dwordx2 v[68:69], v[66:67], off offset:1280
	s_or_b32 exec_lo, exec_lo, s94
	s_and_saveexec_b32 s94, s90
	s_cbranch_execz .LBB103_89
.LBB103_140:                            ;   in Loop: Header=BB103_21 Depth=1
	v_add_co_u32 v66, vcc_lo, v64, v63
	v_add_co_ci_u32_e64 v67, null, 0, v65, vcc_lo
	v_add_co_u32 v68, vcc_lo, v61, v25
	v_add_co_ci_u32_e64 v69, null, v62, v26, vcc_lo
	v_cndmask_b32_e64 v66, v68, v66, s0
	v_add_co_u32 v68, vcc_lo, v45, v0
	v_cndmask_b32_e64 v67, v69, v67, s0
	v_add_co_ci_u32_e64 v69, null, 0, v46, vcc_lo
	global_load_dwordx2 v[66:67], v[66:67], off offset:1536
	v_lshlrev_b64 v[68:69], 3, v[68:69]
	v_add_co_u32 v70, vcc_lo, s34, v68
	v_add_co_ci_u32_e64 v71, null, s35, v69, vcc_lo
	v_add_co_u32 v68, vcc_lo, s28, v68
	v_add_co_ci_u32_e64 v69, null, s29, v69, vcc_lo
	global_store_dwordx2 v[70:71], v[41:42], off offset:1536
	s_waitcnt vmcnt(0)
	global_store_dwordx2 v[68:69], v[66:67], off offset:1536
	s_or_b32 exec_lo, exec_lo, s94
	s_and_saveexec_b32 s94, s10
	s_cbranch_execnz .LBB103_90
	s_branch .LBB103_91
.LBB103_141:                            ;   in Loop: Header=BB103_21 Depth=1
	v_add_co_u32 v66, vcc_lo, v61, v13
	v_add_co_ci_u32_e64 v67, null, v62, v14, vcc_lo
	v_add_co_u32 v68, vcc_lo, v64, v63
	v_add_co_ci_u32_e64 v69, null, 0, v65, vcc_lo
	;; [unrolled: 2-line block ×3, first 2 shown]
	v_cndmask_b32_e64 v66, v66, v68, s0
	v_add_co_u32 v68, vcc_lo, v45, v0
	v_cndmask_b32_e64 v67, v67, v69, s0
	v_add_co_ci_u32_e64 v69, null, 0, v46, vcc_lo
	global_load_dwordx2 v[66:67], v[66:67], off
	v_lshlrev_b64 v[68:69], 3, v[68:69]
	v_add_co_u32 v70, vcc_lo, s34, v68
	v_add_co_ci_u32_e64 v71, null, s35, v69, vcc_lo
	v_add_co_u32 v68, vcc_lo, s28, v68
	v_add_co_ci_u32_e64 v69, null, s29, v69, vcc_lo
	global_store_dwordx2 v[70:71], v[29:30], off
	s_waitcnt vmcnt(0)
	global_store_dwordx2 v[68:69], v[66:67], off
	s_or_b32 exec_lo, exec_lo, s4
	s_and_saveexec_b32 s4, s91
	s_cbranch_execz .LBB103_93
.LBB103_142:                            ;   in Loop: Header=BB103_21 Depth=1
	v_add_co_u32 v29, vcc_lo, v64, v63
	v_add_co_ci_u32_e64 v30, null, 0, v65, vcc_lo
	v_add_co_u32 v66, vcc_lo, v61, v15
	v_add_co_ci_u32_e64 v67, null, v62, v16, vcc_lo
	v_add_co_u32 v29, vcc_lo, 0x100, v29
	v_add_co_ci_u32_e64 v30, null, 0, v30, vcc_lo
	v_add_co_u32 v66, vcc_lo, 0x700, v66
	v_add_co_ci_u32_e64 v67, null, 0, v67, vcc_lo
	v_cndmask_b32_e64 v29, v66, v29, s0
	v_add_co_u32 v66, vcc_lo, v45, v0
	v_cndmask_b32_e64 v30, v67, v30, s0
	v_add_co_ci_u32_e64 v67, null, 0, v46, vcc_lo
	global_load_dwordx2 v[29:30], v[29:30], off
	v_lshlrev_b64 v[66:67], 3, v[66:67]
	v_add_co_u32 v68, vcc_lo, s34, v66
	v_add_co_ci_u32_e64 v69, null, s35, v67, vcc_lo
	v_add_co_u32 v66, vcc_lo, s28, v66
	v_add_co_ci_u32_e64 v67, null, s29, v67, vcc_lo
	global_store_dwordx2 v[68:69], v[31:32], off offset:256
	s_waitcnt vmcnt(0)
	global_store_dwordx2 v[66:67], v[29:30], off offset:256
	s_or_b32 exec_lo, exec_lo, s4
	s_and_saveexec_b32 s4, s92
	s_cbranch_execz .LBB103_94
.LBB103_143:                            ;   in Loop: Header=BB103_21 Depth=1
	v_add_co_u32 v29, vcc_lo, v64, v63
	v_add_co_ci_u32_e64 v30, null, 0, v65, vcc_lo
	v_add_co_u32 v31, vcc_lo, v61, v17
	v_add_co_ci_u32_e64 v32, null, v62, v18, vcc_lo
	;; [unrolled: 2-line block ×4, first 2 shown]
	v_cndmask_b32_e64 v29, v31, v29, s0
	v_add_co_u32 v31, vcc_lo, v45, v0
	v_cndmask_b32_e64 v30, v32, v30, s0
	v_add_co_ci_u32_e64 v32, null, 0, v46, vcc_lo
	global_load_dwordx2 v[29:30], v[29:30], off
	v_lshlrev_b64 v[31:32], 3, v[31:32]
	v_add_co_u32 v66, vcc_lo, s34, v31
	v_add_co_ci_u32_e64 v67, null, s35, v32, vcc_lo
	v_add_co_u32 v31, vcc_lo, s28, v31
	v_add_co_ci_u32_e64 v32, null, s29, v32, vcc_lo
	global_store_dwordx2 v[66:67], v[33:34], off offset:512
	s_waitcnt vmcnt(0)
	global_store_dwordx2 v[31:32], v[29:30], off offset:512
	s_or_b32 exec_lo, exec_lo, s4
	s_and_saveexec_b32 s4, s11
	s_cbranch_execz .LBB103_95
.LBB103_144:                            ;   in Loop: Header=BB103_21 Depth=1
	v_add_co_u32 v29, vcc_lo, v64, v63
	v_add_co_ci_u32_e64 v30, null, 0, v65, vcc_lo
	v_add_co_u32 v31, vcc_lo, v61, v19
	v_add_co_ci_u32_e64 v32, null, v62, v20, vcc_lo
	;; [unrolled: 2-line block ×4, first 2 shown]
	v_cndmask_b32_e64 v29, v31, v29, s0
	v_add_co_u32 v31, vcc_lo, v45, v0
	v_cndmask_b32_e64 v30, v32, v30, s0
	v_add_co_ci_u32_e64 v32, null, 0, v46, vcc_lo
	global_load_dwordx2 v[29:30], v[29:30], off
	v_lshlrev_b64 v[31:32], 3, v[31:32]
	v_add_co_u32 v33, vcc_lo, s34, v31
	v_add_co_ci_u32_e64 v34, null, s35, v32, vcc_lo
	v_add_co_u32 v31, vcc_lo, s28, v31
	v_add_co_ci_u32_e64 v32, null, s29, v32, vcc_lo
	global_store_dwordx2 v[33:34], v[35:36], off offset:768
	s_waitcnt vmcnt(0)
	global_store_dwordx2 v[31:32], v[29:30], off offset:768
	s_or_b32 exec_lo, exec_lo, s4
	s_and_saveexec_b32 s4, s12
	s_cbranch_execz .LBB103_96
.LBB103_145:                            ;   in Loop: Header=BB103_21 Depth=1
	v_add_co_u32 v29, vcc_lo, v64, v63
	v_add_co_ci_u32_e64 v30, null, 0, v65, vcc_lo
	v_add_co_u32 v31, vcc_lo, v61, v21
	v_add_co_ci_u32_e64 v32, null, v62, v22, vcc_lo
	;; [unrolled: 2-line block ×4, first 2 shown]
	v_cndmask_b32_e64 v29, v31, v29, s0
	v_add_co_u32 v31, vcc_lo, v45, v0
	v_cndmask_b32_e64 v30, v32, v30, s0
	v_add_co_ci_u32_e64 v32, null, 0, v46, vcc_lo
	global_load_dwordx2 v[29:30], v[29:30], off
	v_lshlrev_b64 v[31:32], 3, v[31:32]
	v_add_co_u32 v33, vcc_lo, s34, v31
	v_add_co_ci_u32_e64 v34, null, s35, v32, vcc_lo
	v_add_co_u32 v31, vcc_lo, s28, v31
	v_add_co_ci_u32_e64 v32, null, s29, v32, vcc_lo
	global_store_dwordx2 v[33:34], v[37:38], off offset:1024
	s_waitcnt vmcnt(0)
	global_store_dwordx2 v[31:32], v[29:30], off offset:1024
	s_or_b32 exec_lo, exec_lo, s4
	s_and_saveexec_b32 s4, s13
	s_cbranch_execz .LBB103_97
.LBB103_146:                            ;   in Loop: Header=BB103_21 Depth=1
	v_add_co_u32 v29, vcc_lo, v64, v63
	v_add_co_ci_u32_e64 v30, null, 0, v65, vcc_lo
	v_add_co_u32 v31, vcc_lo, v61, v23
	v_add_co_ci_u32_e64 v32, null, v62, v24, vcc_lo
	;; [unrolled: 2-line block ×4, first 2 shown]
	v_cndmask_b32_e64 v29, v31, v29, s0
	v_add_co_u32 v31, vcc_lo, v45, v0
	v_cndmask_b32_e64 v30, v32, v30, s0
	v_add_co_ci_u32_e64 v32, null, 0, v46, vcc_lo
	global_load_dwordx2 v[29:30], v[29:30], off
	v_lshlrev_b64 v[31:32], 3, v[31:32]
	v_add_co_u32 v33, vcc_lo, s34, v31
	v_add_co_ci_u32_e64 v34, null, s35, v32, vcc_lo
	v_add_co_u32 v31, vcc_lo, s28, v31
	v_add_co_ci_u32_e64 v32, null, s29, v32, vcc_lo
	global_store_dwordx2 v[33:34], v[39:40], off offset:1280
	s_waitcnt vmcnt(0)
	global_store_dwordx2 v[31:32], v[29:30], off offset:1280
	s_or_b32 exec_lo, exec_lo, s4
	s_and_saveexec_b32 s4, s14
	s_cbranch_execz .LBB103_98
.LBB103_147:                            ;   in Loop: Header=BB103_21 Depth=1
	v_add_co_u32 v29, vcc_lo, v64, v63
	v_add_co_ci_u32_e64 v30, null, 0, v65, vcc_lo
	v_add_co_u32 v31, vcc_lo, v61, v25
	v_add_co_ci_u32_e64 v32, null, v62, v26, vcc_lo
	;; [unrolled: 2-line block ×4, first 2 shown]
	v_cndmask_b32_e64 v29, v31, v29, s0
	v_add_co_u32 v31, vcc_lo, v45, v0
	v_cndmask_b32_e64 v30, v32, v30, s0
	v_add_co_ci_u32_e64 v32, null, 0, v46, vcc_lo
	global_load_dwordx2 v[29:30], v[29:30], off
	v_lshlrev_b64 v[31:32], 3, v[31:32]
	v_add_co_u32 v33, vcc_lo, s34, v31
	v_add_co_ci_u32_e64 v34, null, s35, v32, vcc_lo
	v_add_co_u32 v31, vcc_lo, s28, v31
	v_add_co_ci_u32_e64 v32, null, s29, v32, vcc_lo
	global_store_dwordx2 v[33:34], v[41:42], off offset:1536
	s_waitcnt vmcnt(0)
	global_store_dwordx2 v[31:32], v[29:30], off offset:1536
	s_or_b32 exec_lo, exec_lo, s4
	s_and_saveexec_b32 s4, s9
	s_cbranch_execz .LBB103_20
.LBB103_148:                            ;   in Loop: Header=BB103_21 Depth=1
	v_add_co_u32 v29, vcc_lo, v64, v63
	v_add_co_ci_u32_e64 v30, null, 0, v65, vcc_lo
	v_add_co_u32 v31, vcc_lo, v61, v27
	v_add_co_ci_u32_e64 v32, null, v62, v28, vcc_lo
	v_cndmask_b32_e64 v29, v31, v29, s0
	v_add_co_u32 v31, vcc_lo, v45, v0
	v_cndmask_b32_e64 v30, v32, v30, s0
	v_add_co_ci_u32_e64 v32, null, 0, v46, vcc_lo
	global_load_dwordx2 v[29:30], v[29:30], off offset:1792
	v_lshlrev_b64 v[31:32], 3, v[31:32]
	v_add_co_u32 v33, vcc_lo, s34, v31
	v_add_co_ci_u32_e64 v34, null, s35, v32, vcc_lo
	v_add_co_u32 v31, vcc_lo, s28, v31
	v_add_co_ci_u32_e64 v32, null, s29, v32, vcc_lo
	global_store_dwordx2 v[33:34], v[43:44], off offset:1792
	s_waitcnt vmcnt(0)
	global_store_dwordx2 v[31:32], v[29:30], off offset:1792
	s_branch .LBB103_20
.LBB103_149:
	s_endpgm
	.section	.rodata,"a",@progbits
	.p2align	6, 0x0
	.amdhsa_kernel _ZN9rocsparseL35bsr2csr_block_per_row_33_256_kernelILj1024ELj256ELj32ElllEEv20rocsparse_direction_T4_S2_21rocsparse_index_base_PKT2_PKT3_PKS2_S2_S3_PS4_PS7_PS2_
		.amdhsa_group_segment_fixed_size 0
		.amdhsa_private_segment_fixed_size 0
		.amdhsa_kernarg_size 96
		.amdhsa_user_sgpr_count 6
		.amdhsa_user_sgpr_private_segment_buffer 1
		.amdhsa_user_sgpr_dispatch_ptr 0
		.amdhsa_user_sgpr_queue_ptr 0
		.amdhsa_user_sgpr_kernarg_segment_ptr 1
		.amdhsa_user_sgpr_dispatch_id 0
		.amdhsa_user_sgpr_flat_scratch_init 0
		.amdhsa_user_sgpr_private_segment_size 0
		.amdhsa_wavefront_size32 1
		.amdhsa_uses_dynamic_stack 0
		.amdhsa_system_sgpr_private_segment_wavefront_offset 0
		.amdhsa_system_sgpr_workgroup_id_x 1
		.amdhsa_system_sgpr_workgroup_id_y 0
		.amdhsa_system_sgpr_workgroup_id_z 0
		.amdhsa_system_sgpr_workgroup_info 0
		.amdhsa_system_vgpr_workitem_id 0
		.amdhsa_next_free_vgpr 72
		.amdhsa_next_free_sgpr 100
		.amdhsa_reserve_vcc 1
		.amdhsa_reserve_flat_scratch 0
		.amdhsa_float_round_mode_32 0
		.amdhsa_float_round_mode_16_64 0
		.amdhsa_float_denorm_mode_32 3
		.amdhsa_float_denorm_mode_16_64 3
		.amdhsa_dx10_clamp 1
		.amdhsa_ieee_mode 1
		.amdhsa_fp16_overflow 0
		.amdhsa_workgroup_processor_mode 1
		.amdhsa_memory_ordered 1
		.amdhsa_forward_progress 1
		.amdhsa_shared_vgpr_count 0
		.amdhsa_exception_fp_ieee_invalid_op 0
		.amdhsa_exception_fp_denorm_src 0
		.amdhsa_exception_fp_ieee_div_zero 0
		.amdhsa_exception_fp_ieee_overflow 0
		.amdhsa_exception_fp_ieee_underflow 0
		.amdhsa_exception_fp_ieee_inexact 0
		.amdhsa_exception_int_div_zero 0
	.end_amdhsa_kernel
	.section	.text._ZN9rocsparseL35bsr2csr_block_per_row_33_256_kernelILj1024ELj256ELj32ElllEEv20rocsparse_direction_T4_S2_21rocsparse_index_base_PKT2_PKT3_PKS2_S2_S3_PS4_PS7_PS2_,"axG",@progbits,_ZN9rocsparseL35bsr2csr_block_per_row_33_256_kernelILj1024ELj256ELj32ElllEEv20rocsparse_direction_T4_S2_21rocsparse_index_base_PKT2_PKT3_PKS2_S2_S3_PS4_PS7_PS2_,comdat
.Lfunc_end103:
	.size	_ZN9rocsparseL35bsr2csr_block_per_row_33_256_kernelILj1024ELj256ELj32ElllEEv20rocsparse_direction_T4_S2_21rocsparse_index_base_PKT2_PKT3_PKS2_S2_S3_PS4_PS7_PS2_, .Lfunc_end103-_ZN9rocsparseL35bsr2csr_block_per_row_33_256_kernelILj1024ELj256ELj32ElllEEv20rocsparse_direction_T4_S2_21rocsparse_index_base_PKT2_PKT3_PKS2_S2_S3_PS4_PS7_PS2_
                                        ; -- End function
	.set _ZN9rocsparseL35bsr2csr_block_per_row_33_256_kernelILj1024ELj256ELj32ElllEEv20rocsparse_direction_T4_S2_21rocsparse_index_base_PKT2_PKT3_PKS2_S2_S3_PS4_PS7_PS2_.num_vgpr, 72
	.set _ZN9rocsparseL35bsr2csr_block_per_row_33_256_kernelILj1024ELj256ELj32ElllEEv20rocsparse_direction_T4_S2_21rocsparse_index_base_PKT2_PKT3_PKS2_S2_S3_PS4_PS7_PS2_.num_agpr, 0
	.set _ZN9rocsparseL35bsr2csr_block_per_row_33_256_kernelILj1024ELj256ELj32ElllEEv20rocsparse_direction_T4_S2_21rocsparse_index_base_PKT2_PKT3_PKS2_S2_S3_PS4_PS7_PS2_.numbered_sgpr, 100
	.set _ZN9rocsparseL35bsr2csr_block_per_row_33_256_kernelILj1024ELj256ELj32ElllEEv20rocsparse_direction_T4_S2_21rocsparse_index_base_PKT2_PKT3_PKS2_S2_S3_PS4_PS7_PS2_.num_named_barrier, 0
	.set _ZN9rocsparseL35bsr2csr_block_per_row_33_256_kernelILj1024ELj256ELj32ElllEEv20rocsparse_direction_T4_S2_21rocsparse_index_base_PKT2_PKT3_PKS2_S2_S3_PS4_PS7_PS2_.private_seg_size, 0
	.set _ZN9rocsparseL35bsr2csr_block_per_row_33_256_kernelILj1024ELj256ELj32ElllEEv20rocsparse_direction_T4_S2_21rocsparse_index_base_PKT2_PKT3_PKS2_S2_S3_PS4_PS7_PS2_.uses_vcc, 1
	.set _ZN9rocsparseL35bsr2csr_block_per_row_33_256_kernelILj1024ELj256ELj32ElllEEv20rocsparse_direction_T4_S2_21rocsparse_index_base_PKT2_PKT3_PKS2_S2_S3_PS4_PS7_PS2_.uses_flat_scratch, 0
	.set _ZN9rocsparseL35bsr2csr_block_per_row_33_256_kernelILj1024ELj256ELj32ElllEEv20rocsparse_direction_T4_S2_21rocsparse_index_base_PKT2_PKT3_PKS2_S2_S3_PS4_PS7_PS2_.has_dyn_sized_stack, 0
	.set _ZN9rocsparseL35bsr2csr_block_per_row_33_256_kernelILj1024ELj256ELj32ElllEEv20rocsparse_direction_T4_S2_21rocsparse_index_base_PKT2_PKT3_PKS2_S2_S3_PS4_PS7_PS2_.has_recursion, 0
	.set _ZN9rocsparseL35bsr2csr_block_per_row_33_256_kernelILj1024ELj256ELj32ElllEEv20rocsparse_direction_T4_S2_21rocsparse_index_base_PKT2_PKT3_PKS2_S2_S3_PS4_PS7_PS2_.has_indirect_call, 0
	.section	.AMDGPU.csdata,"",@progbits
; Kernel info:
; codeLenInByte = 14200
; TotalNumSgprs: 102
; NumVgprs: 72
; ScratchSize: 0
; MemoryBound: 0
; FloatMode: 240
; IeeeMode: 1
; LDSByteSize: 0 bytes/workgroup (compile time only)
; SGPRBlocks: 0
; VGPRBlocks: 8
; NumSGPRsForWavesPerEU: 102
; NumVGPRsForWavesPerEU: 72
; Occupancy: 12
; WaveLimiterHint : 1
; COMPUTE_PGM_RSRC2:SCRATCH_EN: 0
; COMPUTE_PGM_RSRC2:USER_SGPR: 6
; COMPUTE_PGM_RSRC2:TRAP_HANDLER: 0
; COMPUTE_PGM_RSRC2:TGID_X_EN: 1
; COMPUTE_PGM_RSRC2:TGID_Y_EN: 0
; COMPUTE_PGM_RSRC2:TGID_Z_EN: 0
; COMPUTE_PGM_RSRC2:TIDIG_COMP_CNT: 0
	.section	.text._ZN9rocsparseL35bsr2csr_block_dim_equals_one_kernelILj1024EfiiEEvT2_S1_21rocsparse_index_base_PKT0_PKT1_PKS1_S2_PS3_PS6_PS1_,"axG",@progbits,_ZN9rocsparseL35bsr2csr_block_dim_equals_one_kernelILj1024EfiiEEvT2_S1_21rocsparse_index_base_PKT0_PKT1_PKS1_S2_PS3_PS6_PS1_,comdat
	.globl	_ZN9rocsparseL35bsr2csr_block_dim_equals_one_kernelILj1024EfiiEEvT2_S1_21rocsparse_index_base_PKT0_PKT1_PKS1_S2_PS3_PS6_PS1_ ; -- Begin function _ZN9rocsparseL35bsr2csr_block_dim_equals_one_kernelILj1024EfiiEEvT2_S1_21rocsparse_index_base_PKT0_PKT1_PKS1_S2_PS3_PS6_PS1_
	.p2align	8
	.type	_ZN9rocsparseL35bsr2csr_block_dim_equals_one_kernelILj1024EfiiEEvT2_S1_21rocsparse_index_base_PKT0_PKT1_PKS1_S2_PS3_PS6_PS1_,@function
_ZN9rocsparseL35bsr2csr_block_dim_equals_one_kernelILj1024EfiiEEvT2_S1_21rocsparse_index_base_PKT0_PKT1_PKS1_S2_PS3_PS6_PS1_: ; @_ZN9rocsparseL35bsr2csr_block_dim_equals_one_kernelILj1024EfiiEEvT2_S1_21rocsparse_index_base_PKT0_PKT1_PKS1_S2_PS3_PS6_PS1_
; %bb.0:
	s_clause 0x6
	s_load_dword s0, s[4:5], 0x0
	s_load_dword s16, s[4:5], 0x8
	s_load_dwordx4 s[8:11], s[4:5], 0x10
	s_load_dwordx2 s[2:3], s[4:5], 0x20
	s_load_dwordx2 s[12:13], s[4:5], 0x40
	s_load_dword s17, s[4:5], 0x28
	s_load_dwordx2 s[14:15], s[4:5], 0x30
	v_lshl_or_b32 v0, s6, 10, v0
	s_mov_b32 s1, exec_lo
	s_waitcnt lgkmcnt(0)
	v_cmpx_gt_i32_e64 s0, v0
	s_cbranch_execz .LBB104_6
; %bb.1:
	s_load_dwordx2 s[6:7], s[4:5], 0x38
	s_mov_b32 s18, exec_lo
                                        ; implicit-def: $sgpr19
	v_cmpx_ne_u32_e32 0, v0
	s_xor_b32 s18, exec_lo, s18
; %bb.2:
	s_sub_i32 s19, s17, s16
; %bb.3:
	s_or_saveexec_b32 s18, s18
	v_mov_b32_e32 v2, s19
	s_xor_b32 exec_lo, exec_lo, s18
	s_cbranch_execz .LBB104_5
; %bb.4:
	s_load_dword s19, s[10:11], 0x0
	s_sub_i32 s20, s17, s16
	v_mov_b32_e32 v1, 0
	v_mov_b32_e32 v2, s20
	s_waitcnt lgkmcnt(0)
	s_add_i32 s19, s20, s19
	v_mov_b32_e32 v3, s19
	global_store_dword v1, v3, s[6:7]
.LBB104_5:
	s_or_b32 exec_lo, exec_lo, s18
	v_ashrrev_i32_e32 v1, 31, v0
	v_lshlrev_b64 v[3:4], 2, v[0:1]
	v_add_co_u32 v5, vcc_lo, s10, v3
	v_add_co_ci_u32_e64 v6, null, s11, v4, vcc_lo
	global_load_dword v1, v[5:6], off offset:4
	s_waitcnt vmcnt(0)
	v_add_nc_u32_e32 v5, v2, v1
	s_waitcnt lgkmcnt(0)
	v_add_co_u32 v1, vcc_lo, s6, v3
	v_add_co_ci_u32_e64 v2, null, s7, v4, vcc_lo
	global_store_dword v[1:2], v5, off offset:4
.LBB104_6:
	s_or_b32 exec_lo, exec_lo, s1
	s_ashr_i32 s1, s0, 31
	s_lshl_b64 s[0:1], s[0:1], 2
	s_add_u32 s0, s10, s0
	s_addc_u32 s1, s11, s1
	s_clause 0x1
	s_load_dword s0, s[0:1], 0x0
	s_load_dword s1, s[10:11], 0x0
	s_waitcnt lgkmcnt(0)
	s_sub_i32 s1, s0, s1
	s_mov_b32 s0, exec_lo
	v_cmpx_gt_i32_e64 s1, v0
	s_cbranch_execz .LBB104_9
; %bb.7:
	s_load_dword s0, s[4:5], 0x48
	s_sub_i32 s4, s17, s16
	s_mov_b32 s6, 0
	s_waitcnt lgkmcnt(0)
	s_lshl_b32 s5, s0, 10
	s_inst_prefetch 0x1
	.p2align	6
.LBB104_8:                              ; =>This Inner Loop Header: Depth=1
	v_ashrrev_i32_e32 v1, 31, v0
	v_lshlrev_b64 v[1:2], 2, v[0:1]
	v_add_nc_u32_e32 v0, s5, v0
	v_add_co_u32 v3, vcc_lo, s2, v1
	v_add_co_ci_u32_e64 v4, null, s3, v2, vcc_lo
	global_load_dword v5, v[3:4], off
	v_add_co_u32 v3, vcc_lo, s8, v1
	v_add_co_ci_u32_e64 v4, null, s9, v2, vcc_lo
	v_cmp_le_i32_e32 vcc_lo, s1, v0
	global_load_dword v6, v[3:4], off
	v_add_co_u32 v3, s0, s12, v1
	v_add_co_ci_u32_e64 v4, null, s13, v2, s0
	v_add_co_u32 v1, s0, s14, v1
	v_add_co_ci_u32_e64 v2, null, s15, v2, s0
	s_or_b32 s6, vcc_lo, s6
	s_waitcnt vmcnt(1)
	v_add_nc_u32_e32 v5, s4, v5
	global_store_dword v[3:4], v5, off
	s_waitcnt vmcnt(0)
	global_store_dword v[1:2], v6, off
	s_andn2_b32 exec_lo, exec_lo, s6
	s_cbranch_execnz .LBB104_8
.LBB104_9:
	s_inst_prefetch 0x2
	s_endpgm
	.section	.rodata,"a",@progbits
	.p2align	6, 0x0
	.amdhsa_kernel _ZN9rocsparseL35bsr2csr_block_dim_equals_one_kernelILj1024EfiiEEvT2_S1_21rocsparse_index_base_PKT0_PKT1_PKS1_S2_PS3_PS6_PS1_
		.amdhsa_group_segment_fixed_size 0
		.amdhsa_private_segment_fixed_size 0
		.amdhsa_kernarg_size 328
		.amdhsa_user_sgpr_count 6
		.amdhsa_user_sgpr_private_segment_buffer 1
		.amdhsa_user_sgpr_dispatch_ptr 0
		.amdhsa_user_sgpr_queue_ptr 0
		.amdhsa_user_sgpr_kernarg_segment_ptr 1
		.amdhsa_user_sgpr_dispatch_id 0
		.amdhsa_user_sgpr_flat_scratch_init 0
		.amdhsa_user_sgpr_private_segment_size 0
		.amdhsa_wavefront_size32 1
		.amdhsa_uses_dynamic_stack 0
		.amdhsa_system_sgpr_private_segment_wavefront_offset 0
		.amdhsa_system_sgpr_workgroup_id_x 1
		.amdhsa_system_sgpr_workgroup_id_y 0
		.amdhsa_system_sgpr_workgroup_id_z 0
		.amdhsa_system_sgpr_workgroup_info 0
		.amdhsa_system_vgpr_workitem_id 0
		.amdhsa_next_free_vgpr 7
		.amdhsa_next_free_sgpr 21
		.amdhsa_reserve_vcc 1
		.amdhsa_reserve_flat_scratch 0
		.amdhsa_float_round_mode_32 0
		.amdhsa_float_round_mode_16_64 0
		.amdhsa_float_denorm_mode_32 3
		.amdhsa_float_denorm_mode_16_64 3
		.amdhsa_dx10_clamp 1
		.amdhsa_ieee_mode 1
		.amdhsa_fp16_overflow 0
		.amdhsa_workgroup_processor_mode 1
		.amdhsa_memory_ordered 1
		.amdhsa_forward_progress 1
		.amdhsa_shared_vgpr_count 0
		.amdhsa_exception_fp_ieee_invalid_op 0
		.amdhsa_exception_fp_denorm_src 0
		.amdhsa_exception_fp_ieee_div_zero 0
		.amdhsa_exception_fp_ieee_overflow 0
		.amdhsa_exception_fp_ieee_underflow 0
		.amdhsa_exception_fp_ieee_inexact 0
		.amdhsa_exception_int_div_zero 0
	.end_amdhsa_kernel
	.section	.text._ZN9rocsparseL35bsr2csr_block_dim_equals_one_kernelILj1024EfiiEEvT2_S1_21rocsparse_index_base_PKT0_PKT1_PKS1_S2_PS3_PS6_PS1_,"axG",@progbits,_ZN9rocsparseL35bsr2csr_block_dim_equals_one_kernelILj1024EfiiEEvT2_S1_21rocsparse_index_base_PKT0_PKT1_PKS1_S2_PS3_PS6_PS1_,comdat
.Lfunc_end104:
	.size	_ZN9rocsparseL35bsr2csr_block_dim_equals_one_kernelILj1024EfiiEEvT2_S1_21rocsparse_index_base_PKT0_PKT1_PKS1_S2_PS3_PS6_PS1_, .Lfunc_end104-_ZN9rocsparseL35bsr2csr_block_dim_equals_one_kernelILj1024EfiiEEvT2_S1_21rocsparse_index_base_PKT0_PKT1_PKS1_S2_PS3_PS6_PS1_
                                        ; -- End function
	.set _ZN9rocsparseL35bsr2csr_block_dim_equals_one_kernelILj1024EfiiEEvT2_S1_21rocsparse_index_base_PKT0_PKT1_PKS1_S2_PS3_PS6_PS1_.num_vgpr, 7
	.set _ZN9rocsparseL35bsr2csr_block_dim_equals_one_kernelILj1024EfiiEEvT2_S1_21rocsparse_index_base_PKT0_PKT1_PKS1_S2_PS3_PS6_PS1_.num_agpr, 0
	.set _ZN9rocsparseL35bsr2csr_block_dim_equals_one_kernelILj1024EfiiEEvT2_S1_21rocsparse_index_base_PKT0_PKT1_PKS1_S2_PS3_PS6_PS1_.numbered_sgpr, 21
	.set _ZN9rocsparseL35bsr2csr_block_dim_equals_one_kernelILj1024EfiiEEvT2_S1_21rocsparse_index_base_PKT0_PKT1_PKS1_S2_PS3_PS6_PS1_.num_named_barrier, 0
	.set _ZN9rocsparseL35bsr2csr_block_dim_equals_one_kernelILj1024EfiiEEvT2_S1_21rocsparse_index_base_PKT0_PKT1_PKS1_S2_PS3_PS6_PS1_.private_seg_size, 0
	.set _ZN9rocsparseL35bsr2csr_block_dim_equals_one_kernelILj1024EfiiEEvT2_S1_21rocsparse_index_base_PKT0_PKT1_PKS1_S2_PS3_PS6_PS1_.uses_vcc, 1
	.set _ZN9rocsparseL35bsr2csr_block_dim_equals_one_kernelILj1024EfiiEEvT2_S1_21rocsparse_index_base_PKT0_PKT1_PKS1_S2_PS3_PS6_PS1_.uses_flat_scratch, 0
	.set _ZN9rocsparseL35bsr2csr_block_dim_equals_one_kernelILj1024EfiiEEvT2_S1_21rocsparse_index_base_PKT0_PKT1_PKS1_S2_PS3_PS6_PS1_.has_dyn_sized_stack, 0
	.set _ZN9rocsparseL35bsr2csr_block_dim_equals_one_kernelILj1024EfiiEEvT2_S1_21rocsparse_index_base_PKT0_PKT1_PKS1_S2_PS3_PS6_PS1_.has_recursion, 0
	.set _ZN9rocsparseL35bsr2csr_block_dim_equals_one_kernelILj1024EfiiEEvT2_S1_21rocsparse_index_base_PKT0_PKT1_PKS1_S2_PS3_PS6_PS1_.has_indirect_call, 0
	.section	.AMDGPU.csdata,"",@progbits
; Kernel info:
; codeLenInByte = 532
; TotalNumSgprs: 23
; NumVgprs: 7
; ScratchSize: 0
; MemoryBound: 0
; FloatMode: 240
; IeeeMode: 1
; LDSByteSize: 0 bytes/workgroup (compile time only)
; SGPRBlocks: 0
; VGPRBlocks: 0
; NumSGPRsForWavesPerEU: 23
; NumVGPRsForWavesPerEU: 7
; Occupancy: 16
; WaveLimiterHint : 0
; COMPUTE_PGM_RSRC2:SCRATCH_EN: 0
; COMPUTE_PGM_RSRC2:USER_SGPR: 6
; COMPUTE_PGM_RSRC2:TRAP_HANDLER: 0
; COMPUTE_PGM_RSRC2:TGID_X_EN: 1
; COMPUTE_PGM_RSRC2:TGID_Y_EN: 0
; COMPUTE_PGM_RSRC2:TGID_Z_EN: 0
; COMPUTE_PGM_RSRC2:TIDIG_COMP_CNT: 0
	.section	.text._ZN9rocsparseL32bsr2csr_block_per_row_2_7_kernelILj256ELj2EfiiEEv20rocsparse_direction_T3_S2_21rocsparse_index_base_PKT1_PKT2_PKS2_S2_S3_PS4_PS7_PS2_,"axG",@progbits,_ZN9rocsparseL32bsr2csr_block_per_row_2_7_kernelILj256ELj2EfiiEEv20rocsparse_direction_T3_S2_21rocsparse_index_base_PKT1_PKT2_PKS2_S2_S3_PS4_PS7_PS2_,comdat
	.globl	_ZN9rocsparseL32bsr2csr_block_per_row_2_7_kernelILj256ELj2EfiiEEv20rocsparse_direction_T3_S2_21rocsparse_index_base_PKT1_PKT2_PKS2_S2_S3_PS4_PS7_PS2_ ; -- Begin function _ZN9rocsparseL32bsr2csr_block_per_row_2_7_kernelILj256ELj2EfiiEEv20rocsparse_direction_T3_S2_21rocsparse_index_base_PKT1_PKT2_PKS2_S2_S3_PS4_PS7_PS2_
	.p2align	8
	.type	_ZN9rocsparseL32bsr2csr_block_per_row_2_7_kernelILj256ELj2EfiiEEv20rocsparse_direction_T3_S2_21rocsparse_index_base_PKT1_PKT2_PKS2_S2_S3_PS4_PS7_PS2_,@function
_ZN9rocsparseL32bsr2csr_block_per_row_2_7_kernelILj256ELj2EfiiEEv20rocsparse_direction_T3_S2_21rocsparse_index_base_PKT1_PKT2_PKS2_S2_S3_PS4_PS7_PS2_: ; @_ZN9rocsparseL32bsr2csr_block_per_row_2_7_kernelILj256ELj2EfiiEEv20rocsparse_direction_T3_S2_21rocsparse_index_base_PKT1_PKT2_PKS2_S2_S3_PS4_PS7_PS2_
; %bb.0:
	s_load_dwordx2 s[0:1], s[4:5], 0x18
	s_ashr_i32 s7, s6, 31
	s_clause 0x1
	s_load_dword s10, s[4:5], 0x2c
	s_load_dwordx2 s[2:3], s[4:5], 0x38
	s_lshl_b64 s[8:9], s[6:7], 2
	v_or_b32_e32 v1, s6, v0
	s_mov_b32 s7, exec_lo
	s_waitcnt lgkmcnt(0)
	s_add_u32 s0, s0, s8
	s_addc_u32 s1, s1, s9
	s_load_dwordx2 s[0:1], s[0:1], 0x0
	v_cmpx_eq_u32_e32 0, v1
	s_cbranch_execz .LBB105_2
; %bb.1:
	v_mov_b32_e32 v1, 0
	v_mov_b32_e32 v2, s10
	global_store_dword v1, v2, s[2:3]
.LBB105_2:
	s_or_b32 exec_lo, exec_lo, s7
	s_load_dword s11, s[4:5], 0xc
	v_and_b32_e32 v4, 1, v0
	v_mov_b32_e32 v2, 0
	v_lshrrev_b32_e32 v0, 1, v0
	v_lshl_or_b32 v1, s6, 1, v4
	v_add_nc_u32_e32 v1, 1, v1
	v_lshlrev_b64 v[6:7], 2, v[1:2]
	s_waitcnt lgkmcnt(0)
	s_sub_i32 s6, s0, s11
	s_sub_i32 s12, s1, s11
	s_lshl_b32 s7, s6, 2
	s_sub_i32 s1, s12, s6
	v_add_co_u32 v6, vcc_lo, s2, v6
	s_lshl_b32 s1, s1, 1
	v_add_nc_u32_e32 v3, s6, v0
	v_mul_lo_u32 v5, s1, v4
	s_add_i32 s1, s1, s10
	v_add_co_ci_u32_e64 v7, null, s3, v7, vcc_lo
	v_add3_u32 v1, s1, s7, v5
	s_mov_b32 s1, exec_lo
	global_store_dword v[6:7], v1, off
	v_cmpx_gt_i32_e64 s12, v3
	s_cbranch_execz .LBB105_5
; %bb.3:
	s_clause 0x4
	s_load_dwordx2 s[2:3], s[4:5], 0x20
	s_load_dwordx2 s[6:7], s[4:5], 0x30
	s_load_dword s1, s[4:5], 0x0
	s_load_dwordx2 s[8:9], s[4:5], 0x10
	s_load_dwordx2 s[4:5], s[4:5], 0x40
	v_lshlrev_b32_e32 v0, 1, v0
	v_lshlrev_b32_e32 v1, 2, v3
	s_mov_b32 s13, 0
	v_or_b32_e32 v6, v1, v4
	s_waitcnt lgkmcnt(0)
	s_cmp_eq_u32 s1, 0
	s_cselect_b32 vcc_lo, -1, 0
	s_lshl_b32 s0, s0, 2
	v_add3_u32 v0, v5, s0, v0
	s_lshl_b32 s0, s11, 2
	v_lshl_or_b32 v5, v4, 1, v1
	v_subrev_nc_u32_e32 v0, s0, v0
.LBB105_4:                              ; =>This Inner Loop Header: Depth=1
	v_ashrrev_i32_e32 v4, 31, v3
	v_cndmask_b32_e32 v1, v6, v5, vcc_lo
	v_add_nc_u32_e32 v11, 1, v5
	v_add_nc_u32_e32 v5, 0x200, v5
	v_lshlrev_b64 v[7:8], 2, v[3:4]
	v_add_nc_u32_e32 v4, 2, v6
	v_lshlrev_b64 v[9:10], 2, v[1:2]
	v_add_nc_u32_e32 v3, 0x80, v3
	v_add_nc_u32_e32 v6, 0x200, v6
	v_cndmask_b32_e32 v1, v4, v11, vcc_lo
	v_add_co_u32 v7, s0, s2, v7
	v_add_co_ci_u32_e64 v8, null, s3, v8, s0
	v_add_co_u32 v9, s0, s8, v9
	v_add_co_ci_u32_e64 v10, null, s9, v10, s0
	global_load_dword v4, v[7:8], off
	v_lshlrev_b64 v[7:8], 2, v[1:2]
	v_ashrrev_i32_e32 v1, 31, v0
	v_add_co_u32 v7, s0, s8, v7
	v_add_co_ci_u32_e64 v8, null, s9, v8, s0
	s_clause 0x1
	global_load_dword v9, v[9:10], off
	global_load_dword v10, v[7:8], off
	v_lshlrev_b64 v[7:8], 2, v[0:1]
	v_cmp_le_i32_e64 s0, s12, v3
	v_add_nc_u32_e32 v0, 0x100, v0
	v_add_co_u32 v11, s1, s4, v7
	v_add_co_ci_u32_e64 v12, null, s5, v8, s1
	v_add_co_u32 v7, s1, s6, v7
	v_add_co_ci_u32_e64 v8, null, s7, v8, s1
	s_or_b32 s13, s0, s13
	s_waitcnt vmcnt(2)
	v_subrev_nc_u32_e32 v1, s11, v4
	v_lshl_add_u32 v13, v1, 1, s10
	v_add_nc_u32_e32 v14, 1, v13
	s_waitcnt vmcnt(0)
	global_store_dwordx2 v[7:8], v[9:10], off
	global_store_dwordx2 v[11:12], v[13:14], off
	s_andn2_b32 exec_lo, exec_lo, s13
	s_cbranch_execnz .LBB105_4
.LBB105_5:
	s_endpgm
	.section	.rodata,"a",@progbits
	.p2align	6, 0x0
	.amdhsa_kernel _ZN9rocsparseL32bsr2csr_block_per_row_2_7_kernelILj256ELj2EfiiEEv20rocsparse_direction_T3_S2_21rocsparse_index_base_PKT1_PKT2_PKS2_S2_S3_PS4_PS7_PS2_
		.amdhsa_group_segment_fixed_size 0
		.amdhsa_private_segment_fixed_size 0
		.amdhsa_kernarg_size 72
		.amdhsa_user_sgpr_count 6
		.amdhsa_user_sgpr_private_segment_buffer 1
		.amdhsa_user_sgpr_dispatch_ptr 0
		.amdhsa_user_sgpr_queue_ptr 0
		.amdhsa_user_sgpr_kernarg_segment_ptr 1
		.amdhsa_user_sgpr_dispatch_id 0
		.amdhsa_user_sgpr_flat_scratch_init 0
		.amdhsa_user_sgpr_private_segment_size 0
		.amdhsa_wavefront_size32 1
		.amdhsa_uses_dynamic_stack 0
		.amdhsa_system_sgpr_private_segment_wavefront_offset 0
		.amdhsa_system_sgpr_workgroup_id_x 1
		.amdhsa_system_sgpr_workgroup_id_y 0
		.amdhsa_system_sgpr_workgroup_id_z 0
		.amdhsa_system_sgpr_workgroup_info 0
		.amdhsa_system_vgpr_workitem_id 0
		.amdhsa_next_free_vgpr 15
		.amdhsa_next_free_sgpr 14
		.amdhsa_reserve_vcc 1
		.amdhsa_reserve_flat_scratch 0
		.amdhsa_float_round_mode_32 0
		.amdhsa_float_round_mode_16_64 0
		.amdhsa_float_denorm_mode_32 3
		.amdhsa_float_denorm_mode_16_64 3
		.amdhsa_dx10_clamp 1
		.amdhsa_ieee_mode 1
		.amdhsa_fp16_overflow 0
		.amdhsa_workgroup_processor_mode 1
		.amdhsa_memory_ordered 1
		.amdhsa_forward_progress 1
		.amdhsa_shared_vgpr_count 0
		.amdhsa_exception_fp_ieee_invalid_op 0
		.amdhsa_exception_fp_denorm_src 0
		.amdhsa_exception_fp_ieee_div_zero 0
		.amdhsa_exception_fp_ieee_overflow 0
		.amdhsa_exception_fp_ieee_underflow 0
		.amdhsa_exception_fp_ieee_inexact 0
		.amdhsa_exception_int_div_zero 0
	.end_amdhsa_kernel
	.section	.text._ZN9rocsparseL32bsr2csr_block_per_row_2_7_kernelILj256ELj2EfiiEEv20rocsparse_direction_T3_S2_21rocsparse_index_base_PKT1_PKT2_PKS2_S2_S3_PS4_PS7_PS2_,"axG",@progbits,_ZN9rocsparseL32bsr2csr_block_per_row_2_7_kernelILj256ELj2EfiiEEv20rocsparse_direction_T3_S2_21rocsparse_index_base_PKT1_PKT2_PKS2_S2_S3_PS4_PS7_PS2_,comdat
.Lfunc_end105:
	.size	_ZN9rocsparseL32bsr2csr_block_per_row_2_7_kernelILj256ELj2EfiiEEv20rocsparse_direction_T3_S2_21rocsparse_index_base_PKT1_PKT2_PKS2_S2_S3_PS4_PS7_PS2_, .Lfunc_end105-_ZN9rocsparseL32bsr2csr_block_per_row_2_7_kernelILj256ELj2EfiiEEv20rocsparse_direction_T3_S2_21rocsparse_index_base_PKT1_PKT2_PKS2_S2_S3_PS4_PS7_PS2_
                                        ; -- End function
	.set _ZN9rocsparseL32bsr2csr_block_per_row_2_7_kernelILj256ELj2EfiiEEv20rocsparse_direction_T3_S2_21rocsparse_index_base_PKT1_PKT2_PKS2_S2_S3_PS4_PS7_PS2_.num_vgpr, 15
	.set _ZN9rocsparseL32bsr2csr_block_per_row_2_7_kernelILj256ELj2EfiiEEv20rocsparse_direction_T3_S2_21rocsparse_index_base_PKT1_PKT2_PKS2_S2_S3_PS4_PS7_PS2_.num_agpr, 0
	.set _ZN9rocsparseL32bsr2csr_block_per_row_2_7_kernelILj256ELj2EfiiEEv20rocsparse_direction_T3_S2_21rocsparse_index_base_PKT1_PKT2_PKS2_S2_S3_PS4_PS7_PS2_.numbered_sgpr, 14
	.set _ZN9rocsparseL32bsr2csr_block_per_row_2_7_kernelILj256ELj2EfiiEEv20rocsparse_direction_T3_S2_21rocsparse_index_base_PKT1_PKT2_PKS2_S2_S3_PS4_PS7_PS2_.num_named_barrier, 0
	.set _ZN9rocsparseL32bsr2csr_block_per_row_2_7_kernelILj256ELj2EfiiEEv20rocsparse_direction_T3_S2_21rocsparse_index_base_PKT1_PKT2_PKS2_S2_S3_PS4_PS7_PS2_.private_seg_size, 0
	.set _ZN9rocsparseL32bsr2csr_block_per_row_2_7_kernelILj256ELj2EfiiEEv20rocsparse_direction_T3_S2_21rocsparse_index_base_PKT1_PKT2_PKS2_S2_S3_PS4_PS7_PS2_.uses_vcc, 1
	.set _ZN9rocsparseL32bsr2csr_block_per_row_2_7_kernelILj256ELj2EfiiEEv20rocsparse_direction_T3_S2_21rocsparse_index_base_PKT1_PKT2_PKS2_S2_S3_PS4_PS7_PS2_.uses_flat_scratch, 0
	.set _ZN9rocsparseL32bsr2csr_block_per_row_2_7_kernelILj256ELj2EfiiEEv20rocsparse_direction_T3_S2_21rocsparse_index_base_PKT1_PKT2_PKS2_S2_S3_PS4_PS7_PS2_.has_dyn_sized_stack, 0
	.set _ZN9rocsparseL32bsr2csr_block_per_row_2_7_kernelILj256ELj2EfiiEEv20rocsparse_direction_T3_S2_21rocsparse_index_base_PKT1_PKT2_PKS2_S2_S3_PS4_PS7_PS2_.has_recursion, 0
	.set _ZN9rocsparseL32bsr2csr_block_per_row_2_7_kernelILj256ELj2EfiiEEv20rocsparse_direction_T3_S2_21rocsparse_index_base_PKT1_PKT2_PKS2_S2_S3_PS4_PS7_PS2_.has_indirect_call, 0
	.section	.AMDGPU.csdata,"",@progbits
; Kernel info:
; codeLenInByte = 580
; TotalNumSgprs: 16
; NumVgprs: 15
; ScratchSize: 0
; MemoryBound: 0
; FloatMode: 240
; IeeeMode: 1
; LDSByteSize: 0 bytes/workgroup (compile time only)
; SGPRBlocks: 0
; VGPRBlocks: 1
; NumSGPRsForWavesPerEU: 16
; NumVGPRsForWavesPerEU: 15
; Occupancy: 16
; WaveLimiterHint : 0
; COMPUTE_PGM_RSRC2:SCRATCH_EN: 0
; COMPUTE_PGM_RSRC2:USER_SGPR: 6
; COMPUTE_PGM_RSRC2:TRAP_HANDLER: 0
; COMPUTE_PGM_RSRC2:TGID_X_EN: 1
; COMPUTE_PGM_RSRC2:TGID_Y_EN: 0
; COMPUTE_PGM_RSRC2:TGID_Z_EN: 0
; COMPUTE_PGM_RSRC2:TIDIG_COMP_CNT: 0
	.section	.text._ZN9rocsparseL32bsr2csr_block_per_row_2_7_kernelILj256ELj3EfiiEEv20rocsparse_direction_T3_S2_21rocsparse_index_base_PKT1_PKT2_PKS2_S2_S3_PS4_PS7_PS2_,"axG",@progbits,_ZN9rocsparseL32bsr2csr_block_per_row_2_7_kernelILj256ELj3EfiiEEv20rocsparse_direction_T3_S2_21rocsparse_index_base_PKT1_PKT2_PKS2_S2_S3_PS4_PS7_PS2_,comdat
	.globl	_ZN9rocsparseL32bsr2csr_block_per_row_2_7_kernelILj256ELj3EfiiEEv20rocsparse_direction_T3_S2_21rocsparse_index_base_PKT1_PKT2_PKS2_S2_S3_PS4_PS7_PS2_ ; -- Begin function _ZN9rocsparseL32bsr2csr_block_per_row_2_7_kernelILj256ELj3EfiiEEv20rocsparse_direction_T3_S2_21rocsparse_index_base_PKT1_PKT2_PKS2_S2_S3_PS4_PS7_PS2_
	.p2align	8
	.type	_ZN9rocsparseL32bsr2csr_block_per_row_2_7_kernelILj256ELj3EfiiEEv20rocsparse_direction_T3_S2_21rocsparse_index_base_PKT1_PKT2_PKS2_S2_S3_PS4_PS7_PS2_,@function
_ZN9rocsparseL32bsr2csr_block_per_row_2_7_kernelILj256ELj3EfiiEEv20rocsparse_direction_T3_S2_21rocsparse_index_base_PKT1_PKT2_PKS2_S2_S3_PS4_PS7_PS2_: ; @_ZN9rocsparseL32bsr2csr_block_per_row_2_7_kernelILj256ELj3EfiiEEv20rocsparse_direction_T3_S2_21rocsparse_index_base_PKT1_PKT2_PKS2_S2_S3_PS4_PS7_PS2_
; %bb.0:
	s_clause 0x2
	s_load_dwordx2 s[8:9], s[4:5], 0x18
	s_load_dword s2, s[4:5], 0x2c
	s_load_dwordx2 s[0:1], s[4:5], 0x38
	s_ashr_i32 s7, s6, 31
	v_or_b32_e32 v1, s6, v0
	s_lshl_b64 s[10:11], s[6:7], 2
	s_mov_b32 s3, exec_lo
	s_waitcnt lgkmcnt(0)
	s_add_u32 s8, s8, s10
	s_addc_u32 s9, s9, s11
	v_cmpx_eq_u32_e32 0, v1
	s_cbranch_execz .LBB106_2
; %bb.1:
	v_mov_b32_e32 v1, 0
	v_mov_b32_e32 v2, s2
	global_store_dword v1, v2, s[0:1]
.LBB106_2:
	s_or_b32 exec_lo, exec_lo, s3
	v_and_b32_e32 v3, 3, v0
	s_mov_b32 s3, exec_lo
	v_cmpx_ne_u32_e32 3, v3
	s_cbranch_execz .LBB106_6
; %bb.3:
	s_load_dwordx2 s[12:13], s[8:9], 0x0
	s_load_dword s3, s[4:5], 0xc
	s_mul_i32 s6, s6, 3
	v_mov_b32_e32 v2, 0
	v_add3_u32 v1, v3, s6, 1
	v_lshrrev_b32_e32 v5, 2, v0
	v_lshlrev_b64 v[6:7], 2, v[1:2]
	v_add_co_u32 v6, vcc_lo, s0, v6
	v_add_co_ci_u32_e64 v7, null, s1, v7, vcc_lo
	s_waitcnt lgkmcnt(0)
	s_sub_i32 s7, s12, s3
	s_sub_i32 s13, s13, s3
	v_add_nc_u32_e32 v0, s7, v5
	s_sub_i32 s8, s13, s7
	s_mul_i32 s6, s7, 9
	s_mul_i32 s8, s8, 3
	v_mul_lo_u32 v4, s8, v3
	s_add_i32 s8, s8, s2
	v_cmp_gt_i32_e32 vcc_lo, s13, v0
	v_add3_u32 v1, s8, s6, v4
	global_store_dword v[6:7], v1, off
	s_and_b32 exec_lo, exec_lo, vcc_lo
	s_cbranch_execz .LBB106_6
; %bb.4:
	s_clause 0x3
	s_load_dwordx2 s[6:7], s[4:5], 0x20
	s_load_dwordx2 s[8:9], s[4:5], 0x30
	s_load_dword s0, s[4:5], 0x0
	s_load_dwordx2 s[10:11], s[4:5], 0x10
	v_add_nc_u32_e32 v1, s12, v5
	s_load_dwordx2 s[4:5], s[4:5], 0x40
	v_mul_u32_u24_e32 v5, 3, v5
	s_mul_i32 s1, s12, 9
	s_mov_b32 s12, 0
	v_lshl_add_u32 v1, v1, 3, v1
	s_mov_b32 s14, 0
	v_add3_u32 v5, v4, s1, v5
	s_mul_i32 s1, s3, 9
	v_mad_u32_u24 v1, v3, 3, v1
	v_mad_u64_u32 v[3:4], null, v0, 9, v[3:4]
	v_subrev_nc_u32_e32 v4, s1, v5
	v_subrev_nc_u32_e32 v6, s1, v1
	s_waitcnt lgkmcnt(0)
	s_cmp_eq_u32 s0, 0
	s_cselect_b32 vcc_lo, -1, 0
.LBB106_5:                              ; =>This Inner Loop Header: Depth=1
	v_ashrrev_i32_e32 v1, 31, v0
	v_add_nc_u32_e32 v5, s14, v3
	v_add_nc_u32_e32 v9, s14, v6
	s_addk_i32 s14, 0x240
	v_lshlrev_b64 v[7:8], 2, v[0:1]
	v_add_nc_u32_e32 v12, 3, v5
	v_cndmask_b32_e32 v1, v5, v9, vcc_lo
	v_add_nc_u32_e32 v11, 1, v9
	v_add_nc_u32_e32 v13, 2, v9
	;; [unrolled: 1-line block ×3, first 2 shown]
	v_add_co_u32 v7, s0, s6, v7
	v_add_co_ci_u32_e64 v8, null, s7, v8, s0
	v_lshlrev_b64 v[9:10], 2, v[1:2]
	v_cndmask_b32_e32 v1, v12, v11, vcc_lo
	v_add_nc_u32_e32 v0, 64, v0
	global_load_dword v14, v[7:8], off
	v_lshlrev_b64 v[11:12], 2, v[1:2]
	v_cndmask_b32_e32 v1, v5, v13, vcc_lo
	v_add_co_u32 v7, s0, s10, v9
	v_add_co_ci_u32_e64 v8, null, s11, v10, s0
	v_lshlrev_b64 v[9:10], 2, v[1:2]
	v_add_co_u32 v11, s0, s10, v11
	v_add_co_ci_u32_e64 v12, null, s11, v12, s0
	v_ashrrev_i32_e32 v5, 31, v4
	v_add_co_u32 v9, s0, s10, v9
	v_add_co_ci_u32_e64 v10, null, s11, v10, s0
	s_clause 0x2
	global_load_dword v7, v[7:8], off
	global_load_dword v8, v[11:12], off
	;; [unrolled: 1-line block ×3, first 2 shown]
	v_lshlrev_b64 v[12:13], 2, v[4:5]
	v_cmp_le_i32_e64 s0, s13, v0
	v_add_nc_u32_e32 v4, 0xc0, v4
	s_or_b32 s12, s0, s12
	s_waitcnt vmcnt(3)
	v_subrev_nc_u32_e32 v1, s3, v14
	v_add_co_u32 v14, s1, s4, v12
	v_add_co_ci_u32_e64 v15, null, s5, v13, s1
	v_mad_u64_u32 v[10:11], null, v1, 3, s[2:3]
	v_add_co_u32 v16, s1, s8, v12
	v_add_co_ci_u32_e64 v17, null, s9, v13, s1
	v_add_nc_u32_e32 v11, 1, v10
	v_add_nc_u32_e32 v12, 2, v10
	s_waitcnt vmcnt(0)
	global_store_dwordx3 v[16:17], v[7:9], off
	global_store_dwordx3 v[14:15], v[10:12], off
	s_andn2_b32 exec_lo, exec_lo, s12
	s_cbranch_execnz .LBB106_5
.LBB106_6:
	s_endpgm
	.section	.rodata,"a",@progbits
	.p2align	6, 0x0
	.amdhsa_kernel _ZN9rocsparseL32bsr2csr_block_per_row_2_7_kernelILj256ELj3EfiiEEv20rocsparse_direction_T3_S2_21rocsparse_index_base_PKT1_PKT2_PKS2_S2_S3_PS4_PS7_PS2_
		.amdhsa_group_segment_fixed_size 0
		.amdhsa_private_segment_fixed_size 0
		.amdhsa_kernarg_size 72
		.amdhsa_user_sgpr_count 6
		.amdhsa_user_sgpr_private_segment_buffer 1
		.amdhsa_user_sgpr_dispatch_ptr 0
		.amdhsa_user_sgpr_queue_ptr 0
		.amdhsa_user_sgpr_kernarg_segment_ptr 1
		.amdhsa_user_sgpr_dispatch_id 0
		.amdhsa_user_sgpr_flat_scratch_init 0
		.amdhsa_user_sgpr_private_segment_size 0
		.amdhsa_wavefront_size32 1
		.amdhsa_uses_dynamic_stack 0
		.amdhsa_system_sgpr_private_segment_wavefront_offset 0
		.amdhsa_system_sgpr_workgroup_id_x 1
		.amdhsa_system_sgpr_workgroup_id_y 0
		.amdhsa_system_sgpr_workgroup_id_z 0
		.amdhsa_system_sgpr_workgroup_info 0
		.amdhsa_system_vgpr_workitem_id 0
		.amdhsa_next_free_vgpr 18
		.amdhsa_next_free_sgpr 15
		.amdhsa_reserve_vcc 1
		.amdhsa_reserve_flat_scratch 0
		.amdhsa_float_round_mode_32 0
		.amdhsa_float_round_mode_16_64 0
		.amdhsa_float_denorm_mode_32 3
		.amdhsa_float_denorm_mode_16_64 3
		.amdhsa_dx10_clamp 1
		.amdhsa_ieee_mode 1
		.amdhsa_fp16_overflow 0
		.amdhsa_workgroup_processor_mode 1
		.amdhsa_memory_ordered 1
		.amdhsa_forward_progress 1
		.amdhsa_shared_vgpr_count 0
		.amdhsa_exception_fp_ieee_invalid_op 0
		.amdhsa_exception_fp_denorm_src 0
		.amdhsa_exception_fp_ieee_div_zero 0
		.amdhsa_exception_fp_ieee_overflow 0
		.amdhsa_exception_fp_ieee_underflow 0
		.amdhsa_exception_fp_ieee_inexact 0
		.amdhsa_exception_int_div_zero 0
	.end_amdhsa_kernel
	.section	.text._ZN9rocsparseL32bsr2csr_block_per_row_2_7_kernelILj256ELj3EfiiEEv20rocsparse_direction_T3_S2_21rocsparse_index_base_PKT1_PKT2_PKS2_S2_S3_PS4_PS7_PS2_,"axG",@progbits,_ZN9rocsparseL32bsr2csr_block_per_row_2_7_kernelILj256ELj3EfiiEEv20rocsparse_direction_T3_S2_21rocsparse_index_base_PKT1_PKT2_PKS2_S2_S3_PS4_PS7_PS2_,comdat
.Lfunc_end106:
	.size	_ZN9rocsparseL32bsr2csr_block_per_row_2_7_kernelILj256ELj3EfiiEEv20rocsparse_direction_T3_S2_21rocsparse_index_base_PKT1_PKT2_PKS2_S2_S3_PS4_PS7_PS2_, .Lfunc_end106-_ZN9rocsparseL32bsr2csr_block_per_row_2_7_kernelILj256ELj3EfiiEEv20rocsparse_direction_T3_S2_21rocsparse_index_base_PKT1_PKT2_PKS2_S2_S3_PS4_PS7_PS2_
                                        ; -- End function
	.set _ZN9rocsparseL32bsr2csr_block_per_row_2_7_kernelILj256ELj3EfiiEEv20rocsparse_direction_T3_S2_21rocsparse_index_base_PKT1_PKT2_PKS2_S2_S3_PS4_PS7_PS2_.num_vgpr, 18
	.set _ZN9rocsparseL32bsr2csr_block_per_row_2_7_kernelILj256ELj3EfiiEEv20rocsparse_direction_T3_S2_21rocsparse_index_base_PKT1_PKT2_PKS2_S2_S3_PS4_PS7_PS2_.num_agpr, 0
	.set _ZN9rocsparseL32bsr2csr_block_per_row_2_7_kernelILj256ELj3EfiiEEv20rocsparse_direction_T3_S2_21rocsparse_index_base_PKT1_PKT2_PKS2_S2_S3_PS4_PS7_PS2_.numbered_sgpr, 15
	.set _ZN9rocsparseL32bsr2csr_block_per_row_2_7_kernelILj256ELj3EfiiEEv20rocsparse_direction_T3_S2_21rocsparse_index_base_PKT1_PKT2_PKS2_S2_S3_PS4_PS7_PS2_.num_named_barrier, 0
	.set _ZN9rocsparseL32bsr2csr_block_per_row_2_7_kernelILj256ELj3EfiiEEv20rocsparse_direction_T3_S2_21rocsparse_index_base_PKT1_PKT2_PKS2_S2_S3_PS4_PS7_PS2_.private_seg_size, 0
	.set _ZN9rocsparseL32bsr2csr_block_per_row_2_7_kernelILj256ELj3EfiiEEv20rocsparse_direction_T3_S2_21rocsparse_index_base_PKT1_PKT2_PKS2_S2_S3_PS4_PS7_PS2_.uses_vcc, 1
	.set _ZN9rocsparseL32bsr2csr_block_per_row_2_7_kernelILj256ELj3EfiiEEv20rocsparse_direction_T3_S2_21rocsparse_index_base_PKT1_PKT2_PKS2_S2_S3_PS4_PS7_PS2_.uses_flat_scratch, 0
	.set _ZN9rocsparseL32bsr2csr_block_per_row_2_7_kernelILj256ELj3EfiiEEv20rocsparse_direction_T3_S2_21rocsparse_index_base_PKT1_PKT2_PKS2_S2_S3_PS4_PS7_PS2_.has_dyn_sized_stack, 0
	.set _ZN9rocsparseL32bsr2csr_block_per_row_2_7_kernelILj256ELj3EfiiEEv20rocsparse_direction_T3_S2_21rocsparse_index_base_PKT1_PKT2_PKS2_S2_S3_PS4_PS7_PS2_.has_recursion, 0
	.set _ZN9rocsparseL32bsr2csr_block_per_row_2_7_kernelILj256ELj3EfiiEEv20rocsparse_direction_T3_S2_21rocsparse_index_base_PKT1_PKT2_PKS2_S2_S3_PS4_PS7_PS2_.has_indirect_call, 0
	.section	.AMDGPU.csdata,"",@progbits
; Kernel info:
; codeLenInByte = 648
; TotalNumSgprs: 17
; NumVgprs: 18
; ScratchSize: 0
; MemoryBound: 0
; FloatMode: 240
; IeeeMode: 1
; LDSByteSize: 0 bytes/workgroup (compile time only)
; SGPRBlocks: 0
; VGPRBlocks: 2
; NumSGPRsForWavesPerEU: 17
; NumVGPRsForWavesPerEU: 18
; Occupancy: 16
; WaveLimiterHint : 1
; COMPUTE_PGM_RSRC2:SCRATCH_EN: 0
; COMPUTE_PGM_RSRC2:USER_SGPR: 6
; COMPUTE_PGM_RSRC2:TRAP_HANDLER: 0
; COMPUTE_PGM_RSRC2:TGID_X_EN: 1
; COMPUTE_PGM_RSRC2:TGID_Y_EN: 0
; COMPUTE_PGM_RSRC2:TGID_Z_EN: 0
; COMPUTE_PGM_RSRC2:TIDIG_COMP_CNT: 0
	.section	.text._ZN9rocsparseL32bsr2csr_block_per_row_2_7_kernelILj256ELj4EfiiEEv20rocsparse_direction_T3_S2_21rocsparse_index_base_PKT1_PKT2_PKS2_S2_S3_PS4_PS7_PS2_,"axG",@progbits,_ZN9rocsparseL32bsr2csr_block_per_row_2_7_kernelILj256ELj4EfiiEEv20rocsparse_direction_T3_S2_21rocsparse_index_base_PKT1_PKT2_PKS2_S2_S3_PS4_PS7_PS2_,comdat
	.globl	_ZN9rocsparseL32bsr2csr_block_per_row_2_7_kernelILj256ELj4EfiiEEv20rocsparse_direction_T3_S2_21rocsparse_index_base_PKT1_PKT2_PKS2_S2_S3_PS4_PS7_PS2_ ; -- Begin function _ZN9rocsparseL32bsr2csr_block_per_row_2_7_kernelILj256ELj4EfiiEEv20rocsparse_direction_T3_S2_21rocsparse_index_base_PKT1_PKT2_PKS2_S2_S3_PS4_PS7_PS2_
	.p2align	8
	.type	_ZN9rocsparseL32bsr2csr_block_per_row_2_7_kernelILj256ELj4EfiiEEv20rocsparse_direction_T3_S2_21rocsparse_index_base_PKT1_PKT2_PKS2_S2_S3_PS4_PS7_PS2_,@function
_ZN9rocsparseL32bsr2csr_block_per_row_2_7_kernelILj256ELj4EfiiEEv20rocsparse_direction_T3_S2_21rocsparse_index_base_PKT1_PKT2_PKS2_S2_S3_PS4_PS7_PS2_: ; @_ZN9rocsparseL32bsr2csr_block_per_row_2_7_kernelILj256ELj4EfiiEEv20rocsparse_direction_T3_S2_21rocsparse_index_base_PKT1_PKT2_PKS2_S2_S3_PS4_PS7_PS2_
; %bb.0:
	s_load_dwordx2 s[0:1], s[4:5], 0x18
	s_ashr_i32 s7, s6, 31
	s_clause 0x1
	s_load_dword s10, s[4:5], 0x2c
	s_load_dwordx2 s[2:3], s[4:5], 0x38
	s_lshl_b64 s[8:9], s[6:7], 2
	v_or_b32_e32 v1, s6, v0
	s_mov_b32 s7, exec_lo
	s_waitcnt lgkmcnt(0)
	s_add_u32 s0, s0, s8
	s_addc_u32 s1, s1, s9
	s_load_dwordx2 s[0:1], s[0:1], 0x0
	v_cmpx_eq_u32_e32 0, v1
	s_cbranch_execz .LBB107_2
; %bb.1:
	v_mov_b32_e32 v1, 0
	v_mov_b32_e32 v2, s10
	global_store_dword v1, v2, s[2:3]
.LBB107_2:
	s_or_b32 exec_lo, exec_lo, s7
	s_load_dword s11, s[4:5], 0xc
	v_and_b32_e32 v5, 3, v0
	v_mov_b32_e32 v2, 0
	v_lshrrev_b32_e32 v4, 2, v0
	v_lshl_or_b32 v1, s6, 2, v5
	v_add_nc_u32_e32 v1, 1, v1
	v_lshlrev_b64 v[6:7], 2, v[1:2]
	s_waitcnt lgkmcnt(0)
	s_sub_i32 s6, s0, s11
	s_sub_i32 s12, s1, s11
	s_lshl_b32 s7, s6, 4
	s_sub_i32 s1, s12, s6
	v_add_co_u32 v6, vcc_lo, s2, v6
	s_lshl_b32 s1, s1, 2
	v_add_nc_u32_e32 v0, s6, v4
	v_mul_lo_u32 v3, s1, v5
	s_add_i32 s1, s1, s10
	v_add_co_ci_u32_e64 v7, null, s3, v7, vcc_lo
	v_add3_u32 v1, s1, s7, v3
	s_mov_b32 s1, exec_lo
	global_store_dword v[6:7], v1, off
	v_cmpx_gt_i32_e64 s12, v0
	s_cbranch_execz .LBB107_5
; %bb.3:
	s_clause 0x4
	s_load_dwordx2 s[2:3], s[4:5], 0x20
	s_load_dwordx2 s[6:7], s[4:5], 0x30
	s_load_dword s1, s[4:5], 0x0
	s_load_dwordx2 s[8:9], s[4:5], 0x10
	s_load_dwordx2 s[4:5], s[4:5], 0x40
	v_lshlrev_b32_e32 v1, 2, v4
	v_lshlrev_b32_e32 v6, 2, v5
	;; [unrolled: 1-line block ×3, first 2 shown]
	s_mov_b32 s13, 0
	s_waitcnt lgkmcnt(0)
	s_cmp_eq_u32 s1, 0
	s_cselect_b32 vcc_lo, -1, 0
	s_lshl_b32 s0, s0, 4
	v_add3_u32 v1, v3, s0, v1
	s_lshl_b32 s0, s11, 4
	v_subrev_nc_u32_e32 v3, s0, v1
.LBB107_4:                              ; =>This Inner Loop Header: Depth=1
	v_ashrrev_i32_e32 v1, 31, v0
	v_add_nc_u32_e32 v4, v5, v7
	v_add_nc_u32_e32 v10, v6, v7
	;; [unrolled: 1-line block ×3, first 2 shown]
	v_lshlrev_b64 v[8:9], 2, v[0:1]
	v_add_nc_u32_e32 v13, 4, v4
	v_cndmask_b32_e32 v1, v4, v10, vcc_lo
	v_add_nc_u32_e32 v12, 1, v10
	v_add_nc_u32_e32 v14, 2, v10
	;; [unrolled: 1-line block ×4, first 2 shown]
	v_lshlrev_b64 v[10:11], 2, v[1:2]
	v_cndmask_b32_e32 v1, v13, v12, vcc_lo
	v_add_co_u32 v8, s0, s2, v8
	v_add_co_ci_u32_e64 v9, null, s3, v9, s0
	v_add_nc_u32_e32 v4, 12, v4
	v_lshlrev_b64 v[12:13], 2, v[1:2]
	v_cndmask_b32_e32 v1, v15, v14, vcc_lo
	global_load_dword v18, v[8:9], off
	v_add_co_u32 v8, s0, s8, v10
	v_add_co_ci_u32_e64 v9, null, s9, v11, s0
	v_lshlrev_b64 v[10:11], 2, v[1:2]
	v_cndmask_b32_e32 v1, v4, v16, vcc_lo
	v_add_co_u32 v12, s0, s8, v12
	v_add_co_ci_u32_e64 v13, null, s9, v13, s0
	v_lshlrev_b64 v[14:15], 2, v[1:2]
	v_add_co_u32 v10, s0, s8, v10
	v_add_co_ci_u32_e64 v11, null, s9, v11, s0
	v_ashrrev_i32_e32 v4, 31, v3
	v_add_co_u32 v14, s0, s8, v14
	v_add_co_ci_u32_e64 v15, null, s9, v15, s0
	s_clause 0x3
	global_load_dword v8, v[8:9], off
	global_load_dword v9, v[12:13], off
	;; [unrolled: 1-line block ×4, first 2 shown]
	v_lshlrev_b64 v[12:13], 2, v[3:4]
	v_add_nc_u32_e32 v0, 64, v0
	v_add_nc_u32_e32 v3, 0x100, v3
	v_add_co_u32 v16, s1, s4, v12
	v_add_co_ci_u32_e64 v17, null, s5, v13, s1
	v_cmp_le_i32_e64 s0, s12, v0
	s_or_b32 s13, s0, s13
	s_waitcnt vmcnt(4)
	v_subrev_nc_u32_e32 v1, s11, v18
	v_add_co_u32 v18, s1, s6, v12
	v_add_co_ci_u32_e64 v19, null, s7, v13, s1
	v_lshl_add_u32 v12, v1, 2, s10
	v_add_nc_u32_e32 v13, 1, v12
	v_add_nc_u32_e32 v14, 2, v12
	;; [unrolled: 1-line block ×3, first 2 shown]
	global_store_dwordx4 v[16:17], v[12:15], off
	s_waitcnt vmcnt(0)
	global_store_dwordx4 v[18:19], v[8:11], off
	s_andn2_b32 exec_lo, exec_lo, s13
	s_cbranch_execnz .LBB107_4
.LBB107_5:
	s_endpgm
	.section	.rodata,"a",@progbits
	.p2align	6, 0x0
	.amdhsa_kernel _ZN9rocsparseL32bsr2csr_block_per_row_2_7_kernelILj256ELj4EfiiEEv20rocsparse_direction_T3_S2_21rocsparse_index_base_PKT1_PKT2_PKS2_S2_S3_PS4_PS7_PS2_
		.amdhsa_group_segment_fixed_size 0
		.amdhsa_private_segment_fixed_size 0
		.amdhsa_kernarg_size 72
		.amdhsa_user_sgpr_count 6
		.amdhsa_user_sgpr_private_segment_buffer 1
		.amdhsa_user_sgpr_dispatch_ptr 0
		.amdhsa_user_sgpr_queue_ptr 0
		.amdhsa_user_sgpr_kernarg_segment_ptr 1
		.amdhsa_user_sgpr_dispatch_id 0
		.amdhsa_user_sgpr_flat_scratch_init 0
		.amdhsa_user_sgpr_private_segment_size 0
		.amdhsa_wavefront_size32 1
		.amdhsa_uses_dynamic_stack 0
		.amdhsa_system_sgpr_private_segment_wavefront_offset 0
		.amdhsa_system_sgpr_workgroup_id_x 1
		.amdhsa_system_sgpr_workgroup_id_y 0
		.amdhsa_system_sgpr_workgroup_id_z 0
		.amdhsa_system_sgpr_workgroup_info 0
		.amdhsa_system_vgpr_workitem_id 0
		.amdhsa_next_free_vgpr 20
		.amdhsa_next_free_sgpr 14
		.amdhsa_reserve_vcc 1
		.amdhsa_reserve_flat_scratch 0
		.amdhsa_float_round_mode_32 0
		.amdhsa_float_round_mode_16_64 0
		.amdhsa_float_denorm_mode_32 3
		.amdhsa_float_denorm_mode_16_64 3
		.amdhsa_dx10_clamp 1
		.amdhsa_ieee_mode 1
		.amdhsa_fp16_overflow 0
		.amdhsa_workgroup_processor_mode 1
		.amdhsa_memory_ordered 1
		.amdhsa_forward_progress 1
		.amdhsa_shared_vgpr_count 0
		.amdhsa_exception_fp_ieee_invalid_op 0
		.amdhsa_exception_fp_denorm_src 0
		.amdhsa_exception_fp_ieee_div_zero 0
		.amdhsa_exception_fp_ieee_overflow 0
		.amdhsa_exception_fp_ieee_underflow 0
		.amdhsa_exception_fp_ieee_inexact 0
		.amdhsa_exception_int_div_zero 0
	.end_amdhsa_kernel
	.section	.text._ZN9rocsparseL32bsr2csr_block_per_row_2_7_kernelILj256ELj4EfiiEEv20rocsparse_direction_T3_S2_21rocsparse_index_base_PKT1_PKT2_PKS2_S2_S3_PS4_PS7_PS2_,"axG",@progbits,_ZN9rocsparseL32bsr2csr_block_per_row_2_7_kernelILj256ELj4EfiiEEv20rocsparse_direction_T3_S2_21rocsparse_index_base_PKT1_PKT2_PKS2_S2_S3_PS4_PS7_PS2_,comdat
.Lfunc_end107:
	.size	_ZN9rocsparseL32bsr2csr_block_per_row_2_7_kernelILj256ELj4EfiiEEv20rocsparse_direction_T3_S2_21rocsparse_index_base_PKT1_PKT2_PKS2_S2_S3_PS4_PS7_PS2_, .Lfunc_end107-_ZN9rocsparseL32bsr2csr_block_per_row_2_7_kernelILj256ELj4EfiiEEv20rocsparse_direction_T3_S2_21rocsparse_index_base_PKT1_PKT2_PKS2_S2_S3_PS4_PS7_PS2_
                                        ; -- End function
	.set _ZN9rocsparseL32bsr2csr_block_per_row_2_7_kernelILj256ELj4EfiiEEv20rocsparse_direction_T3_S2_21rocsparse_index_base_PKT1_PKT2_PKS2_S2_S3_PS4_PS7_PS2_.num_vgpr, 20
	.set _ZN9rocsparseL32bsr2csr_block_per_row_2_7_kernelILj256ELj4EfiiEEv20rocsparse_direction_T3_S2_21rocsparse_index_base_PKT1_PKT2_PKS2_S2_S3_PS4_PS7_PS2_.num_agpr, 0
	.set _ZN9rocsparseL32bsr2csr_block_per_row_2_7_kernelILj256ELj4EfiiEEv20rocsparse_direction_T3_S2_21rocsparse_index_base_PKT1_PKT2_PKS2_S2_S3_PS4_PS7_PS2_.numbered_sgpr, 14
	.set _ZN9rocsparseL32bsr2csr_block_per_row_2_7_kernelILj256ELj4EfiiEEv20rocsparse_direction_T3_S2_21rocsparse_index_base_PKT1_PKT2_PKS2_S2_S3_PS4_PS7_PS2_.num_named_barrier, 0
	.set _ZN9rocsparseL32bsr2csr_block_per_row_2_7_kernelILj256ELj4EfiiEEv20rocsparse_direction_T3_S2_21rocsparse_index_base_PKT1_PKT2_PKS2_S2_S3_PS4_PS7_PS2_.private_seg_size, 0
	.set _ZN9rocsparseL32bsr2csr_block_per_row_2_7_kernelILj256ELj4EfiiEEv20rocsparse_direction_T3_S2_21rocsparse_index_base_PKT1_PKT2_PKS2_S2_S3_PS4_PS7_PS2_.uses_vcc, 1
	.set _ZN9rocsparseL32bsr2csr_block_per_row_2_7_kernelILj256ELj4EfiiEEv20rocsparse_direction_T3_S2_21rocsparse_index_base_PKT1_PKT2_PKS2_S2_S3_PS4_PS7_PS2_.uses_flat_scratch, 0
	.set _ZN9rocsparseL32bsr2csr_block_per_row_2_7_kernelILj256ELj4EfiiEEv20rocsparse_direction_T3_S2_21rocsparse_index_base_PKT1_PKT2_PKS2_S2_S3_PS4_PS7_PS2_.has_dyn_sized_stack, 0
	.set _ZN9rocsparseL32bsr2csr_block_per_row_2_7_kernelILj256ELj4EfiiEEv20rocsparse_direction_T3_S2_21rocsparse_index_base_PKT1_PKT2_PKS2_S2_S3_PS4_PS7_PS2_.has_recursion, 0
	.set _ZN9rocsparseL32bsr2csr_block_per_row_2_7_kernelILj256ELj4EfiiEEv20rocsparse_direction_T3_S2_21rocsparse_index_base_PKT1_PKT2_PKS2_S2_S3_PS4_PS7_PS2_.has_indirect_call, 0
	.section	.AMDGPU.csdata,"",@progbits
; Kernel info:
; codeLenInByte = 664
; TotalNumSgprs: 16
; NumVgprs: 20
; ScratchSize: 0
; MemoryBound: 0
; FloatMode: 240
; IeeeMode: 1
; LDSByteSize: 0 bytes/workgroup (compile time only)
; SGPRBlocks: 0
; VGPRBlocks: 2
; NumSGPRsForWavesPerEU: 16
; NumVGPRsForWavesPerEU: 20
; Occupancy: 16
; WaveLimiterHint : 0
; COMPUTE_PGM_RSRC2:SCRATCH_EN: 0
; COMPUTE_PGM_RSRC2:USER_SGPR: 6
; COMPUTE_PGM_RSRC2:TRAP_HANDLER: 0
; COMPUTE_PGM_RSRC2:TGID_X_EN: 1
; COMPUTE_PGM_RSRC2:TGID_Y_EN: 0
; COMPUTE_PGM_RSRC2:TGID_Z_EN: 0
; COMPUTE_PGM_RSRC2:TIDIG_COMP_CNT: 0
	.section	.text._ZN9rocsparseL32bsr2csr_block_per_row_2_7_kernelILj256ELj5EfiiEEv20rocsparse_direction_T3_S2_21rocsparse_index_base_PKT1_PKT2_PKS2_S2_S3_PS4_PS7_PS2_,"axG",@progbits,_ZN9rocsparseL32bsr2csr_block_per_row_2_7_kernelILj256ELj5EfiiEEv20rocsparse_direction_T3_S2_21rocsparse_index_base_PKT1_PKT2_PKS2_S2_S3_PS4_PS7_PS2_,comdat
	.globl	_ZN9rocsparseL32bsr2csr_block_per_row_2_7_kernelILj256ELj5EfiiEEv20rocsparse_direction_T3_S2_21rocsparse_index_base_PKT1_PKT2_PKS2_S2_S3_PS4_PS7_PS2_ ; -- Begin function _ZN9rocsparseL32bsr2csr_block_per_row_2_7_kernelILj256ELj5EfiiEEv20rocsparse_direction_T3_S2_21rocsparse_index_base_PKT1_PKT2_PKS2_S2_S3_PS4_PS7_PS2_
	.p2align	8
	.type	_ZN9rocsparseL32bsr2csr_block_per_row_2_7_kernelILj256ELj5EfiiEEv20rocsparse_direction_T3_S2_21rocsparse_index_base_PKT1_PKT2_PKS2_S2_S3_PS4_PS7_PS2_,@function
_ZN9rocsparseL32bsr2csr_block_per_row_2_7_kernelILj256ELj5EfiiEEv20rocsparse_direction_T3_S2_21rocsparse_index_base_PKT1_PKT2_PKS2_S2_S3_PS4_PS7_PS2_: ; @_ZN9rocsparseL32bsr2csr_block_per_row_2_7_kernelILj256ELj5EfiiEEv20rocsparse_direction_T3_S2_21rocsparse_index_base_PKT1_PKT2_PKS2_S2_S3_PS4_PS7_PS2_
; %bb.0:
	s_clause 0x2
	s_load_dwordx2 s[8:9], s[4:5], 0x18
	s_load_dword s2, s[4:5], 0x2c
	s_load_dwordx2 s[0:1], s[4:5], 0x38
	s_ashr_i32 s7, s6, 31
	v_or_b32_e32 v1, s6, v0
	s_lshl_b64 s[10:11], s[6:7], 2
	s_mov_b32 s3, exec_lo
	s_waitcnt lgkmcnt(0)
	s_add_u32 s8, s8, s10
	s_addc_u32 s9, s9, s11
	v_cmpx_eq_u32_e32 0, v1
	s_cbranch_execz .LBB108_2
; %bb.1:
	v_mov_b32_e32 v1, 0
	v_mov_b32_e32 v2, s2
	global_store_dword v1, v2, s[0:1]
.LBB108_2:
	s_or_b32 exec_lo, exec_lo, s3
	v_and_b32_e32 v3, 7, v0
	s_mov_b32 s3, exec_lo
	v_cmpx_gt_u32_e32 5, v3
	s_cbranch_execz .LBB108_6
; %bb.3:
	s_load_dwordx2 s[12:13], s[8:9], 0x0
	s_load_dword s3, s[4:5], 0xc
	s_mul_i32 s6, s6, 5
	v_mov_b32_e32 v2, 0
	v_add3_u32 v1, v3, s6, 1
	v_lshrrev_b32_e32 v5, 3, v0
	v_lshlrev_b64 v[6:7], 2, v[1:2]
	v_add_co_u32 v6, vcc_lo, s0, v6
	v_add_co_ci_u32_e64 v7, null, s1, v7, vcc_lo
	s_waitcnt lgkmcnt(0)
	s_sub_i32 s7, s12, s3
	s_sub_i32 s13, s13, s3
	v_add_nc_u32_e32 v0, s7, v5
	s_sub_i32 s8, s13, s7
	s_mul_i32 s6, s7, 25
	s_mul_i32 s8, s8, 5
	v_mul_lo_u32 v4, s8, v3
	s_add_i32 s8, s8, s2
	v_cmp_gt_i32_e32 vcc_lo, s13, v0
	v_add3_u32 v1, s8, s6, v4
	global_store_dword v[6:7], v1, off
	s_and_b32 exec_lo, exec_lo, vcc_lo
	s_cbranch_execz .LBB108_6
; %bb.4:
	s_clause 0x2
	s_load_dwordx2 s[6:7], s[4:5], 0x20
	s_load_dwordx2 s[8:9], s[4:5], 0x30
	s_load_dword s0, s[4:5], 0x0
	v_add_nc_u32_e32 v1, s12, v5
	s_clause 0x1
	s_load_dwordx2 s[10:11], s[4:5], 0x10
	s_load_dwordx2 s[4:5], s[4:5], 0x40
	v_mul_u32_u24_e32 v5, 5, v5
	s_mul_i32 s1, s12, 25
	s_mov_b32 s12, 0
	v_mul_lo_u32 v1, v1, 25
	s_mov_b32 s14, 0
	v_add3_u32 v5, v4, s1, v5
	s_mul_i32 s1, s3, 25
	v_mad_u32_u24 v1, v3, 5, v1
	v_mad_u64_u32 v[3:4], null, v0, 25, v[3:4]
	v_subrev_nc_u32_e32 v4, s1, v5
	v_subrev_nc_u32_e32 v6, s1, v1
	s_waitcnt lgkmcnt(0)
	s_cmp_eq_u32 s0, 0
	s_cselect_b32 vcc_lo, -1, 0
.LBB108_5:                              ; =>This Inner Loop Header: Depth=1
	v_ashrrev_i32_e32 v1, 31, v0
	v_add_nc_u32_e32 v5, s14, v3
	v_add_nc_u32_e32 v9, s14, v6
	s_addk_i32 s14, 0x320
	v_lshlrev_b64 v[7:8], 2, v[0:1]
	v_add_nc_u32_e32 v12, 5, v5
	v_cndmask_b32_e32 v1, v5, v9, vcc_lo
	v_add_nc_u32_e32 v11, 1, v9
	v_add_nc_u32_e32 v13, 2, v9
	;; [unrolled: 1-line block ×5, first 2 shown]
	v_lshlrev_b64 v[9:10], 2, v[1:2]
	v_cndmask_b32_e32 v1, v12, v11, vcc_lo
	v_add_co_u32 v7, s0, s6, v7
	v_add_co_ci_u32_e64 v8, null, s7, v8, s0
	v_add_nc_u32_e32 v16, 15, v5
	v_lshlrev_b64 v[11:12], 2, v[1:2]
	v_cndmask_b32_e32 v1, v14, v13, vcc_lo
	global_load_dword v18, v[7:8], off
	v_add_co_u32 v7, s0, s10, v9
	v_add_nc_u32_e32 v5, 20, v5
	v_add_co_ci_u32_e64 v8, null, s11, v10, s0
	v_lshlrev_b64 v[9:10], 2, v[1:2]
	v_cndmask_b32_e32 v1, v16, v15, vcc_lo
	v_add_co_u32 v11, s0, s10, v11
	v_add_co_ci_u32_e64 v12, null, s11, v12, s0
	v_lshlrev_b64 v[13:14], 2, v[1:2]
	v_cndmask_b32_e32 v1, v5, v17, vcc_lo
	v_add_co_u32 v9, s0, s10, v9
	v_add_co_ci_u32_e64 v10, null, s11, v10, s0
	v_lshlrev_b64 v[15:16], 2, v[1:2]
	v_add_co_u32 v13, s0, s10, v13
	v_add_co_ci_u32_e64 v14, null, s11, v14, s0
	v_ashrrev_i32_e32 v5, 31, v4
	v_add_co_u32 v15, s0, s10, v15
	v_add_co_ci_u32_e64 v16, null, s11, v16, s0
	s_clause 0x4
	global_load_dword v7, v[7:8], off
	global_load_dword v8, v[11:12], off
	;; [unrolled: 1-line block ×5, first 2 shown]
	v_lshlrev_b64 v[12:13], 2, v[4:5]
	v_add_nc_u32_e32 v0, 32, v0
	v_add_nc_u32_e32 v4, 0xa0, v4
	v_add_co_u32 v15, s1, s4, v12
	v_add_co_ci_u32_e64 v16, null, s5, v13, s1
	v_add_co_u32 v17, s1, s8, v12
	v_cmp_le_i32_e64 s0, s13, v0
	s_or_b32 s12, s0, s12
	s_waitcnt vmcnt(5)
	v_subrev_nc_u32_e32 v5, s3, v18
	v_add_co_ci_u32_e64 v18, null, s9, v13, s1
	v_mad_u64_u32 v[11:12], null, v5, 5, s[2:3]
	v_add_nc_u32_e32 v12, 1, v11
	v_add_nc_u32_e32 v13, 2, v11
	;; [unrolled: 1-line block ×4, first 2 shown]
	global_store_dwordx4 v[15:16], v[11:14], off
	global_store_dword v[15:16], v5, off offset:16
	s_waitcnt vmcnt(1)
	global_store_dwordx4 v[17:18], v[7:10], off
	s_waitcnt vmcnt(0)
	global_store_dword v[17:18], v1, off offset:16
	s_andn2_b32 exec_lo, exec_lo, s12
	s_cbranch_execnz .LBB108_5
.LBB108_6:
	s_endpgm
	.section	.rodata,"a",@progbits
	.p2align	6, 0x0
	.amdhsa_kernel _ZN9rocsparseL32bsr2csr_block_per_row_2_7_kernelILj256ELj5EfiiEEv20rocsparse_direction_T3_S2_21rocsparse_index_base_PKT1_PKT2_PKS2_S2_S3_PS4_PS7_PS2_
		.amdhsa_group_segment_fixed_size 0
		.amdhsa_private_segment_fixed_size 0
		.amdhsa_kernarg_size 72
		.amdhsa_user_sgpr_count 6
		.amdhsa_user_sgpr_private_segment_buffer 1
		.amdhsa_user_sgpr_dispatch_ptr 0
		.amdhsa_user_sgpr_queue_ptr 0
		.amdhsa_user_sgpr_kernarg_segment_ptr 1
		.amdhsa_user_sgpr_dispatch_id 0
		.amdhsa_user_sgpr_flat_scratch_init 0
		.amdhsa_user_sgpr_private_segment_size 0
		.amdhsa_wavefront_size32 1
		.amdhsa_uses_dynamic_stack 0
		.amdhsa_system_sgpr_private_segment_wavefront_offset 0
		.amdhsa_system_sgpr_workgroup_id_x 1
		.amdhsa_system_sgpr_workgroup_id_y 0
		.amdhsa_system_sgpr_workgroup_id_z 0
		.amdhsa_system_sgpr_workgroup_info 0
		.amdhsa_system_vgpr_workitem_id 0
		.amdhsa_next_free_vgpr 19
		.amdhsa_next_free_sgpr 15
		.amdhsa_reserve_vcc 1
		.amdhsa_reserve_flat_scratch 0
		.amdhsa_float_round_mode_32 0
		.amdhsa_float_round_mode_16_64 0
		.amdhsa_float_denorm_mode_32 3
		.amdhsa_float_denorm_mode_16_64 3
		.amdhsa_dx10_clamp 1
		.amdhsa_ieee_mode 1
		.amdhsa_fp16_overflow 0
		.amdhsa_workgroup_processor_mode 1
		.amdhsa_memory_ordered 1
		.amdhsa_forward_progress 1
		.amdhsa_shared_vgpr_count 0
		.amdhsa_exception_fp_ieee_invalid_op 0
		.amdhsa_exception_fp_denorm_src 0
		.amdhsa_exception_fp_ieee_div_zero 0
		.amdhsa_exception_fp_ieee_overflow 0
		.amdhsa_exception_fp_ieee_underflow 0
		.amdhsa_exception_fp_ieee_inexact 0
		.amdhsa_exception_int_div_zero 0
	.end_amdhsa_kernel
	.section	.text._ZN9rocsparseL32bsr2csr_block_per_row_2_7_kernelILj256ELj5EfiiEEv20rocsparse_direction_T3_S2_21rocsparse_index_base_PKT1_PKT2_PKS2_S2_S3_PS4_PS7_PS2_,"axG",@progbits,_ZN9rocsparseL32bsr2csr_block_per_row_2_7_kernelILj256ELj5EfiiEEv20rocsparse_direction_T3_S2_21rocsparse_index_base_PKT1_PKT2_PKS2_S2_S3_PS4_PS7_PS2_,comdat
.Lfunc_end108:
	.size	_ZN9rocsparseL32bsr2csr_block_per_row_2_7_kernelILj256ELj5EfiiEEv20rocsparse_direction_T3_S2_21rocsparse_index_base_PKT1_PKT2_PKS2_S2_S3_PS4_PS7_PS2_, .Lfunc_end108-_ZN9rocsparseL32bsr2csr_block_per_row_2_7_kernelILj256ELj5EfiiEEv20rocsparse_direction_T3_S2_21rocsparse_index_base_PKT1_PKT2_PKS2_S2_S3_PS4_PS7_PS2_
                                        ; -- End function
	.set _ZN9rocsparseL32bsr2csr_block_per_row_2_7_kernelILj256ELj5EfiiEEv20rocsparse_direction_T3_S2_21rocsparse_index_base_PKT1_PKT2_PKS2_S2_S3_PS4_PS7_PS2_.num_vgpr, 19
	.set _ZN9rocsparseL32bsr2csr_block_per_row_2_7_kernelILj256ELj5EfiiEEv20rocsparse_direction_T3_S2_21rocsparse_index_base_PKT1_PKT2_PKS2_S2_S3_PS4_PS7_PS2_.num_agpr, 0
	.set _ZN9rocsparseL32bsr2csr_block_per_row_2_7_kernelILj256ELj5EfiiEEv20rocsparse_direction_T3_S2_21rocsparse_index_base_PKT1_PKT2_PKS2_S2_S3_PS4_PS7_PS2_.numbered_sgpr, 15
	.set _ZN9rocsparseL32bsr2csr_block_per_row_2_7_kernelILj256ELj5EfiiEEv20rocsparse_direction_T3_S2_21rocsparse_index_base_PKT1_PKT2_PKS2_S2_S3_PS4_PS7_PS2_.num_named_barrier, 0
	.set _ZN9rocsparseL32bsr2csr_block_per_row_2_7_kernelILj256ELj5EfiiEEv20rocsparse_direction_T3_S2_21rocsparse_index_base_PKT1_PKT2_PKS2_S2_S3_PS4_PS7_PS2_.private_seg_size, 0
	.set _ZN9rocsparseL32bsr2csr_block_per_row_2_7_kernelILj256ELj5EfiiEEv20rocsparse_direction_T3_S2_21rocsparse_index_base_PKT1_PKT2_PKS2_S2_S3_PS4_PS7_PS2_.uses_vcc, 1
	.set _ZN9rocsparseL32bsr2csr_block_per_row_2_7_kernelILj256ELj5EfiiEEv20rocsparse_direction_T3_S2_21rocsparse_index_base_PKT1_PKT2_PKS2_S2_S3_PS4_PS7_PS2_.uses_flat_scratch, 0
	.set _ZN9rocsparseL32bsr2csr_block_per_row_2_7_kernelILj256ELj5EfiiEEv20rocsparse_direction_T3_S2_21rocsparse_index_base_PKT1_PKT2_PKS2_S2_S3_PS4_PS7_PS2_.has_dyn_sized_stack, 0
	.set _ZN9rocsparseL32bsr2csr_block_per_row_2_7_kernelILj256ELj5EfiiEEv20rocsparse_direction_T3_S2_21rocsparse_index_base_PKT1_PKT2_PKS2_S2_S3_PS4_PS7_PS2_.has_recursion, 0
	.set _ZN9rocsparseL32bsr2csr_block_per_row_2_7_kernelILj256ELj5EfiiEEv20rocsparse_direction_T3_S2_21rocsparse_index_base_PKT1_PKT2_PKS2_S2_S3_PS4_PS7_PS2_.has_indirect_call, 0
	.section	.AMDGPU.csdata,"",@progbits
; Kernel info:
; codeLenInByte = 768
; TotalNumSgprs: 17
; NumVgprs: 19
; ScratchSize: 0
; MemoryBound: 0
; FloatMode: 240
; IeeeMode: 1
; LDSByteSize: 0 bytes/workgroup (compile time only)
; SGPRBlocks: 0
; VGPRBlocks: 2
; NumSGPRsForWavesPerEU: 17
; NumVGPRsForWavesPerEU: 19
; Occupancy: 16
; WaveLimiterHint : 1
; COMPUTE_PGM_RSRC2:SCRATCH_EN: 0
; COMPUTE_PGM_RSRC2:USER_SGPR: 6
; COMPUTE_PGM_RSRC2:TRAP_HANDLER: 0
; COMPUTE_PGM_RSRC2:TGID_X_EN: 1
; COMPUTE_PGM_RSRC2:TGID_Y_EN: 0
; COMPUTE_PGM_RSRC2:TGID_Z_EN: 0
; COMPUTE_PGM_RSRC2:TIDIG_COMP_CNT: 0
	.section	.text._ZN9rocsparseL32bsr2csr_block_per_row_2_7_kernelILj256ELj6EfiiEEv20rocsparse_direction_T3_S2_21rocsparse_index_base_PKT1_PKT2_PKS2_S2_S3_PS4_PS7_PS2_,"axG",@progbits,_ZN9rocsparseL32bsr2csr_block_per_row_2_7_kernelILj256ELj6EfiiEEv20rocsparse_direction_T3_S2_21rocsparse_index_base_PKT1_PKT2_PKS2_S2_S3_PS4_PS7_PS2_,comdat
	.globl	_ZN9rocsparseL32bsr2csr_block_per_row_2_7_kernelILj256ELj6EfiiEEv20rocsparse_direction_T3_S2_21rocsparse_index_base_PKT1_PKT2_PKS2_S2_S3_PS4_PS7_PS2_ ; -- Begin function _ZN9rocsparseL32bsr2csr_block_per_row_2_7_kernelILj256ELj6EfiiEEv20rocsparse_direction_T3_S2_21rocsparse_index_base_PKT1_PKT2_PKS2_S2_S3_PS4_PS7_PS2_
	.p2align	8
	.type	_ZN9rocsparseL32bsr2csr_block_per_row_2_7_kernelILj256ELj6EfiiEEv20rocsparse_direction_T3_S2_21rocsparse_index_base_PKT1_PKT2_PKS2_S2_S3_PS4_PS7_PS2_,@function
_ZN9rocsparseL32bsr2csr_block_per_row_2_7_kernelILj256ELj6EfiiEEv20rocsparse_direction_T3_S2_21rocsparse_index_base_PKT1_PKT2_PKS2_S2_S3_PS4_PS7_PS2_: ; @_ZN9rocsparseL32bsr2csr_block_per_row_2_7_kernelILj256ELj6EfiiEEv20rocsparse_direction_T3_S2_21rocsparse_index_base_PKT1_PKT2_PKS2_S2_S3_PS4_PS7_PS2_
; %bb.0:
	s_clause 0x2
	s_load_dwordx2 s[8:9], s[4:5], 0x18
	s_load_dword s2, s[4:5], 0x2c
	s_load_dwordx2 s[0:1], s[4:5], 0x38
	s_ashr_i32 s7, s6, 31
	v_or_b32_e32 v1, s6, v0
	s_lshl_b64 s[10:11], s[6:7], 2
	s_mov_b32 s3, exec_lo
	s_waitcnt lgkmcnt(0)
	s_add_u32 s8, s8, s10
	s_addc_u32 s9, s9, s11
	v_cmpx_eq_u32_e32 0, v1
	s_cbranch_execz .LBB109_2
; %bb.1:
	v_mov_b32_e32 v1, 0
	v_mov_b32_e32 v2, s2
	global_store_dword v1, v2, s[0:1]
.LBB109_2:
	s_or_b32 exec_lo, exec_lo, s3
	v_and_b32_e32 v5, 7, v0
	s_mov_b32 s3, exec_lo
	v_cmpx_gt_u32_e32 6, v5
	s_cbranch_execz .LBB109_6
; %bb.3:
	s_load_dwordx2 s[12:13], s[8:9], 0x0
	s_load_dword s3, s[4:5], 0xc
	s_mul_i32 s6, s6, 6
	v_mov_b32_e32 v2, 0
	v_add3_u32 v1, v5, s6, 1
	v_lshrrev_b32_e32 v4, 3, v0
	v_lshlrev_b64 v[6:7], 2, v[1:2]
	v_add_co_u32 v6, vcc_lo, s0, v6
	v_add_co_ci_u32_e64 v7, null, s1, v7, vcc_lo
	s_waitcnt lgkmcnt(0)
	s_sub_i32 s7, s12, s3
	s_sub_i32 s13, s13, s3
	v_add_nc_u32_e32 v0, s7, v4
	s_sub_i32 s8, s13, s7
	s_mul_i32 s6, s7, 36
	s_mul_i32 s8, s8, 6
	v_mul_lo_u32 v3, s8, v5
	s_add_i32 s8, s8, s2
	v_cmp_gt_i32_e32 vcc_lo, s13, v0
	v_add3_u32 v1, s8, s6, v3
	global_store_dword v[6:7], v1, off
	s_and_b32 exec_lo, exec_lo, vcc_lo
	s_cbranch_execz .LBB109_6
; %bb.4:
	s_clause 0x4
	s_load_dwordx2 s[6:7], s[4:5], 0x20
	s_load_dwordx2 s[8:9], s[4:5], 0x30
	s_load_dword s0, s[4:5], 0x0
	s_load_dwordx2 s[10:11], s[4:5], 0x10
	s_load_dwordx2 s[4:5], s[4:5], 0x40
	v_mul_u32_u24_e32 v1, 6, v4
	s_mul_i32 s1, s12, 36
	s_mov_b32 s12, 0
	v_add3_u32 v1, v3, s1, v1
	v_mad_u64_u32 v[3:4], null, v0, 36, v[5:6]
	s_mul_i32 s1, s3, 36
	v_mul_u32_u24_e32 v6, 5, v5
	v_subrev_nc_u32_e32 v4, s1, v1
	s_waitcnt lgkmcnt(0)
	s_cmp_eq_u32 s0, 0
	s_cselect_b32 vcc_lo, -1, 0
.LBB109_5:                              ; =>This Inner Loop Header: Depth=1
	v_ashrrev_i32_e32 v1, 31, v0
	v_add_nc_u32_e32 v5, v6, v3
	v_add_nc_u32_e32 v11, 6, v3
	;; [unrolled: 1-line block ×4, first 2 shown]
	v_lshlrev_b64 v[7:8], 2, v[0:1]
	v_cndmask_b32_e32 v1, v3, v5, vcc_lo
	v_add_nc_u32_e32 v12, 1, v5
	v_add_nc_u32_e32 v14, 2, v5
	;; [unrolled: 1-line block ×4, first 2 shown]
	v_lshlrev_b64 v[9:10], 2, v[1:2]
	v_cndmask_b32_e32 v1, v11, v12, vcc_lo
	v_add_co_u32 v7, s0, s6, v7
	v_add_co_ci_u32_e64 v8, null, s7, v8, s0
	v_lshlrev_b64 v[11:12], 2, v[1:2]
	v_cndmask_b32_e32 v1, v13, v14, vcc_lo
	v_add_co_u32 v9, s0, s10, v9
	v_add_nc_u32_e32 v19, 4, v5
	v_add_co_ci_u32_e64 v10, null, s11, v10, s0
	v_lshlrev_b64 v[13:14], 2, v[1:2]
	v_cndmask_b32_e32 v1, v15, v18, vcc_lo
	v_add_nc_u32_e32 v17, 30, v3
	v_add_nc_u32_e32 v5, 5, v5
	global_load_dword v20, v[7:8], off
	global_load_dword v7, v[9:10], off
	v_add_co_u32 v8, s0, s10, v11
	v_lshlrev_b64 v[10:11], 2, v[1:2]
	v_cndmask_b32_e32 v1, v16, v19, vcc_lo
	v_add_co_ci_u32_e64 v9, null, s11, v12, s0
	v_add_co_u32 v12, s0, s10, v13
	v_add_co_ci_u32_e64 v13, null, s11, v14, s0
	v_lshlrev_b64 v[14:15], 2, v[1:2]
	v_cndmask_b32_e32 v1, v17, v5, vcc_lo
	v_add_co_u32 v10, s0, s10, v10
	v_add_co_ci_u32_e64 v11, null, s11, v11, s0
	v_lshlrev_b64 v[16:17], 2, v[1:2]
	v_add_co_u32 v14, s0, s10, v14
	v_add_co_ci_u32_e64 v15, null, s11, v15, s0
	v_ashrrev_i32_e32 v5, 31, v4
	v_add_co_u32 v16, s0, s10, v16
	v_add_co_ci_u32_e64 v17, null, s11, v17, s0
	s_clause 0x4
	global_load_dword v8, v[8:9], off
	global_load_dword v9, v[12:13], off
	;; [unrolled: 1-line block ×5, first 2 shown]
	v_lshlrev_b64 v[12:13], 2, v[4:5]
	v_add_nc_u32_e32 v0, 32, v0
	v_add_nc_u32_e32 v3, 0x480, v3
	;; [unrolled: 1-line block ×3, first 2 shown]
	v_add_co_u32 v17, s1, s4, v12
	v_add_co_ci_u32_e64 v18, null, s5, v13, s1
	v_add_co_u32 v19, s1, s8, v12
	v_cmp_le_i32_e64 s0, s13, v0
	s_or_b32 s12, s0, s12
	s_waitcnt vmcnt(6)
	v_subrev_nc_u32_e32 v1, s3, v20
	v_add_co_ci_u32_e64 v20, null, s9, v13, s1
	v_mad_u64_u32 v[11:12], null, v1, 6, s[2:3]
	v_add_nc_u32_e32 v12, 1, v11
	v_add_nc_u32_e32 v13, 2, v11
	;; [unrolled: 1-line block ×5, first 2 shown]
	global_store_dwordx4 v[17:18], v[11:14], off
	global_store_dwordx2 v[17:18], v[21:22], off offset:16
	s_waitcnt vmcnt(2)
	global_store_dwordx4 v[19:20], v[7:10], off
	s_waitcnt vmcnt(0)
	global_store_dwordx2 v[19:20], v[15:16], off offset:16
	s_andn2_b32 exec_lo, exec_lo, s12
	s_cbranch_execnz .LBB109_5
.LBB109_6:
	s_endpgm
	.section	.rodata,"a",@progbits
	.p2align	6, 0x0
	.amdhsa_kernel _ZN9rocsparseL32bsr2csr_block_per_row_2_7_kernelILj256ELj6EfiiEEv20rocsparse_direction_T3_S2_21rocsparse_index_base_PKT1_PKT2_PKS2_S2_S3_PS4_PS7_PS2_
		.amdhsa_group_segment_fixed_size 0
		.amdhsa_private_segment_fixed_size 0
		.amdhsa_kernarg_size 72
		.amdhsa_user_sgpr_count 6
		.amdhsa_user_sgpr_private_segment_buffer 1
		.amdhsa_user_sgpr_dispatch_ptr 0
		.amdhsa_user_sgpr_queue_ptr 0
		.amdhsa_user_sgpr_kernarg_segment_ptr 1
		.amdhsa_user_sgpr_dispatch_id 0
		.amdhsa_user_sgpr_flat_scratch_init 0
		.amdhsa_user_sgpr_private_segment_size 0
		.amdhsa_wavefront_size32 1
		.amdhsa_uses_dynamic_stack 0
		.amdhsa_system_sgpr_private_segment_wavefront_offset 0
		.amdhsa_system_sgpr_workgroup_id_x 1
		.amdhsa_system_sgpr_workgroup_id_y 0
		.amdhsa_system_sgpr_workgroup_id_z 0
		.amdhsa_system_sgpr_workgroup_info 0
		.amdhsa_system_vgpr_workitem_id 0
		.amdhsa_next_free_vgpr 23
		.amdhsa_next_free_sgpr 14
		.amdhsa_reserve_vcc 1
		.amdhsa_reserve_flat_scratch 0
		.amdhsa_float_round_mode_32 0
		.amdhsa_float_round_mode_16_64 0
		.amdhsa_float_denorm_mode_32 3
		.amdhsa_float_denorm_mode_16_64 3
		.amdhsa_dx10_clamp 1
		.amdhsa_ieee_mode 1
		.amdhsa_fp16_overflow 0
		.amdhsa_workgroup_processor_mode 1
		.amdhsa_memory_ordered 1
		.amdhsa_forward_progress 1
		.amdhsa_shared_vgpr_count 0
		.amdhsa_exception_fp_ieee_invalid_op 0
		.amdhsa_exception_fp_denorm_src 0
		.amdhsa_exception_fp_ieee_div_zero 0
		.amdhsa_exception_fp_ieee_overflow 0
		.amdhsa_exception_fp_ieee_underflow 0
		.amdhsa_exception_fp_ieee_inexact 0
		.amdhsa_exception_int_div_zero 0
	.end_amdhsa_kernel
	.section	.text._ZN9rocsparseL32bsr2csr_block_per_row_2_7_kernelILj256ELj6EfiiEEv20rocsparse_direction_T3_S2_21rocsparse_index_base_PKT1_PKT2_PKS2_S2_S3_PS4_PS7_PS2_,"axG",@progbits,_ZN9rocsparseL32bsr2csr_block_per_row_2_7_kernelILj256ELj6EfiiEEv20rocsparse_direction_T3_S2_21rocsparse_index_base_PKT1_PKT2_PKS2_S2_S3_PS4_PS7_PS2_,comdat
.Lfunc_end109:
	.size	_ZN9rocsparseL32bsr2csr_block_per_row_2_7_kernelILj256ELj6EfiiEEv20rocsparse_direction_T3_S2_21rocsparse_index_base_PKT1_PKT2_PKS2_S2_S3_PS4_PS7_PS2_, .Lfunc_end109-_ZN9rocsparseL32bsr2csr_block_per_row_2_7_kernelILj256ELj6EfiiEEv20rocsparse_direction_T3_S2_21rocsparse_index_base_PKT1_PKT2_PKS2_S2_S3_PS4_PS7_PS2_
                                        ; -- End function
	.set _ZN9rocsparseL32bsr2csr_block_per_row_2_7_kernelILj256ELj6EfiiEEv20rocsparse_direction_T3_S2_21rocsparse_index_base_PKT1_PKT2_PKS2_S2_S3_PS4_PS7_PS2_.num_vgpr, 23
	.set _ZN9rocsparseL32bsr2csr_block_per_row_2_7_kernelILj256ELj6EfiiEEv20rocsparse_direction_T3_S2_21rocsparse_index_base_PKT1_PKT2_PKS2_S2_S3_PS4_PS7_PS2_.num_agpr, 0
	.set _ZN9rocsparseL32bsr2csr_block_per_row_2_7_kernelILj256ELj6EfiiEEv20rocsparse_direction_T3_S2_21rocsparse_index_base_PKT1_PKT2_PKS2_S2_S3_PS4_PS7_PS2_.numbered_sgpr, 14
	.set _ZN9rocsparseL32bsr2csr_block_per_row_2_7_kernelILj256ELj6EfiiEEv20rocsparse_direction_T3_S2_21rocsparse_index_base_PKT1_PKT2_PKS2_S2_S3_PS4_PS7_PS2_.num_named_barrier, 0
	.set _ZN9rocsparseL32bsr2csr_block_per_row_2_7_kernelILj256ELj6EfiiEEv20rocsparse_direction_T3_S2_21rocsparse_index_base_PKT1_PKT2_PKS2_S2_S3_PS4_PS7_PS2_.private_seg_size, 0
	.set _ZN9rocsparseL32bsr2csr_block_per_row_2_7_kernelILj256ELj6EfiiEEv20rocsparse_direction_T3_S2_21rocsparse_index_base_PKT1_PKT2_PKS2_S2_S3_PS4_PS7_PS2_.uses_vcc, 1
	.set _ZN9rocsparseL32bsr2csr_block_per_row_2_7_kernelILj256ELj6EfiiEEv20rocsparse_direction_T3_S2_21rocsparse_index_base_PKT1_PKT2_PKS2_S2_S3_PS4_PS7_PS2_.uses_flat_scratch, 0
	.set _ZN9rocsparseL32bsr2csr_block_per_row_2_7_kernelILj256ELj6EfiiEEv20rocsparse_direction_T3_S2_21rocsparse_index_base_PKT1_PKT2_PKS2_S2_S3_PS4_PS7_PS2_.has_dyn_sized_stack, 0
	.set _ZN9rocsparseL32bsr2csr_block_per_row_2_7_kernelILj256ELj6EfiiEEv20rocsparse_direction_T3_S2_21rocsparse_index_base_PKT1_PKT2_PKS2_S2_S3_PS4_PS7_PS2_.has_recursion, 0
	.set _ZN9rocsparseL32bsr2csr_block_per_row_2_7_kernelILj256ELj6EfiiEEv20rocsparse_direction_T3_S2_21rocsparse_index_base_PKT1_PKT2_PKS2_S2_S3_PS4_PS7_PS2_.has_indirect_call, 0
	.section	.AMDGPU.csdata,"",@progbits
; Kernel info:
; codeLenInByte = 788
; TotalNumSgprs: 16
; NumVgprs: 23
; ScratchSize: 0
; MemoryBound: 0
; FloatMode: 240
; IeeeMode: 1
; LDSByteSize: 0 bytes/workgroup (compile time only)
; SGPRBlocks: 0
; VGPRBlocks: 2
; NumSGPRsForWavesPerEU: 16
; NumVGPRsForWavesPerEU: 23
; Occupancy: 16
; WaveLimiterHint : 0
; COMPUTE_PGM_RSRC2:SCRATCH_EN: 0
; COMPUTE_PGM_RSRC2:USER_SGPR: 6
; COMPUTE_PGM_RSRC2:TRAP_HANDLER: 0
; COMPUTE_PGM_RSRC2:TGID_X_EN: 1
; COMPUTE_PGM_RSRC2:TGID_Y_EN: 0
; COMPUTE_PGM_RSRC2:TGID_Z_EN: 0
; COMPUTE_PGM_RSRC2:TIDIG_COMP_CNT: 0
	.section	.text._ZN9rocsparseL32bsr2csr_block_per_row_2_7_kernelILj256ELj7EfiiEEv20rocsparse_direction_T3_S2_21rocsparse_index_base_PKT1_PKT2_PKS2_S2_S3_PS4_PS7_PS2_,"axG",@progbits,_ZN9rocsparseL32bsr2csr_block_per_row_2_7_kernelILj256ELj7EfiiEEv20rocsparse_direction_T3_S2_21rocsparse_index_base_PKT1_PKT2_PKS2_S2_S3_PS4_PS7_PS2_,comdat
	.globl	_ZN9rocsparseL32bsr2csr_block_per_row_2_7_kernelILj256ELj7EfiiEEv20rocsparse_direction_T3_S2_21rocsparse_index_base_PKT1_PKT2_PKS2_S2_S3_PS4_PS7_PS2_ ; -- Begin function _ZN9rocsparseL32bsr2csr_block_per_row_2_7_kernelILj256ELj7EfiiEEv20rocsparse_direction_T3_S2_21rocsparse_index_base_PKT1_PKT2_PKS2_S2_S3_PS4_PS7_PS2_
	.p2align	8
	.type	_ZN9rocsparseL32bsr2csr_block_per_row_2_7_kernelILj256ELj7EfiiEEv20rocsparse_direction_T3_S2_21rocsparse_index_base_PKT1_PKT2_PKS2_S2_S3_PS4_PS7_PS2_,@function
_ZN9rocsparseL32bsr2csr_block_per_row_2_7_kernelILj256ELj7EfiiEEv20rocsparse_direction_T3_S2_21rocsparse_index_base_PKT1_PKT2_PKS2_S2_S3_PS4_PS7_PS2_: ; @_ZN9rocsparseL32bsr2csr_block_per_row_2_7_kernelILj256ELj7EfiiEEv20rocsparse_direction_T3_S2_21rocsparse_index_base_PKT1_PKT2_PKS2_S2_S3_PS4_PS7_PS2_
; %bb.0:
	s_clause 0x2
	s_load_dwordx2 s[8:9], s[4:5], 0x18
	s_load_dword s2, s[4:5], 0x2c
	s_load_dwordx2 s[0:1], s[4:5], 0x38
	s_ashr_i32 s7, s6, 31
	v_or_b32_e32 v1, s6, v0
	s_lshl_b64 s[10:11], s[6:7], 2
	s_mov_b32 s3, exec_lo
	s_waitcnt lgkmcnt(0)
	s_add_u32 s8, s8, s10
	s_addc_u32 s9, s9, s11
	v_cmpx_eq_u32_e32 0, v1
	s_cbranch_execz .LBB110_2
; %bb.1:
	v_mov_b32_e32 v1, 0
	v_mov_b32_e32 v2, s2
	global_store_dword v1, v2, s[0:1]
.LBB110_2:
	s_or_b32 exec_lo, exec_lo, s3
	v_and_b32_e32 v5, 7, v0
	s_mov_b32 s3, exec_lo
	v_cmpx_ne_u32_e32 7, v5
	s_cbranch_execz .LBB110_6
; %bb.3:
	s_load_dwordx2 s[12:13], s[8:9], 0x0
	s_load_dword s3, s[4:5], 0xc
	s_mul_i32 s6, s6, 7
	v_mov_b32_e32 v2, 0
	v_add3_u32 v1, v5, s6, 1
	v_lshrrev_b32_e32 v4, 3, v0
	v_lshlrev_b64 v[6:7], 2, v[1:2]
	v_add_co_u32 v6, vcc_lo, s0, v6
	v_add_co_ci_u32_e64 v7, null, s1, v7, vcc_lo
	s_waitcnt lgkmcnt(0)
	s_sub_i32 s7, s12, s3
	s_sub_i32 s13, s13, s3
	v_add_nc_u32_e32 v0, s7, v4
	s_sub_i32 s8, s13, s7
	s_mul_i32 s6, s7, 49
	s_mul_i32 s8, s8, 7
	v_mul_lo_u32 v3, s8, v5
	s_add_i32 s8, s8, s2
	v_cmp_gt_i32_e32 vcc_lo, s13, v0
	v_add3_u32 v1, s8, s6, v3
	global_store_dword v[6:7], v1, off
	s_and_b32 exec_lo, exec_lo, vcc_lo
	s_cbranch_execz .LBB110_6
; %bb.4:
	s_clause 0x4
	s_load_dwordx2 s[6:7], s[4:5], 0x20
	s_load_dwordx2 s[8:9], s[4:5], 0x30
	s_load_dword s0, s[4:5], 0x0
	s_load_dwordx2 s[10:11], s[4:5], 0x10
	s_load_dwordx2 s[4:5], s[4:5], 0x40
	v_mul_u32_u24_e32 v1, 7, v4
	s_mul_i32 s1, s12, 49
	s_mov_b32 s12, 0
	v_add3_u32 v1, v3, s1, v1
	v_mad_u64_u32 v[3:4], null, v0, 49, v[5:6]
	s_mul_i32 s1, s3, 49
	v_mul_u32_u24_e32 v6, 6, v5
	v_subrev_nc_u32_e32 v4, s1, v1
	s_waitcnt lgkmcnt(0)
	s_cmp_eq_u32 s0, 0
	s_cselect_b32 vcc_lo, -1, 0
.LBB110_5:                              ; =>This Inner Loop Header: Depth=1
	v_ashrrev_i32_e32 v1, 31, v0
	v_add_nc_u32_e32 v5, v6, v3
	v_add_nc_u32_e32 v11, 7, v3
	;; [unrolled: 1-line block ×4, first 2 shown]
	v_lshlrev_b64 v[7:8], 2, v[0:1]
	v_cndmask_b32_e32 v1, v3, v5, vcc_lo
	v_add_nc_u32_e32 v12, 1, v5
	v_add_nc_u32_e32 v18, 2, v5
	;; [unrolled: 1-line block ×4, first 2 shown]
	v_lshlrev_b64 v[9:10], 2, v[1:2]
	v_cndmask_b32_e32 v1, v11, v12, vcc_lo
	v_add_co_u32 v7, s0, s6, v7
	v_add_co_ci_u32_e64 v8, null, s7, v8, s0
	v_lshlrev_b64 v[11:12], 2, v[1:2]
	v_cndmask_b32_e32 v1, v13, v18, vcc_lo
	v_add_nc_u32_e32 v20, 4, v5
	global_load_dword v25, v[7:8], off
	v_add_co_u32 v7, s0, s10, v9
	v_add_co_ci_u32_e64 v8, null, s11, v10, s0
	v_lshlrev_b64 v[9:10], 2, v[1:2]
	v_cndmask_b32_e32 v1, v14, v19, vcc_lo
	v_add_co_u32 v11, s0, s10, v11
	v_add_nc_u32_e32 v16, 35, v3
	v_add_nc_u32_e32 v21, 5, v5
	v_add_co_ci_u32_e64 v12, null, s11, v12, s0
	v_lshlrev_b64 v[13:14], 2, v[1:2]
	v_cndmask_b32_e32 v1, v15, v20, vcc_lo
	v_add_nc_u32_e32 v17, 42, v3
	v_add_nc_u32_e32 v5, 6, v5
	s_clause 0x1
	global_load_dword v7, v[7:8], off
	global_load_dword v8, v[11:12], off
	v_lshlrev_b64 v[11:12], 2, v[1:2]
	v_cndmask_b32_e32 v1, v16, v21, vcc_lo
	v_add_co_u32 v9, s0, s10, v9
	v_add_co_ci_u32_e64 v10, null, s11, v10, s0
	v_lshlrev_b64 v[15:16], 2, v[1:2]
	v_cndmask_b32_e32 v1, v17, v5, vcc_lo
	v_add_co_u32 v13, s0, s10, v13
	v_add_co_ci_u32_e64 v14, null, s11, v14, s0
	v_lshlrev_b64 v[17:18], 2, v[1:2]
	v_add_co_u32 v11, s0, s10, v11
	v_add_co_ci_u32_e64 v12, null, s11, v12, s0
	v_add_co_u32 v19, s0, s10, v15
	v_add_co_ci_u32_e64 v20, null, s11, v16, s0
	;; [unrolled: 2-line block ×3, first 2 shown]
	s_clause 0x4
	global_load_dword v9, v[9:10], off
	global_load_dword v10, v[13:14], off
	global_load_dword v15, v[11:12], off
	global_load_dword v16, v[19:20], off
	global_load_dword v17, v[17:18], off
	v_ashrrev_i32_e32 v5, 31, v4
	v_add_nc_u32_e32 v0, 32, v0
	v_add_nc_u32_e32 v3, 0x620, v3
	v_lshlrev_b64 v[11:12], 2, v[4:5]
	v_cmp_le_i32_e64 s0, s13, v0
	v_add_nc_u32_e32 v4, 0xe0, v4
	v_add_co_u32 v21, s1, s4, v11
	v_add_co_ci_u32_e64 v22, null, s5, v12, s1
	v_add_co_u32 v23, s1, s8, v11
	v_add_co_ci_u32_e64 v24, null, s9, v12, s1
	s_or_b32 s12, s0, s12
	s_waitcnt vmcnt(7)
	v_subrev_nc_u32_e32 v1, s3, v25
	v_mad_u64_u32 v[11:12], null, v1, 7, s[2:3]
	v_add_nc_u32_e32 v12, 1, v11
	v_add_nc_u32_e32 v13, 2, v11
	;; [unrolled: 1-line block ×6, first 2 shown]
	global_store_dwordx4 v[21:22], v[11:14], off
	global_store_dwordx3 v[21:22], v[18:20], off offset:16
	s_waitcnt vmcnt(3)
	global_store_dwordx4 v[23:24], v[7:10], off
	s_waitcnt vmcnt(0)
	global_store_dwordx3 v[23:24], v[15:17], off offset:16
	s_andn2_b32 exec_lo, exec_lo, s12
	s_cbranch_execnz .LBB110_5
.LBB110_6:
	s_endpgm
	.section	.rodata,"a",@progbits
	.p2align	6, 0x0
	.amdhsa_kernel _ZN9rocsparseL32bsr2csr_block_per_row_2_7_kernelILj256ELj7EfiiEEv20rocsparse_direction_T3_S2_21rocsparse_index_base_PKT1_PKT2_PKS2_S2_S3_PS4_PS7_PS2_
		.amdhsa_group_segment_fixed_size 0
		.amdhsa_private_segment_fixed_size 0
		.amdhsa_kernarg_size 72
		.amdhsa_user_sgpr_count 6
		.amdhsa_user_sgpr_private_segment_buffer 1
		.amdhsa_user_sgpr_dispatch_ptr 0
		.amdhsa_user_sgpr_queue_ptr 0
		.amdhsa_user_sgpr_kernarg_segment_ptr 1
		.amdhsa_user_sgpr_dispatch_id 0
		.amdhsa_user_sgpr_flat_scratch_init 0
		.amdhsa_user_sgpr_private_segment_size 0
		.amdhsa_wavefront_size32 1
		.amdhsa_uses_dynamic_stack 0
		.amdhsa_system_sgpr_private_segment_wavefront_offset 0
		.amdhsa_system_sgpr_workgroup_id_x 1
		.amdhsa_system_sgpr_workgroup_id_y 0
		.amdhsa_system_sgpr_workgroup_id_z 0
		.amdhsa_system_sgpr_workgroup_info 0
		.amdhsa_system_vgpr_workitem_id 0
		.amdhsa_next_free_vgpr 26
		.amdhsa_next_free_sgpr 14
		.amdhsa_reserve_vcc 1
		.amdhsa_reserve_flat_scratch 0
		.amdhsa_float_round_mode_32 0
		.amdhsa_float_round_mode_16_64 0
		.amdhsa_float_denorm_mode_32 3
		.amdhsa_float_denorm_mode_16_64 3
		.amdhsa_dx10_clamp 1
		.amdhsa_ieee_mode 1
		.amdhsa_fp16_overflow 0
		.amdhsa_workgroup_processor_mode 1
		.amdhsa_memory_ordered 1
		.amdhsa_forward_progress 1
		.amdhsa_shared_vgpr_count 0
		.amdhsa_exception_fp_ieee_invalid_op 0
		.amdhsa_exception_fp_denorm_src 0
		.amdhsa_exception_fp_ieee_div_zero 0
		.amdhsa_exception_fp_ieee_overflow 0
		.amdhsa_exception_fp_ieee_underflow 0
		.amdhsa_exception_fp_ieee_inexact 0
		.amdhsa_exception_int_div_zero 0
	.end_amdhsa_kernel
	.section	.text._ZN9rocsparseL32bsr2csr_block_per_row_2_7_kernelILj256ELj7EfiiEEv20rocsparse_direction_T3_S2_21rocsparse_index_base_PKT1_PKT2_PKS2_S2_S3_PS4_PS7_PS2_,"axG",@progbits,_ZN9rocsparseL32bsr2csr_block_per_row_2_7_kernelILj256ELj7EfiiEEv20rocsparse_direction_T3_S2_21rocsparse_index_base_PKT1_PKT2_PKS2_S2_S3_PS4_PS7_PS2_,comdat
.Lfunc_end110:
	.size	_ZN9rocsparseL32bsr2csr_block_per_row_2_7_kernelILj256ELj7EfiiEEv20rocsparse_direction_T3_S2_21rocsparse_index_base_PKT1_PKT2_PKS2_S2_S3_PS4_PS7_PS2_, .Lfunc_end110-_ZN9rocsparseL32bsr2csr_block_per_row_2_7_kernelILj256ELj7EfiiEEv20rocsparse_direction_T3_S2_21rocsparse_index_base_PKT1_PKT2_PKS2_S2_S3_PS4_PS7_PS2_
                                        ; -- End function
	.set _ZN9rocsparseL32bsr2csr_block_per_row_2_7_kernelILj256ELj7EfiiEEv20rocsparse_direction_T3_S2_21rocsparse_index_base_PKT1_PKT2_PKS2_S2_S3_PS4_PS7_PS2_.num_vgpr, 26
	.set _ZN9rocsparseL32bsr2csr_block_per_row_2_7_kernelILj256ELj7EfiiEEv20rocsparse_direction_T3_S2_21rocsparse_index_base_PKT1_PKT2_PKS2_S2_S3_PS4_PS7_PS2_.num_agpr, 0
	.set _ZN9rocsparseL32bsr2csr_block_per_row_2_7_kernelILj256ELj7EfiiEEv20rocsparse_direction_T3_S2_21rocsparse_index_base_PKT1_PKT2_PKS2_S2_S3_PS4_PS7_PS2_.numbered_sgpr, 14
	.set _ZN9rocsparseL32bsr2csr_block_per_row_2_7_kernelILj256ELj7EfiiEEv20rocsparse_direction_T3_S2_21rocsparse_index_base_PKT1_PKT2_PKS2_S2_S3_PS4_PS7_PS2_.num_named_barrier, 0
	.set _ZN9rocsparseL32bsr2csr_block_per_row_2_7_kernelILj256ELj7EfiiEEv20rocsparse_direction_T3_S2_21rocsparse_index_base_PKT1_PKT2_PKS2_S2_S3_PS4_PS7_PS2_.private_seg_size, 0
	.set _ZN9rocsparseL32bsr2csr_block_per_row_2_7_kernelILj256ELj7EfiiEEv20rocsparse_direction_T3_S2_21rocsparse_index_base_PKT1_PKT2_PKS2_S2_S3_PS4_PS7_PS2_.uses_vcc, 1
	.set _ZN9rocsparseL32bsr2csr_block_per_row_2_7_kernelILj256ELj7EfiiEEv20rocsparse_direction_T3_S2_21rocsparse_index_base_PKT1_PKT2_PKS2_S2_S3_PS4_PS7_PS2_.uses_flat_scratch, 0
	.set _ZN9rocsparseL32bsr2csr_block_per_row_2_7_kernelILj256ELj7EfiiEEv20rocsparse_direction_T3_S2_21rocsparse_index_base_PKT1_PKT2_PKS2_S2_S3_PS4_PS7_PS2_.has_dyn_sized_stack, 0
	.set _ZN9rocsparseL32bsr2csr_block_per_row_2_7_kernelILj256ELj7EfiiEEv20rocsparse_direction_T3_S2_21rocsparse_index_base_PKT1_PKT2_PKS2_S2_S3_PS4_PS7_PS2_.has_recursion, 0
	.set _ZN9rocsparseL32bsr2csr_block_per_row_2_7_kernelILj256ELj7EfiiEEv20rocsparse_direction_T3_S2_21rocsparse_index_base_PKT1_PKT2_PKS2_S2_S3_PS4_PS7_PS2_.has_indirect_call, 0
	.section	.AMDGPU.csdata,"",@progbits
; Kernel info:
; codeLenInByte = 840
; TotalNumSgprs: 16
; NumVgprs: 26
; ScratchSize: 0
; MemoryBound: 0
; FloatMode: 240
; IeeeMode: 1
; LDSByteSize: 0 bytes/workgroup (compile time only)
; SGPRBlocks: 0
; VGPRBlocks: 3
; NumSGPRsForWavesPerEU: 16
; NumVGPRsForWavesPerEU: 26
; Occupancy: 16
; WaveLimiterHint : 0
; COMPUTE_PGM_RSRC2:SCRATCH_EN: 0
; COMPUTE_PGM_RSRC2:USER_SGPR: 6
; COMPUTE_PGM_RSRC2:TRAP_HANDLER: 0
; COMPUTE_PGM_RSRC2:TGID_X_EN: 1
; COMPUTE_PGM_RSRC2:TGID_Y_EN: 0
; COMPUTE_PGM_RSRC2:TGID_Z_EN: 0
; COMPUTE_PGM_RSRC2:TIDIG_COMP_CNT: 0
	.section	.text._ZN9rocsparseL33bsr2csr_block_per_row_8_32_kernelILj1024ELj8EfiiEEv20rocsparse_direction_T3_S2_21rocsparse_index_base_PKT1_PKT2_PKS2_S2_S3_PS4_PS7_PS2_,"axG",@progbits,_ZN9rocsparseL33bsr2csr_block_per_row_8_32_kernelILj1024ELj8EfiiEEv20rocsparse_direction_T3_S2_21rocsparse_index_base_PKT1_PKT2_PKS2_S2_S3_PS4_PS7_PS2_,comdat
	.globl	_ZN9rocsparseL33bsr2csr_block_per_row_8_32_kernelILj1024ELj8EfiiEEv20rocsparse_direction_T3_S2_21rocsparse_index_base_PKT1_PKT2_PKS2_S2_S3_PS4_PS7_PS2_ ; -- Begin function _ZN9rocsparseL33bsr2csr_block_per_row_8_32_kernelILj1024ELj8EfiiEEv20rocsparse_direction_T3_S2_21rocsparse_index_base_PKT1_PKT2_PKS2_S2_S3_PS4_PS7_PS2_
	.p2align	8
	.type	_ZN9rocsparseL33bsr2csr_block_per_row_8_32_kernelILj1024ELj8EfiiEEv20rocsparse_direction_T3_S2_21rocsparse_index_base_PKT1_PKT2_PKS2_S2_S3_PS4_PS7_PS2_,@function
_ZN9rocsparseL33bsr2csr_block_per_row_8_32_kernelILj1024ELj8EfiiEEv20rocsparse_direction_T3_S2_21rocsparse_index_base_PKT1_PKT2_PKS2_S2_S3_PS4_PS7_PS2_: ; @_ZN9rocsparseL33bsr2csr_block_per_row_8_32_kernelILj1024ELj8EfiiEEv20rocsparse_direction_T3_S2_21rocsparse_index_base_PKT1_PKT2_PKS2_S2_S3_PS4_PS7_PS2_
; %bb.0:
	s_clause 0x2
	s_load_dwordx2 s[8:9], s[4:5], 0x18
	s_load_dwordx2 s[2:3], s[4:5], 0x28
	;; [unrolled: 1-line block ×3, first 2 shown]
	s_ashr_i32 s7, s6, 31
	v_or_b32_e32 v1, s6, v0
	s_lshl_b64 s[10:11], s[6:7], 2
	s_mov_b32 s7, exec_lo
	s_waitcnt lgkmcnt(0)
	s_add_u32 s8, s8, s10
	s_addc_u32 s9, s9, s11
	v_cmpx_eq_u32_e32 0, v1
	s_cbranch_execz .LBB111_2
; %bb.1:
	v_mov_b32_e32 v1, 0
	v_mov_b32_e32 v2, s3
	global_store_dword v1, v2, s[0:1]
.LBB111_2:
	s_or_b32 exec_lo, exec_lo, s7
	v_and_b32_e32 v1, 7, v0
	v_bfe_u32 v2, v0, 3, 3
	s_mov_b32 s7, exec_lo
	v_max_i32_e32 v3, v2, v1
	v_cmpx_gt_i32_e64 s2, v3
	s_cbranch_execz .LBB111_6
; %bb.3:
	s_load_dwordx2 s[8:9], s[8:9], 0x0
	s_load_dword s12, s[4:5], 0xc
	v_mad_u64_u32 v[4:5], null, s2, s6, v[2:3]
	v_lshrrev_b32_e32 v3, 6, v0
	s_mul_i32 s14, s2, s2
	v_ashrrev_i32_e32 v5, 31, v4
	v_lshlrev_b64 v[4:5], 2, v[4:5]
	v_add_co_u32 v4, vcc_lo, s0, v4
	s_waitcnt lgkmcnt(0)
	s_sub_i32 s15, s8, s12
	s_sub_i32 s13, s9, s12
	v_add_nc_u32_e32 v0, s15, v3
	s_sub_i32 s16, s13, s15
	s_mul_i32 s7, s15, s14
	s_mul_i32 s6, s16, s2
	v_add_co_ci_u32_e64 v5, null, s1, v5, vcc_lo
	v_mul_lo_u32 v6, s6, v2
	s_add_i32 s6, s6, s3
	v_cmp_gt_i32_e32 vcc_lo, s13, v0
	v_add3_u32 v6, s6, s7, v6
	global_store_dword v[4:5], v6, off offset:4
	s_and_b32 exec_lo, exec_lo, vcc_lo
	s_cbranch_execz .LBB111_6
; %bb.4:
	s_clause 0x2
	s_load_dwordx2 s[6:7], s[4:5], 0x20
	s_load_dwordx2 s[8:9], s[4:5], 0x30
	s_load_dword s0, s[4:5], 0x0
	v_mad_u64_u32 v[4:5], null, s2, v1, v[2:3]
	v_mad_u64_u32 v[5:6], null, s2, v2, v[1:2]
	v_mul_lo_u32 v6, s16, v2
	s_clause 0x1
	s_load_dwordx2 s[10:11], s[4:5], 0x10
	s_load_dwordx2 s[4:5], s[4:5], 0x40
	s_mov_b32 s1, 0
	s_waitcnt lgkmcnt(0)
	s_cmp_eq_u32 s0, 0
	s_mul_i32 s0, s2, s15
	s_cselect_b32 vcc_lo, -1, 0
	v_cndmask_b32_e32 v2, v4, v5, vcc_lo
	v_add3_u32 v4, v3, s0, v6
	v_add_nc_u32_e32 v6, s3, v1
	s_lshl_b32 s3, s14, 4
	v_mad_u64_u32 v[2:3], null, s14, v0, v[2:3]
	s_lshl_b32 s14, s2, 4
	v_mad_u64_u32 v[4:5], null, s2, v4, v[1:2]
	s_inst_prefetch 0x1
	.p2align	6
.LBB111_5:                              ; =>This Inner Loop Header: Depth=1
	v_ashrrev_i32_e32 v1, 31, v0
	v_ashrrev_i32_e32 v3, 31, v2
	v_ashrrev_i32_e32 v5, 31, v4
	v_lshlrev_b64 v[7:8], 2, v[0:1]
	v_add_nc_u32_e32 v0, 16, v0
	v_add_co_u32 v7, vcc_lo, s6, v7
	v_add_co_ci_u32_e64 v8, null, s7, v8, vcc_lo
	global_load_dword v1, v[7:8], off
	v_lshlrev_b64 v[7:8], 2, v[2:3]
	v_add_nc_u32_e32 v2, s3, v2
	v_add_co_u32 v7, vcc_lo, s10, v7
	v_add_co_ci_u32_e64 v8, null, s11, v8, vcc_lo
	v_cmp_le_i32_e32 vcc_lo, s13, v0
	global_load_dword v3, v[7:8], off
	v_lshlrev_b64 v[7:8], 2, v[4:5]
	v_add_nc_u32_e32 v4, s14, v4
	s_or_b32 s1, vcc_lo, s1
	v_add_co_u32 v9, s0, s4, v7
	v_add_co_ci_u32_e64 v10, null, s5, v8, s0
	s_waitcnt vmcnt(1)
	v_subrev_nc_u32_e32 v1, s12, v1
	v_mad_u64_u32 v[11:12], null, v1, s2, v[6:7]
	v_add_co_u32 v7, s0, s8, v7
	v_add_co_ci_u32_e64 v8, null, s9, v8, s0
	global_store_dword v[9:10], v11, off
	s_waitcnt vmcnt(0)
	global_store_dword v[7:8], v3, off
	s_andn2_b32 exec_lo, exec_lo, s1
	s_cbranch_execnz .LBB111_5
.LBB111_6:
	s_inst_prefetch 0x2
	s_endpgm
	.section	.rodata,"a",@progbits
	.p2align	6, 0x0
	.amdhsa_kernel _ZN9rocsparseL33bsr2csr_block_per_row_8_32_kernelILj1024ELj8EfiiEEv20rocsparse_direction_T3_S2_21rocsparse_index_base_PKT1_PKT2_PKS2_S2_S3_PS4_PS7_PS2_
		.amdhsa_group_segment_fixed_size 0
		.amdhsa_private_segment_fixed_size 0
		.amdhsa_kernarg_size 72
		.amdhsa_user_sgpr_count 6
		.amdhsa_user_sgpr_private_segment_buffer 1
		.amdhsa_user_sgpr_dispatch_ptr 0
		.amdhsa_user_sgpr_queue_ptr 0
		.amdhsa_user_sgpr_kernarg_segment_ptr 1
		.amdhsa_user_sgpr_dispatch_id 0
		.amdhsa_user_sgpr_flat_scratch_init 0
		.amdhsa_user_sgpr_private_segment_size 0
		.amdhsa_wavefront_size32 1
		.amdhsa_uses_dynamic_stack 0
		.amdhsa_system_sgpr_private_segment_wavefront_offset 0
		.amdhsa_system_sgpr_workgroup_id_x 1
		.amdhsa_system_sgpr_workgroup_id_y 0
		.amdhsa_system_sgpr_workgroup_id_z 0
		.amdhsa_system_sgpr_workgroup_info 0
		.amdhsa_system_vgpr_workitem_id 0
		.amdhsa_next_free_vgpr 13
		.amdhsa_next_free_sgpr 17
		.amdhsa_reserve_vcc 1
		.amdhsa_reserve_flat_scratch 0
		.amdhsa_float_round_mode_32 0
		.amdhsa_float_round_mode_16_64 0
		.amdhsa_float_denorm_mode_32 3
		.amdhsa_float_denorm_mode_16_64 3
		.amdhsa_dx10_clamp 1
		.amdhsa_ieee_mode 1
		.amdhsa_fp16_overflow 0
		.amdhsa_workgroup_processor_mode 1
		.amdhsa_memory_ordered 1
		.amdhsa_forward_progress 1
		.amdhsa_shared_vgpr_count 0
		.amdhsa_exception_fp_ieee_invalid_op 0
		.amdhsa_exception_fp_denorm_src 0
		.amdhsa_exception_fp_ieee_div_zero 0
		.amdhsa_exception_fp_ieee_overflow 0
		.amdhsa_exception_fp_ieee_underflow 0
		.amdhsa_exception_fp_ieee_inexact 0
		.amdhsa_exception_int_div_zero 0
	.end_amdhsa_kernel
	.section	.text._ZN9rocsparseL33bsr2csr_block_per_row_8_32_kernelILj1024ELj8EfiiEEv20rocsparse_direction_T3_S2_21rocsparse_index_base_PKT1_PKT2_PKS2_S2_S3_PS4_PS7_PS2_,"axG",@progbits,_ZN9rocsparseL33bsr2csr_block_per_row_8_32_kernelILj1024ELj8EfiiEEv20rocsparse_direction_T3_S2_21rocsparse_index_base_PKT1_PKT2_PKS2_S2_S3_PS4_PS7_PS2_,comdat
.Lfunc_end111:
	.size	_ZN9rocsparseL33bsr2csr_block_per_row_8_32_kernelILj1024ELj8EfiiEEv20rocsparse_direction_T3_S2_21rocsparse_index_base_PKT1_PKT2_PKS2_S2_S3_PS4_PS7_PS2_, .Lfunc_end111-_ZN9rocsparseL33bsr2csr_block_per_row_8_32_kernelILj1024ELj8EfiiEEv20rocsparse_direction_T3_S2_21rocsparse_index_base_PKT1_PKT2_PKS2_S2_S3_PS4_PS7_PS2_
                                        ; -- End function
	.set _ZN9rocsparseL33bsr2csr_block_per_row_8_32_kernelILj1024ELj8EfiiEEv20rocsparse_direction_T3_S2_21rocsparse_index_base_PKT1_PKT2_PKS2_S2_S3_PS4_PS7_PS2_.num_vgpr, 13
	.set _ZN9rocsparseL33bsr2csr_block_per_row_8_32_kernelILj1024ELj8EfiiEEv20rocsparse_direction_T3_S2_21rocsparse_index_base_PKT1_PKT2_PKS2_S2_S3_PS4_PS7_PS2_.num_agpr, 0
	.set _ZN9rocsparseL33bsr2csr_block_per_row_8_32_kernelILj1024ELj8EfiiEEv20rocsparse_direction_T3_S2_21rocsparse_index_base_PKT1_PKT2_PKS2_S2_S3_PS4_PS7_PS2_.numbered_sgpr, 17
	.set _ZN9rocsparseL33bsr2csr_block_per_row_8_32_kernelILj1024ELj8EfiiEEv20rocsparse_direction_T3_S2_21rocsparse_index_base_PKT1_PKT2_PKS2_S2_S3_PS4_PS7_PS2_.num_named_barrier, 0
	.set _ZN9rocsparseL33bsr2csr_block_per_row_8_32_kernelILj1024ELj8EfiiEEv20rocsparse_direction_T3_S2_21rocsparse_index_base_PKT1_PKT2_PKS2_S2_S3_PS4_PS7_PS2_.private_seg_size, 0
	.set _ZN9rocsparseL33bsr2csr_block_per_row_8_32_kernelILj1024ELj8EfiiEEv20rocsparse_direction_T3_S2_21rocsparse_index_base_PKT1_PKT2_PKS2_S2_S3_PS4_PS7_PS2_.uses_vcc, 1
	.set _ZN9rocsparseL33bsr2csr_block_per_row_8_32_kernelILj1024ELj8EfiiEEv20rocsparse_direction_T3_S2_21rocsparse_index_base_PKT1_PKT2_PKS2_S2_S3_PS4_PS7_PS2_.uses_flat_scratch, 0
	.set _ZN9rocsparseL33bsr2csr_block_per_row_8_32_kernelILj1024ELj8EfiiEEv20rocsparse_direction_T3_S2_21rocsparse_index_base_PKT1_PKT2_PKS2_S2_S3_PS4_PS7_PS2_.has_dyn_sized_stack, 0
	.set _ZN9rocsparseL33bsr2csr_block_per_row_8_32_kernelILj1024ELj8EfiiEEv20rocsparse_direction_T3_S2_21rocsparse_index_base_PKT1_PKT2_PKS2_S2_S3_PS4_PS7_PS2_.has_recursion, 0
	.set _ZN9rocsparseL33bsr2csr_block_per_row_8_32_kernelILj1024ELj8EfiiEEv20rocsparse_direction_T3_S2_21rocsparse_index_base_PKT1_PKT2_PKS2_S2_S3_PS4_PS7_PS2_.has_indirect_call, 0
	.section	.AMDGPU.csdata,"",@progbits
; Kernel info:
; codeLenInByte = 572
; TotalNumSgprs: 19
; NumVgprs: 13
; ScratchSize: 0
; MemoryBound: 0
; FloatMode: 240
; IeeeMode: 1
; LDSByteSize: 0 bytes/workgroup (compile time only)
; SGPRBlocks: 0
; VGPRBlocks: 1
; NumSGPRsForWavesPerEU: 19
; NumVGPRsForWavesPerEU: 13
; Occupancy: 16
; WaveLimiterHint : 0
; COMPUTE_PGM_RSRC2:SCRATCH_EN: 0
; COMPUTE_PGM_RSRC2:USER_SGPR: 6
; COMPUTE_PGM_RSRC2:TRAP_HANDLER: 0
; COMPUTE_PGM_RSRC2:TGID_X_EN: 1
; COMPUTE_PGM_RSRC2:TGID_Y_EN: 0
; COMPUTE_PGM_RSRC2:TGID_Z_EN: 0
; COMPUTE_PGM_RSRC2:TIDIG_COMP_CNT: 0
	.section	.text._ZN9rocsparseL33bsr2csr_block_per_row_8_32_kernelILj1024ELj16EfiiEEv20rocsparse_direction_T3_S2_21rocsparse_index_base_PKT1_PKT2_PKS2_S2_S3_PS4_PS7_PS2_,"axG",@progbits,_ZN9rocsparseL33bsr2csr_block_per_row_8_32_kernelILj1024ELj16EfiiEEv20rocsparse_direction_T3_S2_21rocsparse_index_base_PKT1_PKT2_PKS2_S2_S3_PS4_PS7_PS2_,comdat
	.globl	_ZN9rocsparseL33bsr2csr_block_per_row_8_32_kernelILj1024ELj16EfiiEEv20rocsparse_direction_T3_S2_21rocsparse_index_base_PKT1_PKT2_PKS2_S2_S3_PS4_PS7_PS2_ ; -- Begin function _ZN9rocsparseL33bsr2csr_block_per_row_8_32_kernelILj1024ELj16EfiiEEv20rocsparse_direction_T3_S2_21rocsparse_index_base_PKT1_PKT2_PKS2_S2_S3_PS4_PS7_PS2_
	.p2align	8
	.type	_ZN9rocsparseL33bsr2csr_block_per_row_8_32_kernelILj1024ELj16EfiiEEv20rocsparse_direction_T3_S2_21rocsparse_index_base_PKT1_PKT2_PKS2_S2_S3_PS4_PS7_PS2_,@function
_ZN9rocsparseL33bsr2csr_block_per_row_8_32_kernelILj1024ELj16EfiiEEv20rocsparse_direction_T3_S2_21rocsparse_index_base_PKT1_PKT2_PKS2_S2_S3_PS4_PS7_PS2_: ; @_ZN9rocsparseL33bsr2csr_block_per_row_8_32_kernelILj1024ELj16EfiiEEv20rocsparse_direction_T3_S2_21rocsparse_index_base_PKT1_PKT2_PKS2_S2_S3_PS4_PS7_PS2_
; %bb.0:
	s_clause 0x2
	s_load_dwordx2 s[8:9], s[4:5], 0x18
	s_load_dwordx2 s[2:3], s[4:5], 0x28
	s_load_dwordx2 s[0:1], s[4:5], 0x38
	s_ashr_i32 s7, s6, 31
	v_or_b32_e32 v1, s6, v0
	s_lshl_b64 s[10:11], s[6:7], 2
	s_mov_b32 s7, exec_lo
	s_waitcnt lgkmcnt(0)
	s_add_u32 s8, s8, s10
	s_addc_u32 s9, s9, s11
	v_cmpx_eq_u32_e32 0, v1
	s_cbranch_execz .LBB112_2
; %bb.1:
	v_mov_b32_e32 v1, 0
	v_mov_b32_e32 v2, s3
	global_store_dword v1, v2, s[0:1]
.LBB112_2:
	s_or_b32 exec_lo, exec_lo, s7
	v_and_b32_e32 v1, 15, v0
	v_bfe_u32 v2, v0, 4, 4
	s_mov_b32 s7, exec_lo
	v_max_i32_e32 v3, v2, v1
	v_cmpx_gt_i32_e64 s2, v3
	s_cbranch_execz .LBB112_6
; %bb.3:
	s_load_dwordx2 s[8:9], s[8:9], 0x0
	s_load_dword s12, s[4:5], 0xc
	v_mad_u64_u32 v[4:5], null, s2, s6, v[2:3]
	v_lshrrev_b32_e32 v3, 8, v0
	s_mul_i32 s14, s2, s2
	v_ashrrev_i32_e32 v5, 31, v4
	v_lshlrev_b64 v[4:5], 2, v[4:5]
	v_add_co_u32 v4, vcc_lo, s0, v4
	s_waitcnt lgkmcnt(0)
	s_sub_i32 s15, s8, s12
	s_sub_i32 s13, s9, s12
	v_add_nc_u32_e32 v0, s15, v3
	s_sub_i32 s16, s13, s15
	s_mul_i32 s7, s15, s14
	s_mul_i32 s6, s16, s2
	v_add_co_ci_u32_e64 v5, null, s1, v5, vcc_lo
	v_mul_lo_u32 v6, s6, v2
	s_add_i32 s6, s6, s3
	v_cmp_gt_i32_e32 vcc_lo, s13, v0
	v_add3_u32 v6, s6, s7, v6
	global_store_dword v[4:5], v6, off offset:4
	s_and_b32 exec_lo, exec_lo, vcc_lo
	s_cbranch_execz .LBB112_6
; %bb.4:
	s_clause 0x2
	s_load_dwordx2 s[6:7], s[4:5], 0x20
	s_load_dwordx2 s[8:9], s[4:5], 0x30
	s_load_dword s0, s[4:5], 0x0
	v_mad_u64_u32 v[4:5], null, s2, v1, v[2:3]
	v_mad_u64_u32 v[5:6], null, s2, v2, v[1:2]
	v_mul_lo_u32 v6, s16, v2
	s_clause 0x1
	s_load_dwordx2 s[10:11], s[4:5], 0x10
	s_load_dwordx2 s[4:5], s[4:5], 0x40
	s_mov_b32 s1, 0
	s_waitcnt lgkmcnt(0)
	s_cmp_eq_u32 s0, 0
	s_mul_i32 s0, s2, s15
	s_cselect_b32 vcc_lo, -1, 0
	v_cndmask_b32_e32 v2, v4, v5, vcc_lo
	v_add3_u32 v4, v3, s0, v6
	v_add_nc_u32_e32 v6, s3, v1
	s_lshl_b32 s3, s14, 2
	v_mad_u64_u32 v[2:3], null, s14, v0, v[2:3]
	s_lshl_b32 s14, s2, 2
	v_mad_u64_u32 v[4:5], null, s2, v4, v[1:2]
	s_inst_prefetch 0x1
	.p2align	6
.LBB112_5:                              ; =>This Inner Loop Header: Depth=1
	v_ashrrev_i32_e32 v1, 31, v0
	v_ashrrev_i32_e32 v3, 31, v2
	;; [unrolled: 1-line block ×3, first 2 shown]
	v_lshlrev_b64 v[7:8], 2, v[0:1]
	v_add_nc_u32_e32 v0, 4, v0
	v_add_co_u32 v7, vcc_lo, s6, v7
	v_add_co_ci_u32_e64 v8, null, s7, v8, vcc_lo
	global_load_dword v1, v[7:8], off
	v_lshlrev_b64 v[7:8], 2, v[2:3]
	v_add_nc_u32_e32 v2, s3, v2
	v_add_co_u32 v7, vcc_lo, s10, v7
	v_add_co_ci_u32_e64 v8, null, s11, v8, vcc_lo
	v_cmp_le_i32_e32 vcc_lo, s13, v0
	global_load_dword v3, v[7:8], off
	v_lshlrev_b64 v[7:8], 2, v[4:5]
	v_add_nc_u32_e32 v4, s14, v4
	s_or_b32 s1, vcc_lo, s1
	v_add_co_u32 v9, s0, s4, v7
	v_add_co_ci_u32_e64 v10, null, s5, v8, s0
	s_waitcnt vmcnt(1)
	v_subrev_nc_u32_e32 v1, s12, v1
	v_mad_u64_u32 v[11:12], null, v1, s2, v[6:7]
	v_add_co_u32 v7, s0, s8, v7
	v_add_co_ci_u32_e64 v8, null, s9, v8, s0
	global_store_dword v[9:10], v11, off
	s_waitcnt vmcnt(0)
	global_store_dword v[7:8], v3, off
	s_andn2_b32 exec_lo, exec_lo, s1
	s_cbranch_execnz .LBB112_5
.LBB112_6:
	s_inst_prefetch 0x2
	s_endpgm
	.section	.rodata,"a",@progbits
	.p2align	6, 0x0
	.amdhsa_kernel _ZN9rocsparseL33bsr2csr_block_per_row_8_32_kernelILj1024ELj16EfiiEEv20rocsparse_direction_T3_S2_21rocsparse_index_base_PKT1_PKT2_PKS2_S2_S3_PS4_PS7_PS2_
		.amdhsa_group_segment_fixed_size 0
		.amdhsa_private_segment_fixed_size 0
		.amdhsa_kernarg_size 72
		.amdhsa_user_sgpr_count 6
		.amdhsa_user_sgpr_private_segment_buffer 1
		.amdhsa_user_sgpr_dispatch_ptr 0
		.amdhsa_user_sgpr_queue_ptr 0
		.amdhsa_user_sgpr_kernarg_segment_ptr 1
		.amdhsa_user_sgpr_dispatch_id 0
		.amdhsa_user_sgpr_flat_scratch_init 0
		.amdhsa_user_sgpr_private_segment_size 0
		.amdhsa_wavefront_size32 1
		.amdhsa_uses_dynamic_stack 0
		.amdhsa_system_sgpr_private_segment_wavefront_offset 0
		.amdhsa_system_sgpr_workgroup_id_x 1
		.amdhsa_system_sgpr_workgroup_id_y 0
		.amdhsa_system_sgpr_workgroup_id_z 0
		.amdhsa_system_sgpr_workgroup_info 0
		.amdhsa_system_vgpr_workitem_id 0
		.amdhsa_next_free_vgpr 13
		.amdhsa_next_free_sgpr 17
		.amdhsa_reserve_vcc 1
		.amdhsa_reserve_flat_scratch 0
		.amdhsa_float_round_mode_32 0
		.amdhsa_float_round_mode_16_64 0
		.amdhsa_float_denorm_mode_32 3
		.amdhsa_float_denorm_mode_16_64 3
		.amdhsa_dx10_clamp 1
		.amdhsa_ieee_mode 1
		.amdhsa_fp16_overflow 0
		.amdhsa_workgroup_processor_mode 1
		.amdhsa_memory_ordered 1
		.amdhsa_forward_progress 1
		.amdhsa_shared_vgpr_count 0
		.amdhsa_exception_fp_ieee_invalid_op 0
		.amdhsa_exception_fp_denorm_src 0
		.amdhsa_exception_fp_ieee_div_zero 0
		.amdhsa_exception_fp_ieee_overflow 0
		.amdhsa_exception_fp_ieee_underflow 0
		.amdhsa_exception_fp_ieee_inexact 0
		.amdhsa_exception_int_div_zero 0
	.end_amdhsa_kernel
	.section	.text._ZN9rocsparseL33bsr2csr_block_per_row_8_32_kernelILj1024ELj16EfiiEEv20rocsparse_direction_T3_S2_21rocsparse_index_base_PKT1_PKT2_PKS2_S2_S3_PS4_PS7_PS2_,"axG",@progbits,_ZN9rocsparseL33bsr2csr_block_per_row_8_32_kernelILj1024ELj16EfiiEEv20rocsparse_direction_T3_S2_21rocsparse_index_base_PKT1_PKT2_PKS2_S2_S3_PS4_PS7_PS2_,comdat
.Lfunc_end112:
	.size	_ZN9rocsparseL33bsr2csr_block_per_row_8_32_kernelILj1024ELj16EfiiEEv20rocsparse_direction_T3_S2_21rocsparse_index_base_PKT1_PKT2_PKS2_S2_S3_PS4_PS7_PS2_, .Lfunc_end112-_ZN9rocsparseL33bsr2csr_block_per_row_8_32_kernelILj1024ELj16EfiiEEv20rocsparse_direction_T3_S2_21rocsparse_index_base_PKT1_PKT2_PKS2_S2_S3_PS4_PS7_PS2_
                                        ; -- End function
	.set _ZN9rocsparseL33bsr2csr_block_per_row_8_32_kernelILj1024ELj16EfiiEEv20rocsparse_direction_T3_S2_21rocsparse_index_base_PKT1_PKT2_PKS2_S2_S3_PS4_PS7_PS2_.num_vgpr, 13
	.set _ZN9rocsparseL33bsr2csr_block_per_row_8_32_kernelILj1024ELj16EfiiEEv20rocsparse_direction_T3_S2_21rocsparse_index_base_PKT1_PKT2_PKS2_S2_S3_PS4_PS7_PS2_.num_agpr, 0
	.set _ZN9rocsparseL33bsr2csr_block_per_row_8_32_kernelILj1024ELj16EfiiEEv20rocsparse_direction_T3_S2_21rocsparse_index_base_PKT1_PKT2_PKS2_S2_S3_PS4_PS7_PS2_.numbered_sgpr, 17
	.set _ZN9rocsparseL33bsr2csr_block_per_row_8_32_kernelILj1024ELj16EfiiEEv20rocsparse_direction_T3_S2_21rocsparse_index_base_PKT1_PKT2_PKS2_S2_S3_PS4_PS7_PS2_.num_named_barrier, 0
	.set _ZN9rocsparseL33bsr2csr_block_per_row_8_32_kernelILj1024ELj16EfiiEEv20rocsparse_direction_T3_S2_21rocsparse_index_base_PKT1_PKT2_PKS2_S2_S3_PS4_PS7_PS2_.private_seg_size, 0
	.set _ZN9rocsparseL33bsr2csr_block_per_row_8_32_kernelILj1024ELj16EfiiEEv20rocsparse_direction_T3_S2_21rocsparse_index_base_PKT1_PKT2_PKS2_S2_S3_PS4_PS7_PS2_.uses_vcc, 1
	.set _ZN9rocsparseL33bsr2csr_block_per_row_8_32_kernelILj1024ELj16EfiiEEv20rocsparse_direction_T3_S2_21rocsparse_index_base_PKT1_PKT2_PKS2_S2_S3_PS4_PS7_PS2_.uses_flat_scratch, 0
	.set _ZN9rocsparseL33bsr2csr_block_per_row_8_32_kernelILj1024ELj16EfiiEEv20rocsparse_direction_T3_S2_21rocsparse_index_base_PKT1_PKT2_PKS2_S2_S3_PS4_PS7_PS2_.has_dyn_sized_stack, 0
	.set _ZN9rocsparseL33bsr2csr_block_per_row_8_32_kernelILj1024ELj16EfiiEEv20rocsparse_direction_T3_S2_21rocsparse_index_base_PKT1_PKT2_PKS2_S2_S3_PS4_PS7_PS2_.has_recursion, 0
	.set _ZN9rocsparseL33bsr2csr_block_per_row_8_32_kernelILj1024ELj16EfiiEEv20rocsparse_direction_T3_S2_21rocsparse_index_base_PKT1_PKT2_PKS2_S2_S3_PS4_PS7_PS2_.has_indirect_call, 0
	.section	.AMDGPU.csdata,"",@progbits
; Kernel info:
; codeLenInByte = 572
; TotalNumSgprs: 19
; NumVgprs: 13
; ScratchSize: 0
; MemoryBound: 0
; FloatMode: 240
; IeeeMode: 1
; LDSByteSize: 0 bytes/workgroup (compile time only)
; SGPRBlocks: 0
; VGPRBlocks: 1
; NumSGPRsForWavesPerEU: 19
; NumVGPRsForWavesPerEU: 13
; Occupancy: 16
; WaveLimiterHint : 0
; COMPUTE_PGM_RSRC2:SCRATCH_EN: 0
; COMPUTE_PGM_RSRC2:USER_SGPR: 6
; COMPUTE_PGM_RSRC2:TRAP_HANDLER: 0
; COMPUTE_PGM_RSRC2:TGID_X_EN: 1
; COMPUTE_PGM_RSRC2:TGID_Y_EN: 0
; COMPUTE_PGM_RSRC2:TGID_Z_EN: 0
; COMPUTE_PGM_RSRC2:TIDIG_COMP_CNT: 0
	.section	.text._ZN9rocsparseL33bsr2csr_block_per_row_8_32_kernelILj1024ELj32EfiiEEv20rocsparse_direction_T3_S2_21rocsparse_index_base_PKT1_PKT2_PKS2_S2_S3_PS4_PS7_PS2_,"axG",@progbits,_ZN9rocsparseL33bsr2csr_block_per_row_8_32_kernelILj1024ELj32EfiiEEv20rocsparse_direction_T3_S2_21rocsparse_index_base_PKT1_PKT2_PKS2_S2_S3_PS4_PS7_PS2_,comdat
	.globl	_ZN9rocsparseL33bsr2csr_block_per_row_8_32_kernelILj1024ELj32EfiiEEv20rocsparse_direction_T3_S2_21rocsparse_index_base_PKT1_PKT2_PKS2_S2_S3_PS4_PS7_PS2_ ; -- Begin function _ZN9rocsparseL33bsr2csr_block_per_row_8_32_kernelILj1024ELj32EfiiEEv20rocsparse_direction_T3_S2_21rocsparse_index_base_PKT1_PKT2_PKS2_S2_S3_PS4_PS7_PS2_
	.p2align	8
	.type	_ZN9rocsparseL33bsr2csr_block_per_row_8_32_kernelILj1024ELj32EfiiEEv20rocsparse_direction_T3_S2_21rocsparse_index_base_PKT1_PKT2_PKS2_S2_S3_PS4_PS7_PS2_,@function
_ZN9rocsparseL33bsr2csr_block_per_row_8_32_kernelILj1024ELj32EfiiEEv20rocsparse_direction_T3_S2_21rocsparse_index_base_PKT1_PKT2_PKS2_S2_S3_PS4_PS7_PS2_: ; @_ZN9rocsparseL33bsr2csr_block_per_row_8_32_kernelILj1024ELj32EfiiEEv20rocsparse_direction_T3_S2_21rocsparse_index_base_PKT1_PKT2_PKS2_S2_S3_PS4_PS7_PS2_
; %bb.0:
	s_clause 0x2
	s_load_dwordx2 s[2:3], s[4:5], 0x18
	s_load_dwordx2 s[0:1], s[4:5], 0x28
	;; [unrolled: 1-line block ×3, first 2 shown]
	s_ashr_i32 s7, s6, 31
	v_or_b32_e32 v1, s6, v0
	s_lshl_b64 s[10:11], s[6:7], 2
	s_mov_b32 s7, exec_lo
	s_waitcnt lgkmcnt(0)
	s_add_u32 s2, s2, s10
	s_addc_u32 s3, s3, s11
	v_cmpx_eq_u32_e32 0, v1
	s_cbranch_execz .LBB113_2
; %bb.1:
	v_mov_b32_e32 v1, 0
	v_mov_b32_e32 v2, s1
	global_store_dword v1, v2, s[8:9]
.LBB113_2:
	s_or_b32 exec_lo, exec_lo, s7
	v_and_b32_e32 v1, 31, v0
	v_lshrrev_b32_e32 v0, 5, v0
	s_mov_b32 s7, exec_lo
	v_max_i32_e32 v2, v0, v1
	v_cmpx_gt_i32_e64 s0, v2
	s_cbranch_execz .LBB113_6
; %bb.3:
	s_load_dwordx2 s[16:17], s[2:3], 0x0
	s_load_dword s12, s[4:5], 0xc
	v_mad_u64_u32 v[2:3], null, s0, s6, v[0:1]
	s_mul_i32 s14, s0, s0
	v_ashrrev_i32_e32 v3, 31, v2
	v_lshlrev_b64 v[2:3], 2, v[2:3]
	v_add_co_u32 v2, vcc_lo, s8, v2
	s_waitcnt lgkmcnt(0)
	s_sub_i32 s2, s16, s12
	s_sub_i32 s13, s17, s12
	s_mul_i32 s10, s2, s14
	s_sub_i32 s3, s13, s2
	v_add_co_ci_u32_e64 v3, null, s9, v3, vcc_lo
	s_mul_i32 s6, s3, s0
	v_mul_lo_u32 v4, s6, v0
	s_add_i32 s6, s6, s1
	s_cmp_ge_i32 s16, s17
	v_add3_u32 v4, s6, s10, v4
	global_store_dword v[2:3], v4, off offset:4
	s_cbranch_scc1 .LBB113_6
; %bb.4:
	s_clause 0x3
	s_load_dwordx2 s[16:17], s[4:5], 0x20
	s_load_dwordx2 s[6:7], s[4:5], 0x30
	s_load_dword s11, s[4:5], 0x0
	s_load_dwordx2 s[8:9], s[4:5], 0x10
	v_mul_lo_u32 v2, v0, s3
	v_mad_u64_u32 v[3:4], null, s0, v1, v[0:1]
	s_load_dwordx2 s[4:5], s[4:5], 0x40
	v_mad_u64_u32 v[4:5], null, s0, v0, v[1:2]
	v_mad_u64_u32 v[5:6], null, s0, s2, v[2:3]
	v_add_nc_u32_e32 v0, s1, v1
	v_mad_u64_u32 v[1:2], null, s0, v5, v[1:2]
	s_waitcnt lgkmcnt(0)
	s_cmp_eq_u32 s11, 0
	s_cselect_b32 vcc_lo, -1, 0
	s_ashr_i32 s3, s2, 31
	v_cndmask_b32_e32 v3, v3, v4, vcc_lo
	v_add_nc_u32_e32 v3, s10, v3
	s_lshl_b64 s[10:11], s[2:3], 2
	s_add_u32 s10, s16, s10
	s_addc_u32 s11, s17, s11
	s_inst_prefetch 0x1
	.p2align	6
.LBB113_5:                              ; =>This Inner Loop Header: Depth=1
	v_ashrrev_i32_e32 v4, 31, v3
	s_load_dword s1, s[10:11], 0x0
	v_ashrrev_i32_e32 v2, 31, v1
	s_add_i32 s2, s2, 1
	v_lshlrev_b64 v[4:5], 2, v[3:4]
	v_add_nc_u32_e32 v3, s14, v3
	v_add_co_u32 v4, vcc_lo, s8, v4
	v_add_co_ci_u32_e64 v5, null, s9, v5, vcc_lo
	global_load_dword v10, v[4:5], off
	v_lshlrev_b64 v[4:5], 2, v[1:2]
	v_add_nc_u32_e32 v1, s0, v1
	s_waitcnt lgkmcnt(0)
	s_sub_i32 s1, s1, s12
	s_add_u32 s10, s10, 4
	s_addc_u32 s11, s11, 0
	s_cmp_lt_i32 s2, s13
	v_add_co_u32 v6, vcc_lo, s4, v4
	v_mad_u64_u32 v[8:9], null, s1, s0, v[0:1]
	v_add_co_ci_u32_e64 v7, null, s5, v5, vcc_lo
	v_add_co_u32 v4, vcc_lo, s6, v4
	v_add_co_ci_u32_e64 v5, null, s7, v5, vcc_lo
	global_store_dword v[6:7], v8, off
	s_waitcnt vmcnt(0)
	global_store_dword v[4:5], v10, off
	s_cbranch_scc1 .LBB113_5
.LBB113_6:
	s_inst_prefetch 0x2
	s_endpgm
	.section	.rodata,"a",@progbits
	.p2align	6, 0x0
	.amdhsa_kernel _ZN9rocsparseL33bsr2csr_block_per_row_8_32_kernelILj1024ELj32EfiiEEv20rocsparse_direction_T3_S2_21rocsparse_index_base_PKT1_PKT2_PKS2_S2_S3_PS4_PS7_PS2_
		.amdhsa_group_segment_fixed_size 0
		.amdhsa_private_segment_fixed_size 0
		.amdhsa_kernarg_size 72
		.amdhsa_user_sgpr_count 6
		.amdhsa_user_sgpr_private_segment_buffer 1
		.amdhsa_user_sgpr_dispatch_ptr 0
		.amdhsa_user_sgpr_queue_ptr 0
		.amdhsa_user_sgpr_kernarg_segment_ptr 1
		.amdhsa_user_sgpr_dispatch_id 0
		.amdhsa_user_sgpr_flat_scratch_init 0
		.amdhsa_user_sgpr_private_segment_size 0
		.amdhsa_wavefront_size32 1
		.amdhsa_uses_dynamic_stack 0
		.amdhsa_system_sgpr_private_segment_wavefront_offset 0
		.amdhsa_system_sgpr_workgroup_id_x 1
		.amdhsa_system_sgpr_workgroup_id_y 0
		.amdhsa_system_sgpr_workgroup_id_z 0
		.amdhsa_system_sgpr_workgroup_info 0
		.amdhsa_system_vgpr_workitem_id 0
		.amdhsa_next_free_vgpr 11
		.amdhsa_next_free_sgpr 18
		.amdhsa_reserve_vcc 1
		.amdhsa_reserve_flat_scratch 0
		.amdhsa_float_round_mode_32 0
		.amdhsa_float_round_mode_16_64 0
		.amdhsa_float_denorm_mode_32 3
		.amdhsa_float_denorm_mode_16_64 3
		.amdhsa_dx10_clamp 1
		.amdhsa_ieee_mode 1
		.amdhsa_fp16_overflow 0
		.amdhsa_workgroup_processor_mode 1
		.amdhsa_memory_ordered 1
		.amdhsa_forward_progress 1
		.amdhsa_shared_vgpr_count 0
		.amdhsa_exception_fp_ieee_invalid_op 0
		.amdhsa_exception_fp_denorm_src 0
		.amdhsa_exception_fp_ieee_div_zero 0
		.amdhsa_exception_fp_ieee_overflow 0
		.amdhsa_exception_fp_ieee_underflow 0
		.amdhsa_exception_fp_ieee_inexact 0
		.amdhsa_exception_int_div_zero 0
	.end_amdhsa_kernel
	.section	.text._ZN9rocsparseL33bsr2csr_block_per_row_8_32_kernelILj1024ELj32EfiiEEv20rocsparse_direction_T3_S2_21rocsparse_index_base_PKT1_PKT2_PKS2_S2_S3_PS4_PS7_PS2_,"axG",@progbits,_ZN9rocsparseL33bsr2csr_block_per_row_8_32_kernelILj1024ELj32EfiiEEv20rocsparse_direction_T3_S2_21rocsparse_index_base_PKT1_PKT2_PKS2_S2_S3_PS4_PS7_PS2_,comdat
.Lfunc_end113:
	.size	_ZN9rocsparseL33bsr2csr_block_per_row_8_32_kernelILj1024ELj32EfiiEEv20rocsparse_direction_T3_S2_21rocsparse_index_base_PKT1_PKT2_PKS2_S2_S3_PS4_PS7_PS2_, .Lfunc_end113-_ZN9rocsparseL33bsr2csr_block_per_row_8_32_kernelILj1024ELj32EfiiEEv20rocsparse_direction_T3_S2_21rocsparse_index_base_PKT1_PKT2_PKS2_S2_S3_PS4_PS7_PS2_
                                        ; -- End function
	.set _ZN9rocsparseL33bsr2csr_block_per_row_8_32_kernelILj1024ELj32EfiiEEv20rocsparse_direction_T3_S2_21rocsparse_index_base_PKT1_PKT2_PKS2_S2_S3_PS4_PS7_PS2_.num_vgpr, 11
	.set _ZN9rocsparseL33bsr2csr_block_per_row_8_32_kernelILj1024ELj32EfiiEEv20rocsparse_direction_T3_S2_21rocsparse_index_base_PKT1_PKT2_PKS2_S2_S3_PS4_PS7_PS2_.num_agpr, 0
	.set _ZN9rocsparseL33bsr2csr_block_per_row_8_32_kernelILj1024ELj32EfiiEEv20rocsparse_direction_T3_S2_21rocsparse_index_base_PKT1_PKT2_PKS2_S2_S3_PS4_PS7_PS2_.numbered_sgpr, 18
	.set _ZN9rocsparseL33bsr2csr_block_per_row_8_32_kernelILj1024ELj32EfiiEEv20rocsparse_direction_T3_S2_21rocsparse_index_base_PKT1_PKT2_PKS2_S2_S3_PS4_PS7_PS2_.num_named_barrier, 0
	.set _ZN9rocsparseL33bsr2csr_block_per_row_8_32_kernelILj1024ELj32EfiiEEv20rocsparse_direction_T3_S2_21rocsparse_index_base_PKT1_PKT2_PKS2_S2_S3_PS4_PS7_PS2_.private_seg_size, 0
	.set _ZN9rocsparseL33bsr2csr_block_per_row_8_32_kernelILj1024ELj32EfiiEEv20rocsparse_direction_T3_S2_21rocsparse_index_base_PKT1_PKT2_PKS2_S2_S3_PS4_PS7_PS2_.uses_vcc, 1
	.set _ZN9rocsparseL33bsr2csr_block_per_row_8_32_kernelILj1024ELj32EfiiEEv20rocsparse_direction_T3_S2_21rocsparse_index_base_PKT1_PKT2_PKS2_S2_S3_PS4_PS7_PS2_.uses_flat_scratch, 0
	.set _ZN9rocsparseL33bsr2csr_block_per_row_8_32_kernelILj1024ELj32EfiiEEv20rocsparse_direction_T3_S2_21rocsparse_index_base_PKT1_PKT2_PKS2_S2_S3_PS4_PS7_PS2_.has_dyn_sized_stack, 0
	.set _ZN9rocsparseL33bsr2csr_block_per_row_8_32_kernelILj1024ELj32EfiiEEv20rocsparse_direction_T3_S2_21rocsparse_index_base_PKT1_PKT2_PKS2_S2_S3_PS4_PS7_PS2_.has_recursion, 0
	.set _ZN9rocsparseL33bsr2csr_block_per_row_8_32_kernelILj1024ELj32EfiiEEv20rocsparse_direction_T3_S2_21rocsparse_index_base_PKT1_PKT2_PKS2_S2_S3_PS4_PS7_PS2_.has_indirect_call, 0
	.section	.AMDGPU.csdata,"",@progbits
; Kernel info:
; codeLenInByte = 544
; TotalNumSgprs: 20
; NumVgprs: 11
; ScratchSize: 0
; MemoryBound: 0
; FloatMode: 240
; IeeeMode: 1
; LDSByteSize: 0 bytes/workgroup (compile time only)
; SGPRBlocks: 0
; VGPRBlocks: 1
; NumSGPRsForWavesPerEU: 20
; NumVGPRsForWavesPerEU: 11
; Occupancy: 16
; WaveLimiterHint : 0
; COMPUTE_PGM_RSRC2:SCRATCH_EN: 0
; COMPUTE_PGM_RSRC2:USER_SGPR: 6
; COMPUTE_PGM_RSRC2:TRAP_HANDLER: 0
; COMPUTE_PGM_RSRC2:TGID_X_EN: 1
; COMPUTE_PGM_RSRC2:TGID_Y_EN: 0
; COMPUTE_PGM_RSRC2:TGID_Z_EN: 0
; COMPUTE_PGM_RSRC2:TIDIG_COMP_CNT: 0
	.section	.text._ZN9rocsparseL35bsr2csr_block_per_row_33_256_kernelILj1024ELj64ELj32EfiiEEv20rocsparse_direction_T4_S2_21rocsparse_index_base_PKT2_PKT3_PKS2_S2_S3_PS4_PS7_PS2_,"axG",@progbits,_ZN9rocsparseL35bsr2csr_block_per_row_33_256_kernelILj1024ELj64ELj32EfiiEEv20rocsparse_direction_T4_S2_21rocsparse_index_base_PKT2_PKT3_PKS2_S2_S3_PS4_PS7_PS2_,comdat
	.globl	_ZN9rocsparseL35bsr2csr_block_per_row_33_256_kernelILj1024ELj64ELj32EfiiEEv20rocsparse_direction_T4_S2_21rocsparse_index_base_PKT2_PKT3_PKS2_S2_S3_PS4_PS7_PS2_ ; -- Begin function _ZN9rocsparseL35bsr2csr_block_per_row_33_256_kernelILj1024ELj64ELj32EfiiEEv20rocsparse_direction_T4_S2_21rocsparse_index_base_PKT2_PKT3_PKS2_S2_S3_PS4_PS7_PS2_
	.p2align	8
	.type	_ZN9rocsparseL35bsr2csr_block_per_row_33_256_kernelILj1024ELj64ELj32EfiiEEv20rocsparse_direction_T4_S2_21rocsparse_index_base_PKT2_PKT3_PKS2_S2_S3_PS4_PS7_PS2_,@function
_ZN9rocsparseL35bsr2csr_block_per_row_33_256_kernelILj1024ELj64ELj32EfiiEEv20rocsparse_direction_T4_S2_21rocsparse_index_base_PKT2_PKT3_PKS2_S2_S3_PS4_PS7_PS2_: ; @_ZN9rocsparseL35bsr2csr_block_per_row_33_256_kernelILj1024ELj64ELj32EfiiEEv20rocsparse_direction_T4_S2_21rocsparse_index_base_PKT2_PKT3_PKS2_S2_S3_PS4_PS7_PS2_
; %bb.0:
	s_load_dwordx2 s[0:1], s[4:5], 0x18
	s_ashr_i32 s7, s6, 31
	s_clause 0x1
	s_load_dwordx2 s[8:9], s[4:5], 0x28
	s_load_dwordx2 s[2:3], s[4:5], 0x38
	s_lshl_b64 s[10:11], s[6:7], 2
	v_or_b32_e32 v1, s6, v0
	s_waitcnt lgkmcnt(0)
	s_add_u32 s0, s0, s10
	s_addc_u32 s1, s1, s11
	s_load_dwordx2 s[14:15], s[0:1], 0x0
	s_mov_b32 s0, exec_lo
	v_cmpx_eq_u32_e32 0, v1
	s_cbranch_execz .LBB114_2
; %bb.1:
	v_mov_b32_e32 v1, 0
	v_mov_b32_e32 v2, s9
	global_store_dword v1, v2, s[2:3]
.LBB114_2:
	s_or_b32 exec_lo, exec_lo, s0
	s_load_dword s17, s[4:5], 0xc
	v_lshrrev_b32_e32 v1, 5, v0
	s_mul_i32 s6, s8, s6
	v_cmp_gt_i32_e64 s0, s8, v1
	s_waitcnt lgkmcnt(0)
	s_sub_i32 s10, s14, s17
	s_sub_i32 s18, s15, s17
	s_mul_i32 s16, s8, s10
	s_sub_i32 s11, s18, s10
	s_mul_i32 s1, s16, s8
	s_mul_i32 s7, s11, s8
	s_add_i32 s1, s1, s9
	s_add_i32 s12, s1, s7
	s_and_saveexec_b32 s1, s0
	s_cbranch_execz .LBB114_4
; %bb.3:
	v_add_nc_u32_e32 v2, s6, v1
	v_mad_u64_u32 v[4:5], null, v1, s7, s[12:13]
	v_ashrrev_i32_e32 v3, 31, v2
	v_lshlrev_b64 v[2:3], 2, v[2:3]
	v_add_co_u32 v2, vcc_lo, s2, v2
	v_add_co_ci_u32_e64 v3, null, s3, v3, vcc_lo
	global_store_dword v[2:3], v4, off offset:4
.LBB114_4:
	s_or_b32 exec_lo, exec_lo, s1
	v_or_b32_e32 v2, 32, v1
	v_cmp_gt_i32_e64 s1, s8, v2
	s_and_saveexec_b32 s13, s1
	s_cbranch_execz .LBB114_6
; %bb.5:
	s_ashr_i32 s19, s6, 31
	v_add_co_u32 v3, s6, v1, s6
	v_add_co_ci_u32_e64 v4, null, 0, s19, s6
	v_mad_u64_u32 v[5:6], null, v2, s7, s[12:13]
	v_lshlrev_b64 v[3:4], 2, v[3:4]
	v_add_co_u32 v2, vcc_lo, s2, v3
	v_add_co_ci_u32_e64 v3, null, s3, v4, vcc_lo
	global_store_dword v[2:3], v5, off offset:132
.LBB114_6:
	s_or_b32 exec_lo, exec_lo, s13
	s_cmp_lt_i32 s14, s15
	s_cbranch_scc0 .LBB114_17
; %bb.7:
	s_clause 0x3
	s_load_dwordx2 s[20:21], s[4:5], 0x20
	s_load_dwordx2 s[6:7], s[4:5], 0x30
	s_load_dword s22, s[4:5], 0x0
	s_load_dwordx2 s[12:13], s[4:5], 0x10
	v_mad_u64_u32 v[8:9], null, v1, s11, s[16:17]
	v_and_b32_e32 v0, 31, v0
	s_load_dwordx2 s[4:5], s[4:5], 0x40
	v_add_nc_u32_e32 v3, s16, v1
	s_mul_i32 s19, s8, s8
	v_add_nc_u32_e32 v5, s16, v0
	v_lshl_add_u32 v6, s15, 5, v8
	v_or_b32_e32 v2, 32, v0
	v_add_nc_u32_e32 v4, 32, v3
	v_cmp_gt_i32_e64 s2, s8, v0
	v_add_nc_u32_e32 v7, 32, v5
	v_mul_lo_u32 v3, s8, v3
	v_cmp_gt_i32_e64 s3, s8, v2
	v_mul_lo_u32 v4, s8, v4
	v_mul_lo_u32 v5, s8, v5
	;; [unrolled: 1-line block ×3, first 2 shown]
	s_waitcnt lgkmcnt(0)
	s_cmp_eq_u32 s22, 0
	s_cselect_b32 vcc_lo, -1, 0
	s_lshl_b32 s11, s14, 5
	s_and_b32 s14, s0, s2
	v_subrev_nc_u32_e32 v9, s11, v6
	v_mul_lo_u32 v6, s8, v7
	s_ashr_i32 s11, s10, 31
	s_and_b32 s15, s0, s3
	s_lshl_b64 s[22:23], s[10:11], 2
	v_mul_lo_u32 v7, s8, v9
	s_and_b32 s16, s1, s2
	s_and_b32 s1, s1, s3
	s_add_u32 s2, s20, s22
	s_addc_u32 s3, s21, s23
	s_branch .LBB114_9
.LBB114_8:                              ;   in Loop: Header=BB114_9 Depth=1
	s_or_b32 exec_lo, exec_lo, s11
	s_add_i32 s10, s10, 1
	v_add_nc_u32_e32 v4, s19, v4
	v_add_nc_u32_e32 v3, s19, v3
	;; [unrolled: 1-line block ×5, first 2 shown]
	s_add_u32 s2, s2, 4
	s_addc_u32 s3, s3, 0
	s_cmp_ge_i32 s10, s18
	s_cbranch_scc1 .LBB114_17
.LBB114_9:                              ; =>This Inner Loop Header: Depth=1
	s_load_dword s0, s[2:3], 0x0
	s_waitcnt lgkmcnt(0)
	s_sub_i32 s0, s0, s17
	s_mul_i32 s11, s0, s8
	s_add_i32 s11, s11, s9
	v_add_nc_u32_e32 v9, s11, v0
	s_and_saveexec_b32 s20, s14
	s_cbranch_execz .LBB114_11
; %bb.10:                               ;   in Loop: Header=BB114_9 Depth=1
	v_add_nc_u32_e32 v10, v0, v3
	v_add_nc_u32_e32 v11, v5, v1
	v_cndmask_b32_e32 v10, v11, v10, vcc_lo
	v_ashrrev_i32_e32 v11, 31, v10
	v_lshlrev_b64 v[10:11], 2, v[10:11]
	v_add_co_u32 v10, s0, s12, v10
	v_add_co_ci_u32_e64 v11, null, s13, v11, s0
	global_load_dword v14, v[10:11], off
	v_add_nc_u32_e32 v10, v0, v8
	v_ashrrev_i32_e32 v11, 31, v10
	v_lshlrev_b64 v[10:11], 2, v[10:11]
	v_add_co_u32 v12, s0, s4, v10
	v_add_co_ci_u32_e64 v13, null, s5, v11, s0
	v_add_co_u32 v10, s0, s6, v10
	v_add_co_ci_u32_e64 v11, null, s7, v11, s0
	global_store_dword v[12:13], v9, off
	s_waitcnt vmcnt(0)
	global_store_dword v[10:11], v14, off
.LBB114_11:                             ;   in Loop: Header=BB114_9 Depth=1
	s_or_b32 exec_lo, exec_lo, s20
	v_add_nc_u32_e32 v10, s11, v2
	v_add_nc_u32_e32 v11, v6, v1
	s_and_saveexec_b32 s11, s15
	s_cbranch_execnz .LBB114_14
; %bb.12:                               ;   in Loop: Header=BB114_9 Depth=1
	s_or_b32 exec_lo, exec_lo, s11
	v_add_nc_u32_e32 v12, v0, v4
	s_and_saveexec_b32 s11, s16
	s_cbranch_execnz .LBB114_15
.LBB114_13:                             ;   in Loop: Header=BB114_9 Depth=1
	s_or_b32 exec_lo, exec_lo, s11
	s_and_saveexec_b32 s11, s1
	s_cbranch_execz .LBB114_8
	s_branch .LBB114_16
.LBB114_14:                             ;   in Loop: Header=BB114_9 Depth=1
	v_add3_u32 v12, v0, v3, 32
	v_cndmask_b32_e32 v12, v11, v12, vcc_lo
	v_ashrrev_i32_e32 v13, 31, v12
	v_lshlrev_b64 v[12:13], 2, v[12:13]
	v_add_co_u32 v12, s0, s12, v12
	v_add_co_ci_u32_e64 v13, null, s13, v13, s0
	global_load_dword v16, v[12:13], off
	v_add3_u32 v12, v0, v8, 32
	v_ashrrev_i32_e32 v13, 31, v12
	v_lshlrev_b64 v[12:13], 2, v[12:13]
	v_add_co_u32 v14, s0, s4, v12
	v_add_co_ci_u32_e64 v15, null, s5, v13, s0
	v_add_co_u32 v12, s0, s6, v12
	v_add_co_ci_u32_e64 v13, null, s7, v13, s0
	global_store_dword v[14:15], v10, off
	s_waitcnt vmcnt(0)
	global_store_dword v[12:13], v16, off
	s_or_b32 exec_lo, exec_lo, s11
	v_add_nc_u32_e32 v12, v0, v4
	s_and_saveexec_b32 s11, s16
	s_cbranch_execz .LBB114_13
.LBB114_15:                             ;   in Loop: Header=BB114_9 Depth=1
	v_add3_u32 v13, v5, v1, 32
	v_cndmask_b32_e32 v13, v13, v12, vcc_lo
	v_ashrrev_i32_e32 v14, 31, v13
	v_lshlrev_b64 v[13:14], 2, v[13:14]
	v_add_co_u32 v13, s0, s12, v13
	v_add_co_ci_u32_e64 v14, null, s13, v14, s0
	global_load_dword v17, v[13:14], off
	v_add_nc_u32_e32 v13, v0, v7
	v_ashrrev_i32_e32 v14, 31, v13
	v_lshlrev_b64 v[13:14], 2, v[13:14]
	v_add_co_u32 v15, s0, s4, v13
	v_add_co_ci_u32_e64 v16, null, s5, v14, s0
	v_add_co_u32 v13, s0, s6, v13
	v_add_co_ci_u32_e64 v14, null, s7, v14, s0
	global_store_dword v[15:16], v9, off
	s_waitcnt vmcnt(0)
	global_store_dword v[13:14], v17, off
	s_or_b32 exec_lo, exec_lo, s11
	s_and_saveexec_b32 s11, s1
	s_cbranch_execz .LBB114_8
.LBB114_16:                             ;   in Loop: Header=BB114_9 Depth=1
	v_cndmask_b32_e32 v9, v11, v12, vcc_lo
	v_add_nc_u32_e32 v11, 32, v9
	v_ashrrev_i32_e32 v12, 31, v11
	v_lshlrev_b64 v[11:12], 2, v[11:12]
	v_add_co_u32 v11, s0, s12, v11
	v_add_co_ci_u32_e64 v12, null, s13, v12, s0
	global_load_dword v9, v[11:12], off
	v_add3_u32 v11, v0, v7, 32
	v_ashrrev_i32_e32 v12, 31, v11
	v_lshlrev_b64 v[11:12], 2, v[11:12]
	v_add_co_u32 v13, s0, s4, v11
	v_add_co_ci_u32_e64 v14, null, s5, v12, s0
	v_add_co_u32 v11, s0, s6, v11
	v_add_co_ci_u32_e64 v12, null, s7, v12, s0
	global_store_dword v[13:14], v10, off
	s_waitcnt vmcnt(0)
	global_store_dword v[11:12], v9, off
	s_branch .LBB114_8
.LBB114_17:
	s_endpgm
	.section	.rodata,"a",@progbits
	.p2align	6, 0x0
	.amdhsa_kernel _ZN9rocsparseL35bsr2csr_block_per_row_33_256_kernelILj1024ELj64ELj32EfiiEEv20rocsparse_direction_T4_S2_21rocsparse_index_base_PKT2_PKT3_PKS2_S2_S3_PS4_PS7_PS2_
		.amdhsa_group_segment_fixed_size 0
		.amdhsa_private_segment_fixed_size 0
		.amdhsa_kernarg_size 72
		.amdhsa_user_sgpr_count 6
		.amdhsa_user_sgpr_private_segment_buffer 1
		.amdhsa_user_sgpr_dispatch_ptr 0
		.amdhsa_user_sgpr_queue_ptr 0
		.amdhsa_user_sgpr_kernarg_segment_ptr 1
		.amdhsa_user_sgpr_dispatch_id 0
		.amdhsa_user_sgpr_flat_scratch_init 0
		.amdhsa_user_sgpr_private_segment_size 0
		.amdhsa_wavefront_size32 1
		.amdhsa_uses_dynamic_stack 0
		.amdhsa_system_sgpr_private_segment_wavefront_offset 0
		.amdhsa_system_sgpr_workgroup_id_x 1
		.amdhsa_system_sgpr_workgroup_id_y 0
		.amdhsa_system_sgpr_workgroup_id_z 0
		.amdhsa_system_sgpr_workgroup_info 0
		.amdhsa_system_vgpr_workitem_id 0
		.amdhsa_next_free_vgpr 18
		.amdhsa_next_free_sgpr 24
		.amdhsa_reserve_vcc 1
		.amdhsa_reserve_flat_scratch 0
		.amdhsa_float_round_mode_32 0
		.amdhsa_float_round_mode_16_64 0
		.amdhsa_float_denorm_mode_32 3
		.amdhsa_float_denorm_mode_16_64 3
		.amdhsa_dx10_clamp 1
		.amdhsa_ieee_mode 1
		.amdhsa_fp16_overflow 0
		.amdhsa_workgroup_processor_mode 1
		.amdhsa_memory_ordered 1
		.amdhsa_forward_progress 1
		.amdhsa_shared_vgpr_count 0
		.amdhsa_exception_fp_ieee_invalid_op 0
		.amdhsa_exception_fp_denorm_src 0
		.amdhsa_exception_fp_ieee_div_zero 0
		.amdhsa_exception_fp_ieee_overflow 0
		.amdhsa_exception_fp_ieee_underflow 0
		.amdhsa_exception_fp_ieee_inexact 0
		.amdhsa_exception_int_div_zero 0
	.end_amdhsa_kernel
	.section	.text._ZN9rocsparseL35bsr2csr_block_per_row_33_256_kernelILj1024ELj64ELj32EfiiEEv20rocsparse_direction_T4_S2_21rocsparse_index_base_PKT2_PKT3_PKS2_S2_S3_PS4_PS7_PS2_,"axG",@progbits,_ZN9rocsparseL35bsr2csr_block_per_row_33_256_kernelILj1024ELj64ELj32EfiiEEv20rocsparse_direction_T4_S2_21rocsparse_index_base_PKT2_PKT3_PKS2_S2_S3_PS4_PS7_PS2_,comdat
.Lfunc_end114:
	.size	_ZN9rocsparseL35bsr2csr_block_per_row_33_256_kernelILj1024ELj64ELj32EfiiEEv20rocsparse_direction_T4_S2_21rocsparse_index_base_PKT2_PKT3_PKS2_S2_S3_PS4_PS7_PS2_, .Lfunc_end114-_ZN9rocsparseL35bsr2csr_block_per_row_33_256_kernelILj1024ELj64ELj32EfiiEEv20rocsparse_direction_T4_S2_21rocsparse_index_base_PKT2_PKT3_PKS2_S2_S3_PS4_PS7_PS2_
                                        ; -- End function
	.set _ZN9rocsparseL35bsr2csr_block_per_row_33_256_kernelILj1024ELj64ELj32EfiiEEv20rocsparse_direction_T4_S2_21rocsparse_index_base_PKT2_PKT3_PKS2_S2_S3_PS4_PS7_PS2_.num_vgpr, 18
	.set _ZN9rocsparseL35bsr2csr_block_per_row_33_256_kernelILj1024ELj64ELj32EfiiEEv20rocsparse_direction_T4_S2_21rocsparse_index_base_PKT2_PKT3_PKS2_S2_S3_PS4_PS7_PS2_.num_agpr, 0
	.set _ZN9rocsparseL35bsr2csr_block_per_row_33_256_kernelILj1024ELj64ELj32EfiiEEv20rocsparse_direction_T4_S2_21rocsparse_index_base_PKT2_PKT3_PKS2_S2_S3_PS4_PS7_PS2_.numbered_sgpr, 24
	.set _ZN9rocsparseL35bsr2csr_block_per_row_33_256_kernelILj1024ELj64ELj32EfiiEEv20rocsparse_direction_T4_S2_21rocsparse_index_base_PKT2_PKT3_PKS2_S2_S3_PS4_PS7_PS2_.num_named_barrier, 0
	.set _ZN9rocsparseL35bsr2csr_block_per_row_33_256_kernelILj1024ELj64ELj32EfiiEEv20rocsparse_direction_T4_S2_21rocsparse_index_base_PKT2_PKT3_PKS2_S2_S3_PS4_PS7_PS2_.private_seg_size, 0
	.set _ZN9rocsparseL35bsr2csr_block_per_row_33_256_kernelILj1024ELj64ELj32EfiiEEv20rocsparse_direction_T4_S2_21rocsparse_index_base_PKT2_PKT3_PKS2_S2_S3_PS4_PS7_PS2_.uses_vcc, 1
	.set _ZN9rocsparseL35bsr2csr_block_per_row_33_256_kernelILj1024ELj64ELj32EfiiEEv20rocsparse_direction_T4_S2_21rocsparse_index_base_PKT2_PKT3_PKS2_S2_S3_PS4_PS7_PS2_.uses_flat_scratch, 0
	.set _ZN9rocsparseL35bsr2csr_block_per_row_33_256_kernelILj1024ELj64ELj32EfiiEEv20rocsparse_direction_T4_S2_21rocsparse_index_base_PKT2_PKT3_PKS2_S2_S3_PS4_PS7_PS2_.has_dyn_sized_stack, 0
	.set _ZN9rocsparseL35bsr2csr_block_per_row_33_256_kernelILj1024ELj64ELj32EfiiEEv20rocsparse_direction_T4_S2_21rocsparse_index_base_PKT2_PKT3_PKS2_S2_S3_PS4_PS7_PS2_.has_recursion, 0
	.set _ZN9rocsparseL35bsr2csr_block_per_row_33_256_kernelILj1024ELj64ELj32EfiiEEv20rocsparse_direction_T4_S2_21rocsparse_index_base_PKT2_PKT3_PKS2_S2_S3_PS4_PS7_PS2_.has_indirect_call, 0
	.section	.AMDGPU.csdata,"",@progbits
; Kernel info:
; codeLenInByte = 1148
; TotalNumSgprs: 26
; NumVgprs: 18
; ScratchSize: 0
; MemoryBound: 0
; FloatMode: 240
; IeeeMode: 1
; LDSByteSize: 0 bytes/workgroup (compile time only)
; SGPRBlocks: 0
; VGPRBlocks: 2
; NumSGPRsForWavesPerEU: 26
; NumVGPRsForWavesPerEU: 18
; Occupancy: 16
; WaveLimiterHint : 1
; COMPUTE_PGM_RSRC2:SCRATCH_EN: 0
; COMPUTE_PGM_RSRC2:USER_SGPR: 6
; COMPUTE_PGM_RSRC2:TRAP_HANDLER: 0
; COMPUTE_PGM_RSRC2:TGID_X_EN: 1
; COMPUTE_PGM_RSRC2:TGID_Y_EN: 0
; COMPUTE_PGM_RSRC2:TGID_Z_EN: 0
; COMPUTE_PGM_RSRC2:TIDIG_COMP_CNT: 0
	.section	.text._ZN9rocsparseL35bsr2csr_block_per_row_33_256_kernelILj1024ELj128ELj32EfiiEEv20rocsparse_direction_T4_S2_21rocsparse_index_base_PKT2_PKT3_PKS2_S2_S3_PS4_PS7_PS2_,"axG",@progbits,_ZN9rocsparseL35bsr2csr_block_per_row_33_256_kernelILj1024ELj128ELj32EfiiEEv20rocsparse_direction_T4_S2_21rocsparse_index_base_PKT2_PKT3_PKS2_S2_S3_PS4_PS7_PS2_,comdat
	.globl	_ZN9rocsparseL35bsr2csr_block_per_row_33_256_kernelILj1024ELj128ELj32EfiiEEv20rocsparse_direction_T4_S2_21rocsparse_index_base_PKT2_PKT3_PKS2_S2_S3_PS4_PS7_PS2_ ; -- Begin function _ZN9rocsparseL35bsr2csr_block_per_row_33_256_kernelILj1024ELj128ELj32EfiiEEv20rocsparse_direction_T4_S2_21rocsparse_index_base_PKT2_PKT3_PKS2_S2_S3_PS4_PS7_PS2_
	.p2align	8
	.type	_ZN9rocsparseL35bsr2csr_block_per_row_33_256_kernelILj1024ELj128ELj32EfiiEEv20rocsparse_direction_T4_S2_21rocsparse_index_base_PKT2_PKT3_PKS2_S2_S3_PS4_PS7_PS2_,@function
_ZN9rocsparseL35bsr2csr_block_per_row_33_256_kernelILj1024ELj128ELj32EfiiEEv20rocsparse_direction_T4_S2_21rocsparse_index_base_PKT2_PKT3_PKS2_S2_S3_PS4_PS7_PS2_: ; @_ZN9rocsparseL35bsr2csr_block_per_row_33_256_kernelILj1024ELj128ELj32EfiiEEv20rocsparse_direction_T4_S2_21rocsparse_index_base_PKT2_PKT3_PKS2_S2_S3_PS4_PS7_PS2_
; %bb.0:
	s_load_dwordx2 s[0:1], s[4:5], 0x18
	s_ashr_i32 s7, s6, 31
	s_clause 0x1
	s_load_dwordx2 s[8:9], s[4:5], 0x28
	s_load_dwordx2 s[12:13], s[4:5], 0x38
	s_lshl_b64 s[2:3], s[6:7], 2
	v_or_b32_e32 v1, s6, v0
	s_waitcnt lgkmcnt(0)
	s_add_u32 s0, s0, s2
	s_addc_u32 s1, s1, s3
	s_load_dwordx2 s[18:19], s[0:1], 0x0
	s_mov_b32 s0, exec_lo
	v_cmpx_eq_u32_e32 0, v1
	s_cbranch_execz .LBB115_2
; %bb.1:
	v_mov_b32_e32 v1, 0
	v_mov_b32_e32 v2, s9
	global_store_dword v1, v2, s[12:13]
.LBB115_2:
	s_or_b32 exec_lo, exec_lo, s0
	s_load_dword s21, s[4:5], 0xc
	v_lshrrev_b32_e32 v4, 5, v0
	s_mul_i32 s6, s8, s6
	v_cmp_gt_i32_e64 s0, s8, v4
	s_waitcnt lgkmcnt(0)
	s_sub_i32 s10, s18, s21
	s_sub_i32 s24, s19, s21
	s_mul_i32 s20, s8, s10
	s_sub_i32 s11, s24, s10
	s_mul_i32 s1, s20, s8
	s_mul_i32 s7, s11, s8
	s_add_i32 s1, s1, s9
	s_add_i32 s14, s1, s7
	s_and_saveexec_b32 s1, s0
	s_cbranch_execz .LBB115_4
; %bb.3:
	v_add_nc_u32_e32 v1, s6, v4
	v_mad_u64_u32 v[5:6], null, v4, s7, s[14:15]
	v_ashrrev_i32_e32 v2, 31, v1
	v_lshlrev_b64 v[1:2], 2, v[1:2]
	v_add_co_u32 v1, vcc_lo, s12, v1
	v_add_co_ci_u32_e64 v2, null, s13, v2, vcc_lo
	global_store_dword v[1:2], v5, off offset:4
.LBB115_4:
	s_or_b32 exec_lo, exec_lo, s1
	v_or_b32_e32 v1, 32, v4
	v_cmp_gt_i32_e64 s2, s8, v1
	s_and_saveexec_b32 s1, s2
	s_cbranch_execz .LBB115_6
; %bb.5:
	s_ashr_i32 s3, s6, 31
	v_add_co_u32 v2, s15, v4, s6
	v_add_co_ci_u32_e64 v3, null, 0, s3, s15
	v_mad_u64_u32 v[5:6], null, v1, s7, s[14:15]
	v_lshlrev_b64 v[2:3], 2, v[2:3]
	v_add_co_u32 v1, vcc_lo, s12, v2
	v_add_co_ci_u32_e64 v2, null, s13, v3, vcc_lo
	global_store_dword v[1:2], v5, off offset:132
.LBB115_6:
	s_or_b32 exec_lo, exec_lo, s1
	v_or_b32_e32 v1, 64, v4
	v_cmp_gt_i32_e64 s3, s8, v1
	s_and_saveexec_b32 s1, s3
	s_cbranch_execz .LBB115_8
; %bb.7:
	s_ashr_i32 s15, s6, 31
	v_add_co_u32 v2, s16, v4, s6
	v_add_co_ci_u32_e64 v3, null, 0, s15, s16
	v_mad_u64_u32 v[5:6], null, v1, s7, s[14:15]
	v_lshlrev_b64 v[2:3], 2, v[2:3]
	v_add_co_u32 v1, vcc_lo, s12, v2
	v_add_co_ci_u32_e64 v2, null, s13, v3, vcc_lo
	global_store_dword v[1:2], v5, off offset:260
.LBB115_8:
	;; [unrolled: 15-line block ×3, first 2 shown]
	s_or_b32 exec_lo, exec_lo, s15
	s_cmp_lt_i32 s18, s19
	s_cbranch_scc0 .LBB115_45
; %bb.11:
	s_clause 0x2
	s_load_dwordx2 s[22:23], s[4:5], 0x20
	s_load_dwordx2 s[12:13], s[4:5], 0x30
	s_load_dword s7, s[4:5], 0x0
	v_mad_u64_u32 v[15:16], null, v4, s11, s[20:21]
	v_and_b32_e32 v5, 31, v0
	v_add_nc_u32_e32 v0, s20, v4
	s_clause 0x1
	s_load_dwordx2 s[14:15], s[4:5], 0x10
	s_load_dwordx2 s[16:17], s[4:5], 0x40
	s_mul_i32 s25, s8, s8
	s_mov_b32 s26, 0
	v_or_b32_e32 v6, 32, v5
	v_or_b32_e32 v7, 64, v5
	;; [unrolled: 1-line block ×3, first 2 shown]
	v_add_nc_u32_e32 v1, 32, v0
	v_add_nc_u32_e32 v17, s20, v5
	;; [unrolled: 1-line block ×3, first 2 shown]
	v_lshl_add_u32 v16, s19, 5, v15
	v_cmp_gt_i32_e64 s4, s8, v5
	v_cmp_gt_i32_e64 s5, s8, v6
	;; [unrolled: 1-line block ×3, first 2 shown]
	v_mul_lo_u32 v9, s8, v1
	v_add_nc_u32_e32 v1, 0x60, v17
	s_waitcnt lgkmcnt(0)
	s_cmp_eq_u32 s7, 0
	v_cmp_gt_i32_e64 s7, s8, v8
	v_mul_lo_u32 v10, s8, v2
	v_add_nc_u32_e32 v2, 64, v17
	v_mad_u64_u32 v[13:14], null, 0x60, s19, v[15:16]
	v_lshl_add_u32 v14, s19, 6, v15
	s_cselect_b32 vcc_lo, -1, 0
	s_and_b32 s27, s0, s4
	s_and_b32 s28, s0, s5
	;; [unrolled: 1-line block ×4, first 2 shown]
	v_add_nc_u32_e32 v3, 0x60, v0
	v_mul_lo_u32 v12, s8, v0
	v_mad_u64_u32 v[0:1], null, s8, v1, v[4:5]
	s_lshl_b32 s0, s18, 5
	v_mad_u64_u32 v[1:2], null, s8, v2, v[4:5]
	s_and_b32 s31, s2, s4
	s_and_b32 s33, s2, s5
	;; [unrolled: 1-line block ×4, first 2 shown]
	v_add_nc_u32_e32 v2, 32, v17
	v_subrev_nc_u32_e32 v16, s0, v16
	s_lshl_b32 s0, s18, 6
	s_mul_i32 s2, s18, 0x60
	v_subrev_nc_u32_e32 v14, s0, v14
	v_subrev_nc_u32_e32 v18, s2, v13
	v_mul_lo_u32 v11, s8, v3
	v_mad_u64_u32 v[2:3], null, s8, v2, v[4:5]
	v_mad_u64_u32 v[3:4], null, s8, v17, v[4:5]
	v_mul_lo_u32 v4, s8, v16
	v_mul_lo_u32 v13, s8, v14
	;; [unrolled: 1-line block ×4, first 2 shown]
	s_ashr_i32 s11, s10, 31
	s_and_b32 s36, s3, s4
	s_and_b32 s37, s3, s5
	;; [unrolled: 1-line block ×4, first 2 shown]
	s_lshl_b64 s[2:3], s[10:11], 2
	s_and_b32 s4, s1, s4
	s_and_b32 s5, s1, s5
	;; [unrolled: 1-line block ×4, first 2 shown]
	s_add_u32 s2, s22, s2
	s_addc_u32 s3, s23, s3
	s_branch .LBB115_13
.LBB115_12:                             ;   in Loop: Header=BB115_13 Depth=1
	s_or_b32 exec_lo, exec_lo, s7
	s_add_i32 s10, s10, 1
	v_add_nc_u32_e32 v9, s25, v9
	v_add_nc_u32_e32 v10, s25, v10
	v_add_nc_u32_e32 v11, s25, v11
	v_add_nc_u32_e32 v12, s25, v12
	s_add_i32 s26, s26, s25
	v_add_nc_u32_e32 v4, s8, v4
	v_add_nc_u32_e32 v13, s8, v13
	;; [unrolled: 1-line block ×4, first 2 shown]
	s_add_u32 s2, s2, 4
	s_addc_u32 s3, s3, 0
	s_cmp_ge_i32 s10, s24
	s_cbranch_scc1 .LBB115_45
.LBB115_13:                             ; =>This Inner Loop Header: Depth=1
	s_load_dword s0, s[2:3], 0x0
	s_waitcnt lgkmcnt(0)
	s_sub_i32 s0, s0, s21
	s_mul_i32 s7, s0, s8
	s_add_i32 s7, s7, s9
	v_add_nc_u32_e32 v16, s7, v5
	s_and_saveexec_b32 s11, s27
	s_cbranch_execz .LBB115_15
; %bb.14:                               ;   in Loop: Header=BB115_13 Depth=1
	v_add_nc_u32_e32 v17, v5, v12
	v_add_nc_u32_e32 v18, s26, v3
	v_cndmask_b32_e32 v17, v18, v17, vcc_lo
	v_ashrrev_i32_e32 v18, 31, v17
	v_lshlrev_b64 v[17:18], 2, v[17:18]
	v_add_co_u32 v17, s0, s14, v17
	v_add_co_ci_u32_e64 v18, null, s15, v18, s0
	global_load_dword v21, v[17:18], off
	v_add_nc_u32_e32 v17, v5, v15
	v_ashrrev_i32_e32 v18, 31, v17
	v_lshlrev_b64 v[17:18], 2, v[17:18]
	v_add_co_u32 v19, s0, s16, v17
	v_add_co_ci_u32_e64 v20, null, s17, v18, s0
	v_add_co_u32 v17, s0, s12, v17
	v_add_co_ci_u32_e64 v18, null, s13, v18, s0
	global_store_dword v[19:20], v16, off
	s_waitcnt vmcnt(0)
	global_store_dword v[17:18], v21, off
.LBB115_15:                             ;   in Loop: Header=BB115_13 Depth=1
	s_or_b32 exec_lo, exec_lo, s11
	v_add_nc_u32_e32 v17, s7, v6
	v_add_nc_u32_e32 v22, s26, v2
	s_and_saveexec_b32 s11, s28
	s_cbranch_execz .LBB115_17
; %bb.16:                               ;   in Loop: Header=BB115_13 Depth=1
	v_add3_u32 v18, v5, v12, 32
	v_cndmask_b32_e32 v18, v22, v18, vcc_lo
	v_ashrrev_i32_e32 v19, 31, v18
	v_lshlrev_b64 v[18:19], 2, v[18:19]
	v_add_co_u32 v18, s0, s14, v18
	v_add_co_ci_u32_e64 v19, null, s15, v19, s0
	global_load_dword v23, v[18:19], off
	v_add3_u32 v18, v5, v15, 32
	v_ashrrev_i32_e32 v19, 31, v18
	v_lshlrev_b64 v[18:19], 2, v[18:19]
	v_add_co_u32 v20, s0, s16, v18
	v_add_co_ci_u32_e64 v21, null, s17, v19, s0
	v_add_co_u32 v18, s0, s12, v18
	v_add_co_ci_u32_e64 v19, null, s13, v19, s0
	global_store_dword v[20:21], v17, off
	s_waitcnt vmcnt(0)
	global_store_dword v[18:19], v23, off
.LBB115_17:                             ;   in Loop: Header=BB115_13 Depth=1
	s_or_b32 exec_lo, exec_lo, s11
	v_add_nc_u32_e32 v18, s7, v7
	v_add_nc_u32_e32 v21, s26, v1
	s_and_saveexec_b32 s11, s29
	s_cbranch_execz .LBB115_19
; %bb.18:                               ;   in Loop: Header=BB115_13 Depth=1
	v_add3_u32 v19, v5, v12, 64
	v_cndmask_b32_e32 v19, v21, v19, vcc_lo
	v_ashrrev_i32_e32 v20, 31, v19
	v_lshlrev_b64 v[19:20], 2, v[19:20]
	v_add_co_u32 v19, s0, s14, v19
	v_add_co_ci_u32_e64 v20, null, s15, v20, s0
	global_load_dword v25, v[19:20], off
	v_add3_u32 v19, v5, v15, 64
	v_ashrrev_i32_e32 v20, 31, v19
	v_lshlrev_b64 v[19:20], 2, v[19:20]
	v_add_co_u32 v23, s0, s16, v19
	v_add_co_ci_u32_e64 v24, null, s17, v20, s0
	v_add_co_u32 v19, s0, s12, v19
	v_add_co_ci_u32_e64 v20, null, s13, v20, s0
	global_store_dword v[23:24], v18, off
	s_waitcnt vmcnt(0)
	global_store_dword v[19:20], v25, off
.LBB115_19:                             ;   in Loop: Header=BB115_13 Depth=1
	s_or_b32 exec_lo, exec_lo, s11
	v_add_nc_u32_e32 v19, s7, v8
	v_add_nc_u32_e32 v20, s26, v0
	s_and_saveexec_b32 s7, s30
	s_cbranch_execnz .LBB115_32
; %bb.20:                               ;   in Loop: Header=BB115_13 Depth=1
	s_or_b32 exec_lo, exec_lo, s7
	v_add_nc_u32_e32 v23, v5, v9
	s_and_saveexec_b32 s7, s31
	s_cbranch_execnz .LBB115_33
.LBB115_21:                             ;   in Loop: Header=BB115_13 Depth=1
	s_or_b32 exec_lo, exec_lo, s7
	s_and_saveexec_b32 s7, s33
	s_cbranch_execnz .LBB115_34
.LBB115_22:                             ;   in Loop: Header=BB115_13 Depth=1
	s_or_b32 exec_lo, exec_lo, s7
	s_and_saveexec_b32 s7, s34
	s_cbranch_execnz .LBB115_35
.LBB115_23:                             ;   in Loop: Header=BB115_13 Depth=1
	s_or_b32 exec_lo, exec_lo, s7
	s_and_saveexec_b32 s7, s35
	s_cbranch_execnz .LBB115_36
.LBB115_24:                             ;   in Loop: Header=BB115_13 Depth=1
	s_or_b32 exec_lo, exec_lo, s7
	v_add_nc_u32_e32 v22, v5, v10
	s_and_saveexec_b32 s7, s36
	s_cbranch_execnz .LBB115_37
.LBB115_25:                             ;   in Loop: Header=BB115_13 Depth=1
	s_or_b32 exec_lo, exec_lo, s7
	s_and_saveexec_b32 s7, s37
	s_cbranch_execnz .LBB115_38
.LBB115_26:                             ;   in Loop: Header=BB115_13 Depth=1
	s_or_b32 exec_lo, exec_lo, s7
	s_and_saveexec_b32 s7, s38
	s_cbranch_execnz .LBB115_39
.LBB115_27:                             ;   in Loop: Header=BB115_13 Depth=1
	s_or_b32 exec_lo, exec_lo, s7
	s_and_saveexec_b32 s7, s39
	s_cbranch_execnz .LBB115_40
.LBB115_28:                             ;   in Loop: Header=BB115_13 Depth=1
	s_or_b32 exec_lo, exec_lo, s7
	v_add_nc_u32_e32 v21, v5, v11
	s_and_saveexec_b32 s7, s4
	s_cbranch_execnz .LBB115_41
.LBB115_29:                             ;   in Loop: Header=BB115_13 Depth=1
	s_or_b32 exec_lo, exec_lo, s7
	s_and_saveexec_b32 s7, s5
	s_cbranch_execnz .LBB115_42
.LBB115_30:                             ;   in Loop: Header=BB115_13 Depth=1
	s_or_b32 exec_lo, exec_lo, s7
	s_and_saveexec_b32 s7, s6
	s_cbranch_execnz .LBB115_43
.LBB115_31:                             ;   in Loop: Header=BB115_13 Depth=1
	s_or_b32 exec_lo, exec_lo, s7
	s_and_saveexec_b32 s7, s1
	s_cbranch_execz .LBB115_12
	s_branch .LBB115_44
.LBB115_32:                             ;   in Loop: Header=BB115_13 Depth=1
	v_add3_u32 v23, v5, v12, 0x60
	v_cndmask_b32_e32 v23, v20, v23, vcc_lo
	v_ashrrev_i32_e32 v24, 31, v23
	v_lshlrev_b64 v[23:24], 2, v[23:24]
	v_add_co_u32 v23, s0, s14, v23
	v_add_co_ci_u32_e64 v24, null, s15, v24, s0
	global_load_dword v27, v[23:24], off
	v_add3_u32 v23, v5, v15, 0x60
	v_ashrrev_i32_e32 v24, 31, v23
	v_lshlrev_b64 v[23:24], 2, v[23:24]
	v_add_co_u32 v25, s0, s16, v23
	v_add_co_ci_u32_e64 v26, null, s17, v24, s0
	v_add_co_u32 v23, s0, s12, v23
	v_add_co_ci_u32_e64 v24, null, s13, v24, s0
	global_store_dword v[25:26], v19, off
	s_waitcnt vmcnt(0)
	global_store_dword v[23:24], v27, off
	s_or_b32 exec_lo, exec_lo, s7
	v_add_nc_u32_e32 v23, v5, v9
	s_and_saveexec_b32 s7, s31
	s_cbranch_execz .LBB115_21
.LBB115_33:                             ;   in Loop: Header=BB115_13 Depth=1
	v_add3_u32 v24, v3, s26, 32
	v_cndmask_b32_e32 v24, v24, v23, vcc_lo
	v_ashrrev_i32_e32 v25, 31, v24
	v_lshlrev_b64 v[24:25], 2, v[24:25]
	v_add_co_u32 v24, s0, s14, v24
	v_add_co_ci_u32_e64 v25, null, s15, v25, s0
	global_load_dword v28, v[24:25], off
	v_add_nc_u32_e32 v24, v5, v4
	v_ashrrev_i32_e32 v25, 31, v24
	v_lshlrev_b64 v[24:25], 2, v[24:25]
	v_add_co_u32 v26, s0, s16, v24
	v_add_co_ci_u32_e64 v27, null, s17, v25, s0
	v_add_co_u32 v24, s0, s12, v24
	v_add_co_ci_u32_e64 v25, null, s13, v25, s0
	global_store_dword v[26:27], v16, off
	s_waitcnt vmcnt(0)
	global_store_dword v[24:25], v28, off
	s_or_b32 exec_lo, exec_lo, s7
	s_and_saveexec_b32 s7, s33
	s_cbranch_execz .LBB115_22
.LBB115_34:                             ;   in Loop: Header=BB115_13 Depth=1
	v_cndmask_b32_e32 v22, v22, v23, vcc_lo
	v_add_nc_u32_e32 v22, 32, v22
	v_ashrrev_i32_e32 v23, 31, v22
	v_lshlrev_b64 v[22:23], 2, v[22:23]
	v_add_co_u32 v22, s0, s14, v22
	v_add_co_ci_u32_e64 v23, null, s15, v23, s0
	global_load_dword v26, v[22:23], off
	v_add3_u32 v22, v5, v4, 32
	v_ashrrev_i32_e32 v23, 31, v22
	v_lshlrev_b64 v[22:23], 2, v[22:23]
	v_add_co_u32 v24, s0, s16, v22
	v_add_co_ci_u32_e64 v25, null, s17, v23, s0
	v_add_co_u32 v22, s0, s12, v22
	v_add_co_ci_u32_e64 v23, null, s13, v23, s0
	global_store_dword v[24:25], v17, off
	s_waitcnt vmcnt(0)
	global_store_dword v[22:23], v26, off
	s_or_b32 exec_lo, exec_lo, s7
	s_and_saveexec_b32 s7, s34
	s_cbranch_execz .LBB115_23
.LBB115_35:                             ;   in Loop: Header=BB115_13 Depth=1
	v_add3_u32 v22, v5, v9, 64
	v_add3_u32 v23, v1, s26, 32
	v_cndmask_b32_e32 v22, v23, v22, vcc_lo
	v_ashrrev_i32_e32 v23, 31, v22
	v_lshlrev_b64 v[22:23], 2, v[22:23]
	v_add_co_u32 v22, s0, s14, v22
	v_add_co_ci_u32_e64 v23, null, s15, v23, s0
	global_load_dword v26, v[22:23], off
	v_add3_u32 v22, v5, v4, 64
	v_ashrrev_i32_e32 v23, 31, v22
	v_lshlrev_b64 v[22:23], 2, v[22:23]
	v_add_co_u32 v24, s0, s16, v22
	v_add_co_ci_u32_e64 v25, null, s17, v23, s0
	v_add_co_u32 v22, s0, s12, v22
	v_add_co_ci_u32_e64 v23, null, s13, v23, s0
	global_store_dword v[24:25], v18, off
	s_waitcnt vmcnt(0)
	global_store_dword v[22:23], v26, off
	s_or_b32 exec_lo, exec_lo, s7
	s_and_saveexec_b32 s7, s35
	s_cbranch_execz .LBB115_24
.LBB115_36:                             ;   in Loop: Header=BB115_13 Depth=1
	v_add3_u32 v22, v5, v9, 0x60
	v_add3_u32 v23, v0, s26, 32
	v_cndmask_b32_e32 v22, v23, v22, vcc_lo
	v_ashrrev_i32_e32 v23, 31, v22
	v_lshlrev_b64 v[22:23], 2, v[22:23]
	v_add_co_u32 v22, s0, s14, v22
	v_add_co_ci_u32_e64 v23, null, s15, v23, s0
	global_load_dword v26, v[22:23], off
	v_add3_u32 v22, v5, v4, 0x60
	v_ashrrev_i32_e32 v23, 31, v22
	v_lshlrev_b64 v[22:23], 2, v[22:23]
	v_add_co_u32 v24, s0, s16, v22
	v_add_co_ci_u32_e64 v25, null, s17, v23, s0
	v_add_co_u32 v22, s0, s12, v22
	v_add_co_ci_u32_e64 v23, null, s13, v23, s0
	global_store_dword v[24:25], v19, off
	s_waitcnt vmcnt(0)
	global_store_dword v[22:23], v26, off
	s_or_b32 exec_lo, exec_lo, s7
	v_add_nc_u32_e32 v22, v5, v10
	s_and_saveexec_b32 s7, s36
	s_cbranch_execz .LBB115_25
.LBB115_37:                             ;   in Loop: Header=BB115_13 Depth=1
	v_add3_u32 v23, v3, s26, 64
	v_cndmask_b32_e32 v23, v23, v22, vcc_lo
	v_ashrrev_i32_e32 v24, 31, v23
	v_lshlrev_b64 v[23:24], 2, v[23:24]
	v_add_co_u32 v23, s0, s14, v23
	v_add_co_ci_u32_e64 v24, null, s15, v24, s0
	global_load_dword v27, v[23:24], off
	v_add_nc_u32_e32 v23, v5, v13
	v_ashrrev_i32_e32 v24, 31, v23
	v_lshlrev_b64 v[23:24], 2, v[23:24]
	v_add_co_u32 v25, s0, s16, v23
	v_add_co_ci_u32_e64 v26, null, s17, v24, s0
	v_add_co_u32 v23, s0, s12, v23
	v_add_co_ci_u32_e64 v24, null, s13, v24, s0
	global_store_dword v[25:26], v16, off
	s_waitcnt vmcnt(0)
	global_store_dword v[23:24], v27, off
	s_or_b32 exec_lo, exec_lo, s7
	s_and_saveexec_b32 s7, s37
	s_cbranch_execz .LBB115_26
.LBB115_38:                             ;   in Loop: Header=BB115_13 Depth=1
	v_add3_u32 v23, v5, v10, 32
	v_add3_u32 v24, v2, s26, 64
	v_cndmask_b32_e32 v23, v24, v23, vcc_lo
	v_ashrrev_i32_e32 v24, 31, v23
	v_lshlrev_b64 v[23:24], 2, v[23:24]
	v_add_co_u32 v23, s0, s14, v23
	v_add_co_ci_u32_e64 v24, null, s15, v24, s0
	global_load_dword v27, v[23:24], off
	v_add3_u32 v23, v5, v13, 32
	v_ashrrev_i32_e32 v24, 31, v23
	v_lshlrev_b64 v[23:24], 2, v[23:24]
	v_add_co_u32 v25, s0, s16, v23
	v_add_co_ci_u32_e64 v26, null, s17, v24, s0
	v_add_co_u32 v23, s0, s12, v23
	v_add_co_ci_u32_e64 v24, null, s13, v24, s0
	global_store_dword v[25:26], v17, off
	s_waitcnt vmcnt(0)
	global_store_dword v[23:24], v27, off
	s_or_b32 exec_lo, exec_lo, s7
	s_and_saveexec_b32 s7, s38
	s_cbranch_execz .LBB115_27
.LBB115_39:                             ;   in Loop: Header=BB115_13 Depth=1
	v_cndmask_b32_e32 v21, v21, v22, vcc_lo
	v_add_nc_u32_e32 v21, 64, v21
	v_ashrrev_i32_e32 v22, 31, v21
	v_lshlrev_b64 v[21:22], 2, v[21:22]
	v_add_co_u32 v21, s0, s14, v21
	v_add_co_ci_u32_e64 v22, null, s15, v22, s0
	global_load_dword v25, v[21:22], off
	v_add3_u32 v21, v5, v13, 64
	v_ashrrev_i32_e32 v22, 31, v21
	v_lshlrev_b64 v[21:22], 2, v[21:22]
	v_add_co_u32 v23, s0, s16, v21
	v_add_co_ci_u32_e64 v24, null, s17, v22, s0
	v_add_co_u32 v21, s0, s12, v21
	v_add_co_ci_u32_e64 v22, null, s13, v22, s0
	global_store_dword v[23:24], v18, off
	s_waitcnt vmcnt(0)
	global_store_dword v[21:22], v25, off
	s_or_b32 exec_lo, exec_lo, s7
	s_and_saveexec_b32 s7, s39
	s_cbranch_execz .LBB115_28
.LBB115_40:                             ;   in Loop: Header=BB115_13 Depth=1
	v_add3_u32 v21, v5, v10, 0x60
	v_add3_u32 v22, v0, s26, 64
	v_cndmask_b32_e32 v21, v22, v21, vcc_lo
	v_ashrrev_i32_e32 v22, 31, v21
	v_lshlrev_b64 v[21:22], 2, v[21:22]
	v_add_co_u32 v21, s0, s14, v21
	v_add_co_ci_u32_e64 v22, null, s15, v22, s0
	global_load_dword v25, v[21:22], off
	v_add3_u32 v21, v5, v13, 0x60
	v_ashrrev_i32_e32 v22, 31, v21
	v_lshlrev_b64 v[21:22], 2, v[21:22]
	v_add_co_u32 v23, s0, s16, v21
	v_add_co_ci_u32_e64 v24, null, s17, v22, s0
	v_add_co_u32 v21, s0, s12, v21
	v_add_co_ci_u32_e64 v22, null, s13, v22, s0
	global_store_dword v[23:24], v19, off
	s_waitcnt vmcnt(0)
	global_store_dword v[21:22], v25, off
	s_or_b32 exec_lo, exec_lo, s7
	v_add_nc_u32_e32 v21, v5, v11
	s_and_saveexec_b32 s7, s4
	s_cbranch_execz .LBB115_29
.LBB115_41:                             ;   in Loop: Header=BB115_13 Depth=1
	v_add3_u32 v22, v3, s26, 0x60
	v_cndmask_b32_e32 v22, v22, v21, vcc_lo
	v_ashrrev_i32_e32 v23, 31, v22
	v_lshlrev_b64 v[22:23], 2, v[22:23]
	v_add_co_u32 v22, s0, s14, v22
	v_add_co_ci_u32_e64 v23, null, s15, v23, s0
	global_load_dword v26, v[22:23], off
	v_add_nc_u32_e32 v22, v5, v14
	v_ashrrev_i32_e32 v23, 31, v22
	v_lshlrev_b64 v[22:23], 2, v[22:23]
	v_add_co_u32 v24, s0, s16, v22
	v_add_co_ci_u32_e64 v25, null, s17, v23, s0
	v_add_co_u32 v22, s0, s12, v22
	v_add_co_ci_u32_e64 v23, null, s13, v23, s0
	global_store_dword v[24:25], v16, off
	s_waitcnt vmcnt(0)
	global_store_dword v[22:23], v26, off
	s_or_b32 exec_lo, exec_lo, s7
	s_and_saveexec_b32 s7, s5
	s_cbranch_execz .LBB115_30
.LBB115_42:                             ;   in Loop: Header=BB115_13 Depth=1
	v_add3_u32 v16, v5, v11, 32
	v_add3_u32 v22, v2, s26, 0x60
	v_cndmask_b32_e32 v22, v22, v16, vcc_lo
	v_ashrrev_i32_e32 v23, 31, v22
	v_lshlrev_b64 v[22:23], 2, v[22:23]
	v_add_co_u32 v22, s0, s14, v22
	v_add_co_ci_u32_e64 v23, null, s15, v23, s0
	global_load_dword v16, v[22:23], off
	v_add3_u32 v22, v5, v14, 32
	v_ashrrev_i32_e32 v23, 31, v22
	v_lshlrev_b64 v[22:23], 2, v[22:23]
	v_add_co_u32 v24, s0, s16, v22
	v_add_co_ci_u32_e64 v25, null, s17, v23, s0
	v_add_co_u32 v22, s0, s12, v22
	v_add_co_ci_u32_e64 v23, null, s13, v23, s0
	global_store_dword v[24:25], v17, off
	s_waitcnt vmcnt(0)
	global_store_dword v[22:23], v16, off
	s_or_b32 exec_lo, exec_lo, s7
	s_and_saveexec_b32 s7, s6
	s_cbranch_execz .LBB115_31
.LBB115_43:                             ;   in Loop: Header=BB115_13 Depth=1
	v_add3_u32 v16, v5, v11, 64
	v_add3_u32 v17, v1, s26, 0x60
	v_cndmask_b32_e32 v16, v17, v16, vcc_lo
	v_ashrrev_i32_e32 v17, 31, v16
	v_lshlrev_b64 v[16:17], 2, v[16:17]
	v_add_co_u32 v16, s0, s14, v16
	v_add_co_ci_u32_e64 v17, null, s15, v17, s0
	global_load_dword v24, v[16:17], off
	v_add3_u32 v16, v5, v14, 64
	v_ashrrev_i32_e32 v17, 31, v16
	v_lshlrev_b64 v[16:17], 2, v[16:17]
	v_add_co_u32 v22, s0, s16, v16
	v_add_co_ci_u32_e64 v23, null, s17, v17, s0
	v_add_co_u32 v16, s0, s12, v16
	v_add_co_ci_u32_e64 v17, null, s13, v17, s0
	global_store_dword v[22:23], v18, off
	s_waitcnt vmcnt(0)
	global_store_dword v[16:17], v24, off
	s_or_b32 exec_lo, exec_lo, s7
	s_and_saveexec_b32 s7, s1
	s_cbranch_execz .LBB115_12
.LBB115_44:                             ;   in Loop: Header=BB115_13 Depth=1
	v_cndmask_b32_e32 v16, v20, v21, vcc_lo
	v_add_nc_u32_e32 v16, 0x60, v16
	v_ashrrev_i32_e32 v17, 31, v16
	v_lshlrev_b64 v[16:17], 2, v[16:17]
	v_add_co_u32 v16, s0, s14, v16
	v_add_co_ci_u32_e64 v17, null, s15, v17, s0
	global_load_dword v18, v[16:17], off
	v_add3_u32 v16, v5, v14, 0x60
	v_ashrrev_i32_e32 v17, 31, v16
	v_lshlrev_b64 v[16:17], 2, v[16:17]
	v_add_co_u32 v20, s0, s16, v16
	v_add_co_ci_u32_e64 v21, null, s17, v17, s0
	v_add_co_u32 v16, s0, s12, v16
	v_add_co_ci_u32_e64 v17, null, s13, v17, s0
	global_store_dword v[20:21], v19, off
	s_waitcnt vmcnt(0)
	global_store_dword v[16:17], v18, off
	s_branch .LBB115_12
.LBB115_45:
	s_endpgm
	.section	.rodata,"a",@progbits
	.p2align	6, 0x0
	.amdhsa_kernel _ZN9rocsparseL35bsr2csr_block_per_row_33_256_kernelILj1024ELj128ELj32EfiiEEv20rocsparse_direction_T4_S2_21rocsparse_index_base_PKT2_PKT3_PKS2_S2_S3_PS4_PS7_PS2_
		.amdhsa_group_segment_fixed_size 0
		.amdhsa_private_segment_fixed_size 0
		.amdhsa_kernarg_size 72
		.amdhsa_user_sgpr_count 6
		.amdhsa_user_sgpr_private_segment_buffer 1
		.amdhsa_user_sgpr_dispatch_ptr 0
		.amdhsa_user_sgpr_queue_ptr 0
		.amdhsa_user_sgpr_kernarg_segment_ptr 1
		.amdhsa_user_sgpr_dispatch_id 0
		.amdhsa_user_sgpr_flat_scratch_init 0
		.amdhsa_user_sgpr_private_segment_size 0
		.amdhsa_wavefront_size32 1
		.amdhsa_uses_dynamic_stack 0
		.amdhsa_system_sgpr_private_segment_wavefront_offset 0
		.amdhsa_system_sgpr_workgroup_id_x 1
		.amdhsa_system_sgpr_workgroup_id_y 0
		.amdhsa_system_sgpr_workgroup_id_z 0
		.amdhsa_system_sgpr_workgroup_info 0
		.amdhsa_system_vgpr_workitem_id 0
		.amdhsa_next_free_vgpr 29
		.amdhsa_next_free_sgpr 40
		.amdhsa_reserve_vcc 1
		.amdhsa_reserve_flat_scratch 0
		.amdhsa_float_round_mode_32 0
		.amdhsa_float_round_mode_16_64 0
		.amdhsa_float_denorm_mode_32 3
		.amdhsa_float_denorm_mode_16_64 3
		.amdhsa_dx10_clamp 1
		.amdhsa_ieee_mode 1
		.amdhsa_fp16_overflow 0
		.amdhsa_workgroup_processor_mode 1
		.amdhsa_memory_ordered 1
		.amdhsa_forward_progress 1
		.amdhsa_shared_vgpr_count 0
		.amdhsa_exception_fp_ieee_invalid_op 0
		.amdhsa_exception_fp_denorm_src 0
		.amdhsa_exception_fp_ieee_div_zero 0
		.amdhsa_exception_fp_ieee_overflow 0
		.amdhsa_exception_fp_ieee_underflow 0
		.amdhsa_exception_fp_ieee_inexact 0
		.amdhsa_exception_int_div_zero 0
	.end_amdhsa_kernel
	.section	.text._ZN9rocsparseL35bsr2csr_block_per_row_33_256_kernelILj1024ELj128ELj32EfiiEEv20rocsparse_direction_T4_S2_21rocsparse_index_base_PKT2_PKT3_PKS2_S2_S3_PS4_PS7_PS2_,"axG",@progbits,_ZN9rocsparseL35bsr2csr_block_per_row_33_256_kernelILj1024ELj128ELj32EfiiEEv20rocsparse_direction_T4_S2_21rocsparse_index_base_PKT2_PKT3_PKS2_S2_S3_PS4_PS7_PS2_,comdat
.Lfunc_end115:
	.size	_ZN9rocsparseL35bsr2csr_block_per_row_33_256_kernelILj1024ELj128ELj32EfiiEEv20rocsparse_direction_T4_S2_21rocsparse_index_base_PKT2_PKT3_PKS2_S2_S3_PS4_PS7_PS2_, .Lfunc_end115-_ZN9rocsparseL35bsr2csr_block_per_row_33_256_kernelILj1024ELj128ELj32EfiiEEv20rocsparse_direction_T4_S2_21rocsparse_index_base_PKT2_PKT3_PKS2_S2_S3_PS4_PS7_PS2_
                                        ; -- End function
	.set _ZN9rocsparseL35bsr2csr_block_per_row_33_256_kernelILj1024ELj128ELj32EfiiEEv20rocsparse_direction_T4_S2_21rocsparse_index_base_PKT2_PKT3_PKS2_S2_S3_PS4_PS7_PS2_.num_vgpr, 29
	.set _ZN9rocsparseL35bsr2csr_block_per_row_33_256_kernelILj1024ELj128ELj32EfiiEEv20rocsparse_direction_T4_S2_21rocsparse_index_base_PKT2_PKT3_PKS2_S2_S3_PS4_PS7_PS2_.num_agpr, 0
	.set _ZN9rocsparseL35bsr2csr_block_per_row_33_256_kernelILj1024ELj128ELj32EfiiEEv20rocsparse_direction_T4_S2_21rocsparse_index_base_PKT2_PKT3_PKS2_S2_S3_PS4_PS7_PS2_.numbered_sgpr, 40
	.set _ZN9rocsparseL35bsr2csr_block_per_row_33_256_kernelILj1024ELj128ELj32EfiiEEv20rocsparse_direction_T4_S2_21rocsparse_index_base_PKT2_PKT3_PKS2_S2_S3_PS4_PS7_PS2_.num_named_barrier, 0
	.set _ZN9rocsparseL35bsr2csr_block_per_row_33_256_kernelILj1024ELj128ELj32EfiiEEv20rocsparse_direction_T4_S2_21rocsparse_index_base_PKT2_PKT3_PKS2_S2_S3_PS4_PS7_PS2_.private_seg_size, 0
	.set _ZN9rocsparseL35bsr2csr_block_per_row_33_256_kernelILj1024ELj128ELj32EfiiEEv20rocsparse_direction_T4_S2_21rocsparse_index_base_PKT2_PKT3_PKS2_S2_S3_PS4_PS7_PS2_.uses_vcc, 1
	.set _ZN9rocsparseL35bsr2csr_block_per_row_33_256_kernelILj1024ELj128ELj32EfiiEEv20rocsparse_direction_T4_S2_21rocsparse_index_base_PKT2_PKT3_PKS2_S2_S3_PS4_PS7_PS2_.uses_flat_scratch, 0
	.set _ZN9rocsparseL35bsr2csr_block_per_row_33_256_kernelILj1024ELj128ELj32EfiiEEv20rocsparse_direction_T4_S2_21rocsparse_index_base_PKT2_PKT3_PKS2_S2_S3_PS4_PS7_PS2_.has_dyn_sized_stack, 0
	.set _ZN9rocsparseL35bsr2csr_block_per_row_33_256_kernelILj1024ELj128ELj32EfiiEEv20rocsparse_direction_T4_S2_21rocsparse_index_base_PKT2_PKT3_PKS2_S2_S3_PS4_PS7_PS2_.has_recursion, 0
	.set _ZN9rocsparseL35bsr2csr_block_per_row_33_256_kernelILj1024ELj128ELj32EfiiEEv20rocsparse_direction_T4_S2_21rocsparse_index_base_PKT2_PKT3_PKS2_S2_S3_PS4_PS7_PS2_.has_indirect_call, 0
	.section	.AMDGPU.csdata,"",@progbits
; Kernel info:
; codeLenInByte = 3344
; TotalNumSgprs: 42
; NumVgprs: 29
; ScratchSize: 0
; MemoryBound: 0
; FloatMode: 240
; IeeeMode: 1
; LDSByteSize: 0 bytes/workgroup (compile time only)
; SGPRBlocks: 0
; VGPRBlocks: 3
; NumSGPRsForWavesPerEU: 42
; NumVGPRsForWavesPerEU: 29
; Occupancy: 16
; WaveLimiterHint : 1
; COMPUTE_PGM_RSRC2:SCRATCH_EN: 0
; COMPUTE_PGM_RSRC2:USER_SGPR: 6
; COMPUTE_PGM_RSRC2:TRAP_HANDLER: 0
; COMPUTE_PGM_RSRC2:TGID_X_EN: 1
; COMPUTE_PGM_RSRC2:TGID_Y_EN: 0
; COMPUTE_PGM_RSRC2:TGID_Z_EN: 0
; COMPUTE_PGM_RSRC2:TIDIG_COMP_CNT: 0
	.section	.text._ZN9rocsparseL35bsr2csr_block_per_row_33_256_kernelILj1024ELj256ELj32EfiiEEv20rocsparse_direction_T4_S2_21rocsparse_index_base_PKT2_PKT3_PKS2_S2_S3_PS4_PS7_PS2_,"axG",@progbits,_ZN9rocsparseL35bsr2csr_block_per_row_33_256_kernelILj1024ELj256ELj32EfiiEEv20rocsparse_direction_T4_S2_21rocsparse_index_base_PKT2_PKT3_PKS2_S2_S3_PS4_PS7_PS2_,comdat
	.globl	_ZN9rocsparseL35bsr2csr_block_per_row_33_256_kernelILj1024ELj256ELj32EfiiEEv20rocsparse_direction_T4_S2_21rocsparse_index_base_PKT2_PKT3_PKS2_S2_S3_PS4_PS7_PS2_ ; -- Begin function _ZN9rocsparseL35bsr2csr_block_per_row_33_256_kernelILj1024ELj256ELj32EfiiEEv20rocsparse_direction_T4_S2_21rocsparse_index_base_PKT2_PKT3_PKS2_S2_S3_PS4_PS7_PS2_
	.p2align	8
	.type	_ZN9rocsparseL35bsr2csr_block_per_row_33_256_kernelILj1024ELj256ELj32EfiiEEv20rocsparse_direction_T4_S2_21rocsparse_index_base_PKT2_PKT3_PKS2_S2_S3_PS4_PS7_PS2_,@function
_ZN9rocsparseL35bsr2csr_block_per_row_33_256_kernelILj1024ELj256ELj32EfiiEEv20rocsparse_direction_T4_S2_21rocsparse_index_base_PKT2_PKT3_PKS2_S2_S3_PS4_PS7_PS2_: ; @_ZN9rocsparseL35bsr2csr_block_per_row_33_256_kernelILj1024ELj256ELj32EfiiEEv20rocsparse_direction_T4_S2_21rocsparse_index_base_PKT2_PKT3_PKS2_S2_S3_PS4_PS7_PS2_
; %bb.0:
	s_load_dwordx2 s[0:1], s[4:5], 0x18
	s_ashr_i32 s7, s6, 31
	s_clause 0x1
	s_load_dwordx2 s[16:17], s[4:5], 0x28
	s_load_dwordx2 s[10:11], s[4:5], 0x38
	s_lshl_b64 s[2:3], s[6:7], 2
	v_or_b32_e32 v1, s6, v0
	s_waitcnt lgkmcnt(0)
	s_add_u32 s0, s0, s2
	s_addc_u32 s1, s1, s3
	s_load_dwordx2 s[26:27], s[0:1], 0x0
	s_mov_b32 s0, exec_lo
	v_cmpx_eq_u32_e32 0, v1
	s_cbranch_execz .LBB116_2
; %bb.1:
	v_mov_b32_e32 v1, 0
	v_mov_b32_e32 v2, s17
	global_store_dword v1, v2, s[10:11]
.LBB116_2:
	s_or_b32 exec_lo, exec_lo, s0
	s_load_dword s29, s[4:5], 0xc
	v_lshrrev_b32_e32 v13, 5, v0
	s_mul_i32 s14, s16, s6
	v_cmp_gt_i32_e64 s0, s16, v13
	s_waitcnt lgkmcnt(0)
	s_sub_i32 s18, s26, s29
	s_sub_i32 s33, s27, s29
	s_mul_i32 s28, s16, s18
	s_sub_i32 s19, s33, s18
	s_mul_i32 s1, s28, s16
	s_mul_i32 s13, s19, s16
	s_add_i32 s1, s1, s17
	s_add_i32 s12, s1, s13
	s_and_saveexec_b32 s1, s0
	s_cbranch_execz .LBB116_4
; %bb.3:
	v_add_nc_u32_e32 v1, s14, v13
	v_mad_u64_u32 v[3:4], null, v13, s13, s[12:13]
	v_ashrrev_i32_e32 v2, 31, v1
	v_lshlrev_b64 v[1:2], 2, v[1:2]
	v_add_co_u32 v1, vcc_lo, s10, v1
	v_add_co_ci_u32_e64 v2, null, s11, v2, vcc_lo
	global_store_dword v[1:2], v3, off offset:4
.LBB116_4:
	s_or_b32 exec_lo, exec_lo, s1
	v_or_b32_e32 v1, 32, v13
	v_cmp_gt_i32_e64 s1, s16, v1
	s_and_saveexec_b32 s2, s1
	s_cbranch_execz .LBB116_6
; %bb.5:
	s_ashr_i32 s3, s14, 31
	v_add_co_u32 v2, s6, v13, s14
	v_add_co_ci_u32_e64 v3, null, 0, s3, s6
	v_mad_u64_u32 v[4:5], null, v1, s13, s[12:13]
	v_lshlrev_b64 v[2:3], 2, v[2:3]
	v_add_co_u32 v1, vcc_lo, s10, v2
	v_add_co_ci_u32_e64 v2, null, s11, v3, vcc_lo
	global_store_dword v[1:2], v4, off offset:132
.LBB116_6:
	s_or_b32 exec_lo, exec_lo, s2
	v_or_b32_e32 v1, 64, v13
	v_cmp_gt_i32_e64 s3, s16, v1
	s_and_saveexec_b32 s2, s3
	s_cbranch_execz .LBB116_8
; %bb.7:
	s_ashr_i32 s6, s14, 31
	v_add_co_u32 v2, s7, v13, s14
	v_add_co_ci_u32_e64 v3, null, 0, s6, s7
	v_mad_u64_u32 v[4:5], null, v1, s13, s[12:13]
	v_lshlrev_b64 v[2:3], 2, v[2:3]
	v_add_co_u32 v1, vcc_lo, s10, v2
	v_add_co_ci_u32_e64 v2, null, s11, v3, vcc_lo
	global_store_dword v[1:2], v4, off offset:260
.LBB116_8:
	s_or_b32 exec_lo, exec_lo, s2
	v_or_b32_e32 v1, 0x60, v13
	v_cmp_gt_i32_e64 s6, s16, v1
	s_and_saveexec_b32 s2, s6
	s_cbranch_execz .LBB116_10
; %bb.9:
	s_ashr_i32 s7, s14, 31
	v_add_co_u32 v2, s8, v13, s14
	v_add_co_ci_u32_e64 v3, null, 0, s7, s8
	v_mad_u64_u32 v[4:5], null, v1, s13, s[12:13]
	v_lshlrev_b64 v[2:3], 2, v[2:3]
	v_add_co_u32 v1, vcc_lo, s10, v2
	v_add_co_ci_u32_e64 v2, null, s11, v3, vcc_lo
	global_store_dword v[1:2], v4, off offset:388
.LBB116_10:
	s_or_b32 exec_lo, exec_lo, s2
	v_or_b32_e32 v1, 0x80, v13
	v_cmp_gt_i32_e64 s7, s16, v1
	s_and_saveexec_b32 s2, s7
	s_cbranch_execz .LBB116_12
; %bb.11:
	s_ashr_i32 s8, s14, 31
	v_add_co_u32 v2, s9, v13, s14
	v_add_co_ci_u32_e64 v3, null, 0, s8, s9
	v_mad_u64_u32 v[4:5], null, v1, s13, s[12:13]
	v_lshlrev_b64 v[2:3], 2, v[2:3]
	v_add_co_u32 v1, vcc_lo, s10, v2
	v_add_co_ci_u32_e64 v2, null, s11, v3, vcc_lo
	global_store_dword v[1:2], v4, off offset:516
.LBB116_12:
	s_or_b32 exec_lo, exec_lo, s2
	v_or_b32_e32 v1, 0xa0, v13
	v_cmp_gt_i32_e64 s8, s16, v1
	s_and_saveexec_b32 s2, s8
	s_cbranch_execz .LBB116_14
; %bb.13:
	s_ashr_i32 s9, s14, 31
	v_add_co_u32 v2, s15, v13, s14
	v_add_co_ci_u32_e64 v3, null, 0, s9, s15
	v_mad_u64_u32 v[4:5], null, v1, s13, s[12:13]
	v_lshlrev_b64 v[2:3], 2, v[2:3]
	v_add_co_u32 v1, vcc_lo, s10, v2
	v_add_co_ci_u32_e64 v2, null, s11, v3, vcc_lo
	global_store_dword v[1:2], v4, off offset:644
.LBB116_14:
	s_or_b32 exec_lo, exec_lo, s2
	v_or_b32_e32 v1, 0xc0, v13
	v_cmp_gt_i32_e64 s9, s16, v1
	s_and_saveexec_b32 s2, s9
	s_cbranch_execz .LBB116_16
; %bb.15:
	s_ashr_i32 s15, s14, 31
	v_add_co_u32 v2, s20, v13, s14
	v_add_co_ci_u32_e64 v3, null, 0, s15, s20
	v_mad_u64_u32 v[4:5], null, v1, s13, s[12:13]
	v_lshlrev_b64 v[2:3], 2, v[2:3]
	v_add_co_u32 v1, vcc_lo, s10, v2
	v_add_co_ci_u32_e64 v2, null, s11, v3, vcc_lo
	global_store_dword v[1:2], v4, off offset:772
.LBB116_16:
	s_or_b32 exec_lo, exec_lo, s2
	v_or_b32_e32 v1, 0xe0, v13
	v_cmp_gt_i32_e64 s2, s16, v1
	s_and_saveexec_b32 s15, s2
	s_cbranch_execz .LBB116_18
; %bb.17:
	s_ashr_i32 s20, s14, 31
	v_add_co_u32 v2, s14, v13, s14
	v_add_co_ci_u32_e64 v3, null, 0, s20, s14
	v_mad_u64_u32 v[4:5], null, v1, s13, s[12:13]
	v_lshlrev_b64 v[2:3], 2, v[2:3]
	v_add_co_u32 v1, vcc_lo, s10, v2
	v_add_co_ci_u32_e64 v2, null, s11, v3, vcc_lo
	global_store_dword v[1:2], v4, off offset:900
.LBB116_18:
	s_or_b32 exec_lo, exec_lo, s15
	s_cmp_lt_i32 s26, s27
	s_cbranch_scc0 .LBB116_149
; %bb.19:
	v_and_b32_e32 v0, 31, v0
	v_add_nc_u32_e32 v17, s28, v13
	s_clause 0x3
	s_load_dwordx2 s[30:31], s[4:5], 0x20
	s_load_dwordx2 s[20:21], s[4:5], 0x30
	s_load_dword s11, s[4:5], 0x0
	s_load_dwordx2 s[22:23], s[4:5], 0x10
	v_mad_u64_u32 v[31:32], null, v13, s19, s[28:29]
	v_add_nc_u32_e32 v9, s28, v0
	v_mad_u64_u32 v[1:2], null, s16, v17, v[0:1]
	v_add_nc_u32_e32 v12, 32, v17
	v_or_b32_e32 v18, 32, v0
	v_mad_u64_u32 v[2:3], null, s16, v9, v[13:14]
	v_add_nc_u32_e32 v3, 0xe0, v9
	v_add_nc_u32_e32 v5, 0xc0, v9
	v_add_nc_u32_e32 v6, 0xa0, v9
	v_add_nc_u32_e32 v7, 0x80, v9
	v_add_nc_u32_e32 v8, 0x60, v9
	v_mad_u64_u32 v[3:4], null, s16, v3, v[13:14]
	v_add_nc_u32_e32 v10, 64, v9
	v_mad_u64_u32 v[4:5], null, s16, v5, v[13:14]
	v_mad_u64_u32 v[5:6], null, s16, v6, v[13:14]
	;; [unrolled: 1-line block ×4, first 2 shown]
	v_add_nc_u32_e32 v11, 32, v9
	v_mad_u64_u32 v[8:9], null, s16, v10, v[13:14]
	v_add_nc_u32_e32 v14, 64, v17
	v_or_b32_e32 v19, 64, v0
	v_or_b32_e32 v20, 0x60, v0
	;; [unrolled: 1-line block ×4, first 2 shown]
	v_mad_u64_u32 v[9:10], null, s16, v11, v[13:14]
	v_mad_u64_u32 v[10:11], null, s16, v12, v[0:1]
	;; [unrolled: 1-line block ×3, first 2 shown]
	v_add_nc_u32_e32 v12, 0x60, v17
	v_add_nc_u32_e32 v14, 0x80, v17
	v_or_b32_e32 v23, 0xc0, v0
	v_or_b32_e32 v24, 0xe0, v0
	v_mad_u64_u32 v[25:26], null, 0xe0, s27, v[31:32]
	v_mad_u64_u32 v[12:13], null, s16, v12, v[0:1]
	;; [unrolled: 1-line block ×3, first 2 shown]
	v_add_nc_u32_e32 v14, 0xa0, v17
	v_mad_u64_u32 v[26:27], null, 0xc0, s27, v[31:32]
	s_load_dwordx2 s[24:25], s[4:5], 0x40
	v_cmp_gt_i32_e64 s4, s16, v0
	v_cmp_gt_i32_e64 s5, s16, v18
	;; [unrolled: 1-line block ×3, first 2 shown]
	s_waitcnt lgkmcnt(0)
	s_cmp_eq_u32 s11, 0
	v_cmp_gt_i32_e64 s11, s16, v20
	v_cmp_gt_i32_e64 s12, s16, v21
	v_cmp_gt_i32_e64 s13, s16, v22
	v_cmp_gt_i32_e64 s14, s16, v23
	v_cmp_gt_i32_e64 s15, s16, v24
	v_add_nc_u32_e32 v16, 0xc0, v17
	v_mad_u64_u32 v[14:15], null, s16, v14, v[0:1]
	s_cselect_b32 vcc_lo, -1, 0
	s_and_b32 s36, s0, s4
	s_and_b32 s37, s0, s5
	;; [unrolled: 1-line block ×16, first 2 shown]
	v_mad_u64_u32 v[15:16], null, s16, v16, v[0:1]
	s_mul_i32 s0, s26, 0xe0
	s_mul_i32 s3, s26, 0xc0
	v_add_nc_u32_e32 v16, 0xe0, v17
	v_subrev_nc_u32_e32 v25, s0, v25
	v_subrev_nc_u32_e32 v28, s3, v26
	v_mad_u64_u32 v[26:27], null, 0xa0, s27, v[31:32]
	v_mad_u64_u32 v[16:17], null, s16, v16, v[0:1]
	v_mul_lo_u32 v17, s16, v25
	v_mul_lo_u32 v25, s16, v28
	v_lshl_add_u32 v29, s27, 7, v31
	v_mad_u64_u32 v[27:28], null, 0x60, s27, v[31:32]
	s_lshl_b32 s3, s26, 7
	s_mul_i32 s0, s26, 0xa0
	v_subrev_nc_u32_e32 v28, s3, v29
	v_lshl_add_u32 v29, s27, 6, v31
	v_lshl_add_u32 v30, s27, 5, v31
	v_subrev_nc_u32_e32 v26, s0, v26
	s_mul_i32 s0, s26, 0x60
	s_lshl_b32 s3, s26, 5
	v_subrev_nc_u32_e32 v32, s0, v27
	s_lshl_b32 s0, s26, 6
	v_subrev_nc_u32_e32 v30, s3, v30
	v_subrev_nc_u32_e32 v29, s0, v29
	v_mul_lo_u32 v26, s16, v26
	v_mul_lo_u32 v27, s16, v28
	;; [unrolled: 1-line block ×6, first 2 shown]
	s_ashr_i32 s19, s18, 31
	v_cndmask_b32_e32 v32, v2, v1, vcc_lo
	s_lshl_b64 s[26:27], s[18:19], 2
	s_and_b32 s44, s1, s4
	s_and_b32 s45, s1, s5
	;; [unrolled: 1-line block ×48, first 2 shown]
	s_add_u32 s2, s30, s26
	s_mul_i32 s34, s16, s16
	s_mov_b32 s35, 0
	s_addc_u32 s3, s31, s27
	s_branch .LBB116_21
.LBB116_20:                             ;   in Loop: Header=BB116_21 Depth=1
	s_or_b32 exec_lo, exec_lo, s19
	s_add_i32 s18, s18, 1
	s_add_i32 s35, s35, s34
	v_add_nc_u32_e32 v17, s16, v17
	v_add_nc_u32_e32 v25, s16, v25
	;; [unrolled: 1-line block ×8, first 2 shown]
	s_add_u32 s2, s2, 4
	s_addc_u32 s3, s3, 0
	s_cmp_ge_i32 s18, s33
	s_cbranch_scc1 .LBB116_149
.LBB116_21:                             ; =>This Inner Loop Header: Depth=1
	s_load_dword s0, s[2:3], 0x0
	s_waitcnt lgkmcnt(0)
	s_sub_i32 s0, s0, s29
	s_mul_i32 s19, s0, s16
	s_add_i32 s19, s19, s17
	v_add_nc_u32_e32 v34, s19, v0
	s_and_saveexec_b32 s26, s36
	s_cbranch_execnz .LBB116_85
; %bb.22:                               ;   in Loop: Header=BB116_21 Depth=1
	s_or_b32 exec_lo, exec_lo, s26
	v_add_nc_u32_e32 v33, s19, v18
	s_and_saveexec_b32 s26, s37
	s_cbranch_execnz .LBB116_86
.LBB116_23:                             ;   in Loop: Header=BB116_21 Depth=1
	s_or_b32 exec_lo, exec_lo, s26
	v_add_nc_u32_e32 v35, s19, v19
	s_and_saveexec_b32 s26, s38
	s_cbranch_execnz .LBB116_87
.LBB116_24:                             ;   in Loop: Header=BB116_21 Depth=1
	s_or_b32 exec_lo, exec_lo, s26
	v_add_nc_u32_e32 v36, s19, v20
	s_and_saveexec_b32 s26, s39
	s_cbranch_execnz .LBB116_88
.LBB116_25:                             ;   in Loop: Header=BB116_21 Depth=1
	s_or_b32 exec_lo, exec_lo, s26
	v_add_nc_u32_e32 v37, s19, v21
	s_and_saveexec_b32 s26, s40
	s_cbranch_execnz .LBB116_89
.LBB116_26:                             ;   in Loop: Header=BB116_21 Depth=1
	s_or_b32 exec_lo, exec_lo, s26
	v_add_nc_u32_e32 v38, s19, v22
	s_and_saveexec_b32 s26, s41
	s_cbranch_execnz .LBB116_90
.LBB116_27:                             ;   in Loop: Header=BB116_21 Depth=1
	s_or_b32 exec_lo, exec_lo, s26
	v_add_nc_u32_e32 v39, s19, v23
	s_and_saveexec_b32 s26, s42
	s_cbranch_execnz .LBB116_91
.LBB116_28:                             ;   in Loop: Header=BB116_21 Depth=1
	s_or_b32 exec_lo, exec_lo, s26
	v_add_nc_u32_e32 v40, s19, v24
	s_and_saveexec_b32 s19, s43
	s_cbranch_execnz .LBB116_92
.LBB116_29:                             ;   in Loop: Header=BB116_21 Depth=1
	s_or_b32 exec_lo, exec_lo, s19
	s_and_saveexec_b32 s19, s44
	s_cbranch_execnz .LBB116_93
.LBB116_30:                             ;   in Loop: Header=BB116_21 Depth=1
	s_or_b32 exec_lo, exec_lo, s19
	s_and_saveexec_b32 s19, s45
	s_cbranch_execnz .LBB116_94
.LBB116_31:                             ;   in Loop: Header=BB116_21 Depth=1
	s_or_b32 exec_lo, exec_lo, s19
	s_and_saveexec_b32 s19, s46
	s_cbranch_execnz .LBB116_95
.LBB116_32:                             ;   in Loop: Header=BB116_21 Depth=1
	s_or_b32 exec_lo, exec_lo, s19
	s_and_saveexec_b32 s19, s47
	s_cbranch_execnz .LBB116_96
.LBB116_33:                             ;   in Loop: Header=BB116_21 Depth=1
	s_or_b32 exec_lo, exec_lo, s19
	s_and_saveexec_b32 s19, s48
	s_cbranch_execnz .LBB116_97
.LBB116_34:                             ;   in Loop: Header=BB116_21 Depth=1
	s_or_b32 exec_lo, exec_lo, s19
	s_and_saveexec_b32 s19, s49
	s_cbranch_execnz .LBB116_98
.LBB116_35:                             ;   in Loop: Header=BB116_21 Depth=1
	s_or_b32 exec_lo, exec_lo, s19
	s_and_saveexec_b32 s19, s50
	s_cbranch_execnz .LBB116_99
.LBB116_36:                             ;   in Loop: Header=BB116_21 Depth=1
	s_or_b32 exec_lo, exec_lo, s19
	s_and_saveexec_b32 s19, s1
	s_cbranch_execnz .LBB116_100
.LBB116_37:                             ;   in Loop: Header=BB116_21 Depth=1
	s_or_b32 exec_lo, exec_lo, s19
	s_and_saveexec_b32 s19, s51
	s_cbranch_execnz .LBB116_101
.LBB116_38:                             ;   in Loop: Header=BB116_21 Depth=1
	s_or_b32 exec_lo, exec_lo, s19
	s_and_saveexec_b32 s19, s52
	s_cbranch_execnz .LBB116_102
.LBB116_39:                             ;   in Loop: Header=BB116_21 Depth=1
	s_or_b32 exec_lo, exec_lo, s19
	s_and_saveexec_b32 s19, s53
	s_cbranch_execnz .LBB116_103
.LBB116_40:                             ;   in Loop: Header=BB116_21 Depth=1
	s_or_b32 exec_lo, exec_lo, s19
	s_and_saveexec_b32 s19, s54
	s_cbranch_execnz .LBB116_104
.LBB116_41:                             ;   in Loop: Header=BB116_21 Depth=1
	s_or_b32 exec_lo, exec_lo, s19
	s_and_saveexec_b32 s19, s55
	s_cbranch_execnz .LBB116_105
.LBB116_42:                             ;   in Loop: Header=BB116_21 Depth=1
	s_or_b32 exec_lo, exec_lo, s19
	s_and_saveexec_b32 s19, s56
	s_cbranch_execnz .LBB116_106
.LBB116_43:                             ;   in Loop: Header=BB116_21 Depth=1
	s_or_b32 exec_lo, exec_lo, s19
	s_and_saveexec_b32 s19, s57
	s_cbranch_execnz .LBB116_107
.LBB116_44:                             ;   in Loop: Header=BB116_21 Depth=1
	s_or_b32 exec_lo, exec_lo, s19
	s_and_saveexec_b32 s19, s58
	s_cbranch_execnz .LBB116_108
.LBB116_45:                             ;   in Loop: Header=BB116_21 Depth=1
	s_or_b32 exec_lo, exec_lo, s19
	s_and_saveexec_b32 s19, s59
	s_cbranch_execnz .LBB116_109
.LBB116_46:                             ;   in Loop: Header=BB116_21 Depth=1
	s_or_b32 exec_lo, exec_lo, s19
	s_and_saveexec_b32 s19, s60
	s_cbranch_execnz .LBB116_110
.LBB116_47:                             ;   in Loop: Header=BB116_21 Depth=1
	s_or_b32 exec_lo, exec_lo, s19
	s_and_saveexec_b32 s19, s61
	s_cbranch_execnz .LBB116_111
.LBB116_48:                             ;   in Loop: Header=BB116_21 Depth=1
	s_or_b32 exec_lo, exec_lo, s19
	s_and_saveexec_b32 s19, s62
	s_cbranch_execnz .LBB116_112
.LBB116_49:                             ;   in Loop: Header=BB116_21 Depth=1
	s_or_b32 exec_lo, exec_lo, s19
	s_and_saveexec_b32 s19, s63
	s_cbranch_execnz .LBB116_113
.LBB116_50:                             ;   in Loop: Header=BB116_21 Depth=1
	s_or_b32 exec_lo, exec_lo, s19
	s_and_saveexec_b32 s19, s64
	s_cbranch_execnz .LBB116_114
.LBB116_51:                             ;   in Loop: Header=BB116_21 Depth=1
	s_or_b32 exec_lo, exec_lo, s19
	s_and_saveexec_b32 s19, s65
	s_cbranch_execnz .LBB116_115
.LBB116_52:                             ;   in Loop: Header=BB116_21 Depth=1
	s_or_b32 exec_lo, exec_lo, s19
	s_and_saveexec_b32 s19, s6
	s_cbranch_execnz .LBB116_116
.LBB116_53:                             ;   in Loop: Header=BB116_21 Depth=1
	s_or_b32 exec_lo, exec_lo, s19
	s_and_saveexec_b32 s19, s66
	s_cbranch_execnz .LBB116_117
.LBB116_54:                             ;   in Loop: Header=BB116_21 Depth=1
	s_or_b32 exec_lo, exec_lo, s19
	s_and_saveexec_b32 s19, s67
	s_cbranch_execnz .LBB116_118
.LBB116_55:                             ;   in Loop: Header=BB116_21 Depth=1
	s_or_b32 exec_lo, exec_lo, s19
	s_and_saveexec_b32 s19, s68
	s_cbranch_execnz .LBB116_119
.LBB116_56:                             ;   in Loop: Header=BB116_21 Depth=1
	s_or_b32 exec_lo, exec_lo, s19
	s_and_saveexec_b32 s19, s69
	s_cbranch_execnz .LBB116_120
.LBB116_57:                             ;   in Loop: Header=BB116_21 Depth=1
	s_or_b32 exec_lo, exec_lo, s19
	s_and_saveexec_b32 s19, s70
	s_cbranch_execnz .LBB116_121
.LBB116_58:                             ;   in Loop: Header=BB116_21 Depth=1
	s_or_b32 exec_lo, exec_lo, s19
	s_and_saveexec_b32 s19, s71
	s_cbranch_execnz .LBB116_122
.LBB116_59:                             ;   in Loop: Header=BB116_21 Depth=1
	s_or_b32 exec_lo, exec_lo, s19
	s_and_saveexec_b32 s19, s72
	s_cbranch_execnz .LBB116_123
.LBB116_60:                             ;   in Loop: Header=BB116_21 Depth=1
	s_or_b32 exec_lo, exec_lo, s19
	s_and_saveexec_b32 s19, s7
	s_cbranch_execnz .LBB116_124
.LBB116_61:                             ;   in Loop: Header=BB116_21 Depth=1
	s_or_b32 exec_lo, exec_lo, s19
	s_and_saveexec_b32 s19, s73
	s_cbranch_execnz .LBB116_125
.LBB116_62:                             ;   in Loop: Header=BB116_21 Depth=1
	s_or_b32 exec_lo, exec_lo, s19
	s_and_saveexec_b32 s19, s74
	s_cbranch_execnz .LBB116_126
.LBB116_63:                             ;   in Loop: Header=BB116_21 Depth=1
	s_or_b32 exec_lo, exec_lo, s19
	s_and_saveexec_b32 s19, s75
	s_cbranch_execnz .LBB116_127
.LBB116_64:                             ;   in Loop: Header=BB116_21 Depth=1
	s_or_b32 exec_lo, exec_lo, s19
	s_and_saveexec_b32 s19, s76
	s_cbranch_execnz .LBB116_128
.LBB116_65:                             ;   in Loop: Header=BB116_21 Depth=1
	s_or_b32 exec_lo, exec_lo, s19
	s_and_saveexec_b32 s19, s77
	s_cbranch_execnz .LBB116_129
.LBB116_66:                             ;   in Loop: Header=BB116_21 Depth=1
	s_or_b32 exec_lo, exec_lo, s19
	s_and_saveexec_b32 s19, s78
	s_cbranch_execnz .LBB116_130
.LBB116_67:                             ;   in Loop: Header=BB116_21 Depth=1
	s_or_b32 exec_lo, exec_lo, s19
	s_and_saveexec_b32 s19, s79
	s_cbranch_execnz .LBB116_131
.LBB116_68:                             ;   in Loop: Header=BB116_21 Depth=1
	s_or_b32 exec_lo, exec_lo, s19
	s_and_saveexec_b32 s19, s8
	s_cbranch_execnz .LBB116_132
.LBB116_69:                             ;   in Loop: Header=BB116_21 Depth=1
	s_or_b32 exec_lo, exec_lo, s19
	s_and_saveexec_b32 s19, s80
	s_cbranch_execnz .LBB116_133
.LBB116_70:                             ;   in Loop: Header=BB116_21 Depth=1
	s_or_b32 exec_lo, exec_lo, s19
	s_and_saveexec_b32 s19, s81
	s_cbranch_execnz .LBB116_134
.LBB116_71:                             ;   in Loop: Header=BB116_21 Depth=1
	s_or_b32 exec_lo, exec_lo, s19
	s_and_saveexec_b32 s19, s82
	s_cbranch_execnz .LBB116_135
.LBB116_72:                             ;   in Loop: Header=BB116_21 Depth=1
	s_or_b32 exec_lo, exec_lo, s19
	s_and_saveexec_b32 s19, s83
	s_cbranch_execnz .LBB116_136
.LBB116_73:                             ;   in Loop: Header=BB116_21 Depth=1
	s_or_b32 exec_lo, exec_lo, s19
	s_and_saveexec_b32 s19, s84
	s_cbranch_execnz .LBB116_137
.LBB116_74:                             ;   in Loop: Header=BB116_21 Depth=1
	s_or_b32 exec_lo, exec_lo, s19
	s_and_saveexec_b32 s19, s85
	s_cbranch_execnz .LBB116_138
.LBB116_75:                             ;   in Loop: Header=BB116_21 Depth=1
	s_or_b32 exec_lo, exec_lo, s19
	s_and_saveexec_b32 s19, s86
	s_cbranch_execnz .LBB116_139
.LBB116_76:                             ;   in Loop: Header=BB116_21 Depth=1
	s_or_b32 exec_lo, exec_lo, s19
	s_and_saveexec_b32 s19, s9
	s_cbranch_execnz .LBB116_140
.LBB116_77:                             ;   in Loop: Header=BB116_21 Depth=1
	s_or_b32 exec_lo, exec_lo, s19
	s_and_saveexec_b32 s19, s4
	s_cbranch_execnz .LBB116_141
.LBB116_78:                             ;   in Loop: Header=BB116_21 Depth=1
	s_or_b32 exec_lo, exec_lo, s19
	s_and_saveexec_b32 s19, s5
	s_cbranch_execnz .LBB116_142
.LBB116_79:                             ;   in Loop: Header=BB116_21 Depth=1
	s_or_b32 exec_lo, exec_lo, s19
	s_and_saveexec_b32 s19, s10
	s_cbranch_execnz .LBB116_143
.LBB116_80:                             ;   in Loop: Header=BB116_21 Depth=1
	s_or_b32 exec_lo, exec_lo, s19
	s_and_saveexec_b32 s19, s11
	s_cbranch_execnz .LBB116_144
.LBB116_81:                             ;   in Loop: Header=BB116_21 Depth=1
	s_or_b32 exec_lo, exec_lo, s19
	s_and_saveexec_b32 s19, s12
	s_cbranch_execnz .LBB116_145
.LBB116_82:                             ;   in Loop: Header=BB116_21 Depth=1
	s_or_b32 exec_lo, exec_lo, s19
	s_and_saveexec_b32 s19, s13
	s_cbranch_execnz .LBB116_146
.LBB116_83:                             ;   in Loop: Header=BB116_21 Depth=1
	s_or_b32 exec_lo, exec_lo, s19
	s_and_saveexec_b32 s19, s14
	s_cbranch_execnz .LBB116_147
.LBB116_84:                             ;   in Loop: Header=BB116_21 Depth=1
	s_or_b32 exec_lo, exec_lo, s19
	s_and_saveexec_b32 s19, s15
	s_cbranch_execz .LBB116_20
	s_branch .LBB116_148
.LBB116_85:                             ;   in Loop: Header=BB116_21 Depth=1
	v_add_nc_u32_e32 v35, s35, v32
	v_ashrrev_i32_e32 v36, 31, v35
	v_lshlrev_b64 v[35:36], 2, v[35:36]
	v_add_co_u32 v35, s0, s22, v35
	v_add_co_ci_u32_e64 v36, null, s23, v36, s0
	global_load_dword v33, v[35:36], off
	v_add_nc_u32_e32 v35, v0, v31
	v_ashrrev_i32_e32 v36, 31, v35
	v_lshlrev_b64 v[35:36], 2, v[35:36]
	v_add_co_u32 v37, s0, s24, v35
	v_add_co_ci_u32_e64 v38, null, s25, v36, s0
	v_add_co_u32 v35, s0, s20, v35
	v_add_co_ci_u32_e64 v36, null, s21, v36, s0
	global_store_dword v[37:38], v34, off
	s_waitcnt vmcnt(0)
	global_store_dword v[35:36], v33, off
	s_or_b32 exec_lo, exec_lo, s26
	v_add_nc_u32_e32 v33, s19, v18
	s_and_saveexec_b32 s26, s37
	s_cbranch_execz .LBB116_23
.LBB116_86:                             ;   in Loop: Header=BB116_21 Depth=1
	v_add3_u32 v35, v1, s35, 32
	v_add_nc_u32_e32 v36, s35, v9
	v_cndmask_b32_e32 v35, v36, v35, vcc_lo
	v_ashrrev_i32_e32 v36, 31, v35
	v_lshlrev_b64 v[35:36], 2, v[35:36]
	v_add_co_u32 v35, s0, s22, v35
	v_add_co_ci_u32_e64 v36, null, s23, v36, s0
	global_load_dword v39, v[35:36], off
	v_add3_u32 v35, v0, v31, 32
	v_ashrrev_i32_e32 v36, 31, v35
	v_lshlrev_b64 v[35:36], 2, v[35:36]
	v_add_co_u32 v37, s0, s24, v35
	v_add_co_ci_u32_e64 v38, null, s25, v36, s0
	v_add_co_u32 v35, s0, s20, v35
	v_add_co_ci_u32_e64 v36, null, s21, v36, s0
	global_store_dword v[37:38], v33, off
	s_waitcnt vmcnt(0)
	global_store_dword v[35:36], v39, off
	s_or_b32 exec_lo, exec_lo, s26
	v_add_nc_u32_e32 v35, s19, v19
	s_and_saveexec_b32 s26, s38
	s_cbranch_execz .LBB116_24
.LBB116_87:                             ;   in Loop: Header=BB116_21 Depth=1
	v_add3_u32 v36, v1, s35, 64
	v_add_nc_u32_e32 v37, s35, v8
	v_cndmask_b32_e32 v36, v37, v36, vcc_lo
	v_ashrrev_i32_e32 v37, 31, v36
	v_lshlrev_b64 v[36:37], 2, v[36:37]
	v_add_co_u32 v36, s0, s22, v36
	v_add_co_ci_u32_e64 v37, null, s23, v37, s0
	global_load_dword v40, v[36:37], off
	v_add3_u32 v36, v0, v31, 64
	v_ashrrev_i32_e32 v37, 31, v36
	v_lshlrev_b64 v[36:37], 2, v[36:37]
	v_add_co_u32 v38, s0, s24, v36
	v_add_co_ci_u32_e64 v39, null, s25, v37, s0
	v_add_co_u32 v36, s0, s20, v36
	v_add_co_ci_u32_e64 v37, null, s21, v37, s0
	global_store_dword v[38:39], v35, off
	s_waitcnt vmcnt(0)
	global_store_dword v[36:37], v40, off
	s_or_b32 exec_lo, exec_lo, s26
	v_add_nc_u32_e32 v36, s19, v20
	s_and_saveexec_b32 s26, s39
	s_cbranch_execz .LBB116_25
.LBB116_88:                             ;   in Loop: Header=BB116_21 Depth=1
	v_add3_u32 v37, v1, s35, 0x60
	v_add_nc_u32_e32 v38, s35, v7
	v_cndmask_b32_e32 v37, v38, v37, vcc_lo
	v_ashrrev_i32_e32 v38, 31, v37
	v_lshlrev_b64 v[37:38], 2, v[37:38]
	v_add_co_u32 v37, s0, s22, v37
	v_add_co_ci_u32_e64 v38, null, s23, v38, s0
	global_load_dword v41, v[37:38], off
	v_add3_u32 v37, v0, v31, 0x60
	v_ashrrev_i32_e32 v38, 31, v37
	v_lshlrev_b64 v[37:38], 2, v[37:38]
	v_add_co_u32 v39, s0, s24, v37
	v_add_co_ci_u32_e64 v40, null, s25, v38, s0
	v_add_co_u32 v37, s0, s20, v37
	v_add_co_ci_u32_e64 v38, null, s21, v38, s0
	global_store_dword v[39:40], v36, off
	s_waitcnt vmcnt(0)
	global_store_dword v[37:38], v41, off
	s_or_b32 exec_lo, exec_lo, s26
	v_add_nc_u32_e32 v37, s19, v21
	s_and_saveexec_b32 s26, s40
	s_cbranch_execz .LBB116_26
.LBB116_89:                             ;   in Loop: Header=BB116_21 Depth=1
	v_add3_u32 v38, v1, s35, 0x80
	v_add_nc_u32_e32 v39, s35, v6
	v_cndmask_b32_e32 v38, v39, v38, vcc_lo
	v_ashrrev_i32_e32 v39, 31, v38
	v_lshlrev_b64 v[38:39], 2, v[38:39]
	v_add_co_u32 v38, s0, s22, v38
	v_add_co_ci_u32_e64 v39, null, s23, v39, s0
	global_load_dword v42, v[38:39], off
	v_add3_u32 v38, v0, v31, 0x80
	v_ashrrev_i32_e32 v39, 31, v38
	v_lshlrev_b64 v[38:39], 2, v[38:39]
	v_add_co_u32 v40, s0, s24, v38
	v_add_co_ci_u32_e64 v41, null, s25, v39, s0
	v_add_co_u32 v38, s0, s20, v38
	v_add_co_ci_u32_e64 v39, null, s21, v39, s0
	global_store_dword v[40:41], v37, off
	s_waitcnt vmcnt(0)
	global_store_dword v[38:39], v42, off
	s_or_b32 exec_lo, exec_lo, s26
	v_add_nc_u32_e32 v38, s19, v22
	s_and_saveexec_b32 s26, s41
	s_cbranch_execz .LBB116_27
.LBB116_90:                             ;   in Loop: Header=BB116_21 Depth=1
	v_add3_u32 v39, v1, s35, 0xa0
	v_add_nc_u32_e32 v40, s35, v5
	v_cndmask_b32_e32 v39, v40, v39, vcc_lo
	v_ashrrev_i32_e32 v40, 31, v39
	v_lshlrev_b64 v[39:40], 2, v[39:40]
	v_add_co_u32 v39, s0, s22, v39
	v_add_co_ci_u32_e64 v40, null, s23, v40, s0
	global_load_dword v43, v[39:40], off
	v_add3_u32 v39, v0, v31, 0xa0
	v_ashrrev_i32_e32 v40, 31, v39
	v_lshlrev_b64 v[39:40], 2, v[39:40]
	v_add_co_u32 v41, s0, s24, v39
	v_add_co_ci_u32_e64 v42, null, s25, v40, s0
	v_add_co_u32 v39, s0, s20, v39
	v_add_co_ci_u32_e64 v40, null, s21, v40, s0
	global_store_dword v[41:42], v38, off
	s_waitcnt vmcnt(0)
	global_store_dword v[39:40], v43, off
	s_or_b32 exec_lo, exec_lo, s26
	v_add_nc_u32_e32 v39, s19, v23
	s_and_saveexec_b32 s26, s42
	s_cbranch_execz .LBB116_28
.LBB116_91:                             ;   in Loop: Header=BB116_21 Depth=1
	v_add3_u32 v40, v1, s35, 0xc0
	v_add_nc_u32_e32 v41, s35, v4
	v_cndmask_b32_e32 v40, v41, v40, vcc_lo
	v_ashrrev_i32_e32 v41, 31, v40
	v_lshlrev_b64 v[40:41], 2, v[40:41]
	v_add_co_u32 v40, s0, s22, v40
	v_add_co_ci_u32_e64 v41, null, s23, v41, s0
	global_load_dword v44, v[40:41], off
	v_add3_u32 v40, v0, v31, 0xc0
	v_ashrrev_i32_e32 v41, 31, v40
	v_lshlrev_b64 v[40:41], 2, v[40:41]
	v_add_co_u32 v42, s0, s24, v40
	v_add_co_ci_u32_e64 v43, null, s25, v41, s0
	v_add_co_u32 v40, s0, s20, v40
	v_add_co_ci_u32_e64 v41, null, s21, v41, s0
	global_store_dword v[42:43], v39, off
	s_waitcnt vmcnt(0)
	global_store_dword v[40:41], v44, off
	s_or_b32 exec_lo, exec_lo, s26
	v_add_nc_u32_e32 v40, s19, v24
	s_and_saveexec_b32 s19, s43
	s_cbranch_execz .LBB116_29
.LBB116_92:                             ;   in Loop: Header=BB116_21 Depth=1
	v_add3_u32 v41, v1, s35, 0xe0
	v_add_nc_u32_e32 v42, s35, v3
	v_cndmask_b32_e32 v41, v42, v41, vcc_lo
	v_ashrrev_i32_e32 v42, 31, v41
	v_lshlrev_b64 v[41:42], 2, v[41:42]
	v_add_co_u32 v41, s0, s22, v41
	v_add_co_ci_u32_e64 v42, null, s23, v42, s0
	global_load_dword v45, v[41:42], off
	v_add3_u32 v41, v0, v31, 0xe0
	v_ashrrev_i32_e32 v42, 31, v41
	v_lshlrev_b64 v[41:42], 2, v[41:42]
	v_add_co_u32 v43, s0, s24, v41
	v_add_co_ci_u32_e64 v44, null, s25, v42, s0
	v_add_co_u32 v41, s0, s20, v41
	v_add_co_ci_u32_e64 v42, null, s21, v42, s0
	global_store_dword v[43:44], v40, off
	s_waitcnt vmcnt(0)
	global_store_dword v[41:42], v45, off
	s_or_b32 exec_lo, exec_lo, s19
	s_and_saveexec_b32 s19, s44
	s_cbranch_execz .LBB116_30
.LBB116_93:                             ;   in Loop: Header=BB116_21 Depth=1
	v_add_nc_u32_e32 v41, s35, v10
	v_add3_u32 v42, v2, s35, 32
	v_cndmask_b32_e32 v41, v42, v41, vcc_lo
	v_ashrrev_i32_e32 v42, 31, v41
	v_lshlrev_b64 v[41:42], 2, v[41:42]
	v_add_co_u32 v41, s0, s22, v41
	v_add_co_ci_u32_e64 v42, null, s23, v42, s0
	global_load_dword v45, v[41:42], off
	v_add_nc_u32_e32 v41, v0, v30
	v_ashrrev_i32_e32 v42, 31, v41
	v_lshlrev_b64 v[41:42], 2, v[41:42]
	v_add_co_u32 v43, s0, s24, v41
	v_add_co_ci_u32_e64 v44, null, s25, v42, s0
	v_add_co_u32 v41, s0, s20, v41
	v_add_co_ci_u32_e64 v42, null, s21, v42, s0
	global_store_dword v[43:44], v34, off
	s_waitcnt vmcnt(0)
	global_store_dword v[41:42], v45, off
	s_or_b32 exec_lo, exec_lo, s19
	s_and_saveexec_b32 s19, s45
	s_cbranch_execz .LBB116_31
.LBB116_94:                             ;   in Loop: Header=BB116_21 Depth=1
	v_cndmask_b32_e32 v41, v9, v10, vcc_lo
	v_add3_u32 v41, v41, s35, 32
	v_ashrrev_i32_e32 v42, 31, v41
	v_lshlrev_b64 v[41:42], 2, v[41:42]
	v_add_co_u32 v41, s0, s22, v41
	v_add_co_ci_u32_e64 v42, null, s23, v42, s0
	global_load_dword v45, v[41:42], off
	v_add3_u32 v41, v0, v30, 32
	v_ashrrev_i32_e32 v42, 31, v41
	v_lshlrev_b64 v[41:42], 2, v[41:42]
	v_add_co_u32 v43, s0, s24, v41
	v_add_co_ci_u32_e64 v44, null, s25, v42, s0
	v_add_co_u32 v41, s0, s20, v41
	v_add_co_ci_u32_e64 v42, null, s21, v42, s0
	global_store_dword v[43:44], v33, off
	s_waitcnt vmcnt(0)
	global_store_dword v[41:42], v45, off
	s_or_b32 exec_lo, exec_lo, s19
	s_and_saveexec_b32 s19, s46
	s_cbranch_execz .LBB116_32
.LBB116_95:                             ;   in Loop: Header=BB116_21 Depth=1
	v_add3_u32 v41, v10, s35, 64
	v_add3_u32 v42, v8, s35, 32
	v_cndmask_b32_e32 v41, v42, v41, vcc_lo
	v_ashrrev_i32_e32 v42, 31, v41
	v_lshlrev_b64 v[41:42], 2, v[41:42]
	v_add_co_u32 v41, s0, s22, v41
	v_add_co_ci_u32_e64 v42, null, s23, v42, s0
	global_load_dword v45, v[41:42], off
	v_add3_u32 v41, v0, v30, 64
	v_ashrrev_i32_e32 v42, 31, v41
	v_lshlrev_b64 v[41:42], 2, v[41:42]
	v_add_co_u32 v43, s0, s24, v41
	v_add_co_ci_u32_e64 v44, null, s25, v42, s0
	v_add_co_u32 v41, s0, s20, v41
	v_add_co_ci_u32_e64 v42, null, s21, v42, s0
	global_store_dword v[43:44], v35, off
	s_waitcnt vmcnt(0)
	global_store_dword v[41:42], v45, off
	s_or_b32 exec_lo, exec_lo, s19
	s_and_saveexec_b32 s19, s47
	s_cbranch_execz .LBB116_33
.LBB116_96:                             ;   in Loop: Header=BB116_21 Depth=1
	v_add3_u32 v41, v10, s35, 0x60
	v_add3_u32 v42, v7, s35, 32
	v_cndmask_b32_e32 v41, v42, v41, vcc_lo
	v_ashrrev_i32_e32 v42, 31, v41
	v_lshlrev_b64 v[41:42], 2, v[41:42]
	v_add_co_u32 v41, s0, s22, v41
	v_add_co_ci_u32_e64 v42, null, s23, v42, s0
	global_load_dword v45, v[41:42], off
	v_add3_u32 v41, v0, v30, 0x60
	v_ashrrev_i32_e32 v42, 31, v41
	v_lshlrev_b64 v[41:42], 2, v[41:42]
	v_add_co_u32 v43, s0, s24, v41
	v_add_co_ci_u32_e64 v44, null, s25, v42, s0
	v_add_co_u32 v41, s0, s20, v41
	v_add_co_ci_u32_e64 v42, null, s21, v42, s0
	global_store_dword v[43:44], v36, off
	s_waitcnt vmcnt(0)
	global_store_dword v[41:42], v45, off
	s_or_b32 exec_lo, exec_lo, s19
	s_and_saveexec_b32 s19, s48
	s_cbranch_execz .LBB116_34
.LBB116_97:                             ;   in Loop: Header=BB116_21 Depth=1
	v_add3_u32 v41, v10, s35, 0x80
	v_add3_u32 v42, v6, s35, 32
	v_cndmask_b32_e32 v41, v42, v41, vcc_lo
	v_ashrrev_i32_e32 v42, 31, v41
	v_lshlrev_b64 v[41:42], 2, v[41:42]
	v_add_co_u32 v41, s0, s22, v41
	v_add_co_ci_u32_e64 v42, null, s23, v42, s0
	global_load_dword v45, v[41:42], off
	v_add3_u32 v41, v0, v30, 0x80
	v_ashrrev_i32_e32 v42, 31, v41
	v_lshlrev_b64 v[41:42], 2, v[41:42]
	v_add_co_u32 v43, s0, s24, v41
	v_add_co_ci_u32_e64 v44, null, s25, v42, s0
	v_add_co_u32 v41, s0, s20, v41
	v_add_co_ci_u32_e64 v42, null, s21, v42, s0
	global_store_dword v[43:44], v37, off
	s_waitcnt vmcnt(0)
	global_store_dword v[41:42], v45, off
	s_or_b32 exec_lo, exec_lo, s19
	s_and_saveexec_b32 s19, s49
	s_cbranch_execz .LBB116_35
.LBB116_98:                             ;   in Loop: Header=BB116_21 Depth=1
	v_add3_u32 v41, v10, s35, 0xa0
	v_add3_u32 v42, v5, s35, 32
	v_cndmask_b32_e32 v41, v42, v41, vcc_lo
	v_ashrrev_i32_e32 v42, 31, v41
	v_lshlrev_b64 v[41:42], 2, v[41:42]
	v_add_co_u32 v41, s0, s22, v41
	v_add_co_ci_u32_e64 v42, null, s23, v42, s0
	global_load_dword v45, v[41:42], off
	v_add3_u32 v41, v0, v30, 0xa0
	v_ashrrev_i32_e32 v42, 31, v41
	v_lshlrev_b64 v[41:42], 2, v[41:42]
	v_add_co_u32 v43, s0, s24, v41
	v_add_co_ci_u32_e64 v44, null, s25, v42, s0
	v_add_co_u32 v41, s0, s20, v41
	v_add_co_ci_u32_e64 v42, null, s21, v42, s0
	global_store_dword v[43:44], v38, off
	s_waitcnt vmcnt(0)
	global_store_dword v[41:42], v45, off
	s_or_b32 exec_lo, exec_lo, s19
	s_and_saveexec_b32 s19, s50
	s_cbranch_execz .LBB116_36
.LBB116_99:                             ;   in Loop: Header=BB116_21 Depth=1
	v_add3_u32 v41, v10, s35, 0xc0
	v_add3_u32 v42, v4, s35, 32
	v_cndmask_b32_e32 v41, v42, v41, vcc_lo
	v_ashrrev_i32_e32 v42, 31, v41
	v_lshlrev_b64 v[41:42], 2, v[41:42]
	v_add_co_u32 v41, s0, s22, v41
	v_add_co_ci_u32_e64 v42, null, s23, v42, s0
	global_load_dword v45, v[41:42], off
	v_add3_u32 v41, v0, v30, 0xc0
	v_ashrrev_i32_e32 v42, 31, v41
	v_lshlrev_b64 v[41:42], 2, v[41:42]
	v_add_co_u32 v43, s0, s24, v41
	v_add_co_ci_u32_e64 v44, null, s25, v42, s0
	v_add_co_u32 v41, s0, s20, v41
	v_add_co_ci_u32_e64 v42, null, s21, v42, s0
	global_store_dword v[43:44], v39, off
	s_waitcnt vmcnt(0)
	global_store_dword v[41:42], v45, off
	s_or_b32 exec_lo, exec_lo, s19
	s_and_saveexec_b32 s19, s1
	s_cbranch_execz .LBB116_37
.LBB116_100:                            ;   in Loop: Header=BB116_21 Depth=1
	v_add3_u32 v41, v10, s35, 0xe0
	v_add3_u32 v42, v3, s35, 32
	v_cndmask_b32_e32 v41, v42, v41, vcc_lo
	v_ashrrev_i32_e32 v42, 31, v41
	v_lshlrev_b64 v[41:42], 2, v[41:42]
	v_add_co_u32 v41, s0, s22, v41
	v_add_co_ci_u32_e64 v42, null, s23, v42, s0
	global_load_dword v45, v[41:42], off
	v_add3_u32 v41, v0, v30, 0xe0
	v_ashrrev_i32_e32 v42, 31, v41
	v_lshlrev_b64 v[41:42], 2, v[41:42]
	v_add_co_u32 v43, s0, s24, v41
	v_add_co_ci_u32_e64 v44, null, s25, v42, s0
	v_add_co_u32 v41, s0, s20, v41
	v_add_co_ci_u32_e64 v42, null, s21, v42, s0
	global_store_dword v[43:44], v40, off
	s_waitcnt vmcnt(0)
	global_store_dword v[41:42], v45, off
	s_or_b32 exec_lo, exec_lo, s19
	s_and_saveexec_b32 s19, s51
	s_cbranch_execz .LBB116_38
.LBB116_101:                            ;   in Loop: Header=BB116_21 Depth=1
	v_add_nc_u32_e32 v41, s35, v11
	v_add3_u32 v42, v2, s35, 64
	v_cndmask_b32_e32 v41, v42, v41, vcc_lo
	v_ashrrev_i32_e32 v42, 31, v41
	v_lshlrev_b64 v[41:42], 2, v[41:42]
	v_add_co_u32 v41, s0, s22, v41
	v_add_co_ci_u32_e64 v42, null, s23, v42, s0
	global_load_dword v45, v[41:42], off
	v_add_nc_u32_e32 v41, v0, v29
	v_ashrrev_i32_e32 v42, 31, v41
	v_lshlrev_b64 v[41:42], 2, v[41:42]
	v_add_co_u32 v43, s0, s24, v41
	v_add_co_ci_u32_e64 v44, null, s25, v42, s0
	v_add_co_u32 v41, s0, s20, v41
	v_add_co_ci_u32_e64 v42, null, s21, v42, s0
	global_store_dword v[43:44], v34, off
	s_waitcnt vmcnt(0)
	global_store_dword v[41:42], v45, off
	s_or_b32 exec_lo, exec_lo, s19
	s_and_saveexec_b32 s19, s52
	s_cbranch_execz .LBB116_39
.LBB116_102:                            ;   in Loop: Header=BB116_21 Depth=1
	v_add3_u32 v41, v11, s35, 32
	v_add3_u32 v42, v9, s35, 64
	v_cndmask_b32_e32 v41, v42, v41, vcc_lo
	v_ashrrev_i32_e32 v42, 31, v41
	v_lshlrev_b64 v[41:42], 2, v[41:42]
	v_add_co_u32 v41, s0, s22, v41
	v_add_co_ci_u32_e64 v42, null, s23, v42, s0
	global_load_dword v45, v[41:42], off
	v_add3_u32 v41, v0, v29, 32
	v_ashrrev_i32_e32 v42, 31, v41
	v_lshlrev_b64 v[41:42], 2, v[41:42]
	v_add_co_u32 v43, s0, s24, v41
	v_add_co_ci_u32_e64 v44, null, s25, v42, s0
	v_add_co_u32 v41, s0, s20, v41
	v_add_co_ci_u32_e64 v42, null, s21, v42, s0
	global_store_dword v[43:44], v33, off
	s_waitcnt vmcnt(0)
	global_store_dword v[41:42], v45, off
	s_or_b32 exec_lo, exec_lo, s19
	s_and_saveexec_b32 s19, s53
	s_cbranch_execz .LBB116_40
.LBB116_103:                            ;   in Loop: Header=BB116_21 Depth=1
	v_cndmask_b32_e32 v41, v8, v11, vcc_lo
	v_add3_u32 v41, v41, s35, 64
	v_ashrrev_i32_e32 v42, 31, v41
	v_lshlrev_b64 v[41:42], 2, v[41:42]
	v_add_co_u32 v41, s0, s22, v41
	v_add_co_ci_u32_e64 v42, null, s23, v42, s0
	global_load_dword v45, v[41:42], off
	v_add3_u32 v41, v0, v29, 64
	v_ashrrev_i32_e32 v42, 31, v41
	v_lshlrev_b64 v[41:42], 2, v[41:42]
	v_add_co_u32 v43, s0, s24, v41
	v_add_co_ci_u32_e64 v44, null, s25, v42, s0
	v_add_co_u32 v41, s0, s20, v41
	v_add_co_ci_u32_e64 v42, null, s21, v42, s0
	global_store_dword v[43:44], v35, off
	s_waitcnt vmcnt(0)
	global_store_dword v[41:42], v45, off
	s_or_b32 exec_lo, exec_lo, s19
	s_and_saveexec_b32 s19, s54
	s_cbranch_execz .LBB116_41
.LBB116_104:                            ;   in Loop: Header=BB116_21 Depth=1
	v_add3_u32 v41, v11, s35, 0x60
	v_add3_u32 v42, v7, s35, 64
	v_cndmask_b32_e32 v41, v42, v41, vcc_lo
	v_ashrrev_i32_e32 v42, 31, v41
	v_lshlrev_b64 v[41:42], 2, v[41:42]
	v_add_co_u32 v41, s0, s22, v41
	v_add_co_ci_u32_e64 v42, null, s23, v42, s0
	global_load_dword v45, v[41:42], off
	v_add3_u32 v41, v0, v29, 0x60
	v_ashrrev_i32_e32 v42, 31, v41
	v_lshlrev_b64 v[41:42], 2, v[41:42]
	v_add_co_u32 v43, s0, s24, v41
	v_add_co_ci_u32_e64 v44, null, s25, v42, s0
	v_add_co_u32 v41, s0, s20, v41
	v_add_co_ci_u32_e64 v42, null, s21, v42, s0
	global_store_dword v[43:44], v36, off
	s_waitcnt vmcnt(0)
	global_store_dword v[41:42], v45, off
	s_or_b32 exec_lo, exec_lo, s19
	s_and_saveexec_b32 s19, s55
	s_cbranch_execz .LBB116_42
.LBB116_105:                            ;   in Loop: Header=BB116_21 Depth=1
	v_add3_u32 v41, v11, s35, 0x80
	v_add3_u32 v42, v6, s35, 64
	v_cndmask_b32_e32 v41, v42, v41, vcc_lo
	v_ashrrev_i32_e32 v42, 31, v41
	v_lshlrev_b64 v[41:42], 2, v[41:42]
	v_add_co_u32 v41, s0, s22, v41
	v_add_co_ci_u32_e64 v42, null, s23, v42, s0
	global_load_dword v45, v[41:42], off
	v_add3_u32 v41, v0, v29, 0x80
	v_ashrrev_i32_e32 v42, 31, v41
	v_lshlrev_b64 v[41:42], 2, v[41:42]
	v_add_co_u32 v43, s0, s24, v41
	v_add_co_ci_u32_e64 v44, null, s25, v42, s0
	v_add_co_u32 v41, s0, s20, v41
	v_add_co_ci_u32_e64 v42, null, s21, v42, s0
	global_store_dword v[43:44], v37, off
	s_waitcnt vmcnt(0)
	global_store_dword v[41:42], v45, off
	s_or_b32 exec_lo, exec_lo, s19
	s_and_saveexec_b32 s19, s56
	s_cbranch_execz .LBB116_43
.LBB116_106:                            ;   in Loop: Header=BB116_21 Depth=1
	v_add3_u32 v41, v11, s35, 0xa0
	v_add3_u32 v42, v5, s35, 64
	v_cndmask_b32_e32 v41, v42, v41, vcc_lo
	v_ashrrev_i32_e32 v42, 31, v41
	v_lshlrev_b64 v[41:42], 2, v[41:42]
	v_add_co_u32 v41, s0, s22, v41
	v_add_co_ci_u32_e64 v42, null, s23, v42, s0
	global_load_dword v45, v[41:42], off
	v_add3_u32 v41, v0, v29, 0xa0
	v_ashrrev_i32_e32 v42, 31, v41
	v_lshlrev_b64 v[41:42], 2, v[41:42]
	v_add_co_u32 v43, s0, s24, v41
	v_add_co_ci_u32_e64 v44, null, s25, v42, s0
	v_add_co_u32 v41, s0, s20, v41
	v_add_co_ci_u32_e64 v42, null, s21, v42, s0
	global_store_dword v[43:44], v38, off
	s_waitcnt vmcnt(0)
	global_store_dword v[41:42], v45, off
	s_or_b32 exec_lo, exec_lo, s19
	s_and_saveexec_b32 s19, s57
	s_cbranch_execz .LBB116_44
.LBB116_107:                            ;   in Loop: Header=BB116_21 Depth=1
	v_add3_u32 v41, v11, s35, 0xc0
	v_add3_u32 v42, v4, s35, 64
	v_cndmask_b32_e32 v41, v42, v41, vcc_lo
	v_ashrrev_i32_e32 v42, 31, v41
	v_lshlrev_b64 v[41:42], 2, v[41:42]
	v_add_co_u32 v41, s0, s22, v41
	v_add_co_ci_u32_e64 v42, null, s23, v42, s0
	global_load_dword v45, v[41:42], off
	v_add3_u32 v41, v0, v29, 0xc0
	v_ashrrev_i32_e32 v42, 31, v41
	v_lshlrev_b64 v[41:42], 2, v[41:42]
	v_add_co_u32 v43, s0, s24, v41
	v_add_co_ci_u32_e64 v44, null, s25, v42, s0
	v_add_co_u32 v41, s0, s20, v41
	v_add_co_ci_u32_e64 v42, null, s21, v42, s0
	global_store_dword v[43:44], v39, off
	s_waitcnt vmcnt(0)
	global_store_dword v[41:42], v45, off
	s_or_b32 exec_lo, exec_lo, s19
	s_and_saveexec_b32 s19, s58
	s_cbranch_execz .LBB116_45
.LBB116_108:                            ;   in Loop: Header=BB116_21 Depth=1
	v_add3_u32 v41, v11, s35, 0xe0
	v_add3_u32 v42, v3, s35, 64
	v_cndmask_b32_e32 v41, v42, v41, vcc_lo
	v_ashrrev_i32_e32 v42, 31, v41
	v_lshlrev_b64 v[41:42], 2, v[41:42]
	v_add_co_u32 v41, s0, s22, v41
	v_add_co_ci_u32_e64 v42, null, s23, v42, s0
	global_load_dword v45, v[41:42], off
	v_add3_u32 v41, v0, v29, 0xe0
	v_ashrrev_i32_e32 v42, 31, v41
	v_lshlrev_b64 v[41:42], 2, v[41:42]
	v_add_co_u32 v43, s0, s24, v41
	v_add_co_ci_u32_e64 v44, null, s25, v42, s0
	v_add_co_u32 v41, s0, s20, v41
	v_add_co_ci_u32_e64 v42, null, s21, v42, s0
	global_store_dword v[43:44], v40, off
	s_waitcnt vmcnt(0)
	global_store_dword v[41:42], v45, off
	s_or_b32 exec_lo, exec_lo, s19
	s_and_saveexec_b32 s19, s59
	s_cbranch_execz .LBB116_46
.LBB116_109:                            ;   in Loop: Header=BB116_21 Depth=1
	v_add_nc_u32_e32 v41, s35, v12
	v_add3_u32 v42, v2, s35, 0x60
	v_cndmask_b32_e32 v41, v42, v41, vcc_lo
	v_ashrrev_i32_e32 v42, 31, v41
	v_lshlrev_b64 v[41:42], 2, v[41:42]
	v_add_co_u32 v41, s0, s22, v41
	v_add_co_ci_u32_e64 v42, null, s23, v42, s0
	global_load_dword v45, v[41:42], off
	v_add_nc_u32_e32 v41, v0, v28
	v_ashrrev_i32_e32 v42, 31, v41
	v_lshlrev_b64 v[41:42], 2, v[41:42]
	v_add_co_u32 v43, s0, s24, v41
	v_add_co_ci_u32_e64 v44, null, s25, v42, s0
	v_add_co_u32 v41, s0, s20, v41
	v_add_co_ci_u32_e64 v42, null, s21, v42, s0
	global_store_dword v[43:44], v34, off
	s_waitcnt vmcnt(0)
	global_store_dword v[41:42], v45, off
	s_or_b32 exec_lo, exec_lo, s19
	s_and_saveexec_b32 s19, s60
	s_cbranch_execz .LBB116_47
.LBB116_110:                            ;   in Loop: Header=BB116_21 Depth=1
	v_add3_u32 v41, v12, s35, 32
	v_add3_u32 v42, v9, s35, 0x60
	v_cndmask_b32_e32 v41, v42, v41, vcc_lo
	v_ashrrev_i32_e32 v42, 31, v41
	v_lshlrev_b64 v[41:42], 2, v[41:42]
	v_add_co_u32 v41, s0, s22, v41
	v_add_co_ci_u32_e64 v42, null, s23, v42, s0
	global_load_dword v45, v[41:42], off
	v_add3_u32 v41, v0, v28, 32
	v_ashrrev_i32_e32 v42, 31, v41
	v_lshlrev_b64 v[41:42], 2, v[41:42]
	v_add_co_u32 v43, s0, s24, v41
	v_add_co_ci_u32_e64 v44, null, s25, v42, s0
	v_add_co_u32 v41, s0, s20, v41
	v_add_co_ci_u32_e64 v42, null, s21, v42, s0
	global_store_dword v[43:44], v33, off
	s_waitcnt vmcnt(0)
	global_store_dword v[41:42], v45, off
	s_or_b32 exec_lo, exec_lo, s19
	s_and_saveexec_b32 s19, s61
	s_cbranch_execz .LBB116_48
.LBB116_111:                            ;   in Loop: Header=BB116_21 Depth=1
	v_add3_u32 v41, v12, s35, 64
	v_add3_u32 v42, v8, s35, 0x60
	v_cndmask_b32_e32 v41, v42, v41, vcc_lo
	v_ashrrev_i32_e32 v42, 31, v41
	v_lshlrev_b64 v[41:42], 2, v[41:42]
	v_add_co_u32 v41, s0, s22, v41
	v_add_co_ci_u32_e64 v42, null, s23, v42, s0
	global_load_dword v45, v[41:42], off
	v_add3_u32 v41, v0, v28, 64
	v_ashrrev_i32_e32 v42, 31, v41
	v_lshlrev_b64 v[41:42], 2, v[41:42]
	v_add_co_u32 v43, s0, s24, v41
	v_add_co_ci_u32_e64 v44, null, s25, v42, s0
	v_add_co_u32 v41, s0, s20, v41
	v_add_co_ci_u32_e64 v42, null, s21, v42, s0
	global_store_dword v[43:44], v35, off
	s_waitcnt vmcnt(0)
	global_store_dword v[41:42], v45, off
	s_or_b32 exec_lo, exec_lo, s19
	s_and_saveexec_b32 s19, s62
	s_cbranch_execz .LBB116_49
.LBB116_112:                            ;   in Loop: Header=BB116_21 Depth=1
	v_cndmask_b32_e32 v41, v7, v12, vcc_lo
	v_add3_u32 v41, v41, s35, 0x60
	v_ashrrev_i32_e32 v42, 31, v41
	v_lshlrev_b64 v[41:42], 2, v[41:42]
	v_add_co_u32 v41, s0, s22, v41
	v_add_co_ci_u32_e64 v42, null, s23, v42, s0
	global_load_dword v45, v[41:42], off
	v_add3_u32 v41, v0, v28, 0x60
	v_ashrrev_i32_e32 v42, 31, v41
	v_lshlrev_b64 v[41:42], 2, v[41:42]
	v_add_co_u32 v43, s0, s24, v41
	v_add_co_ci_u32_e64 v44, null, s25, v42, s0
	v_add_co_u32 v41, s0, s20, v41
	v_add_co_ci_u32_e64 v42, null, s21, v42, s0
	global_store_dword v[43:44], v36, off
	s_waitcnt vmcnt(0)
	global_store_dword v[41:42], v45, off
	s_or_b32 exec_lo, exec_lo, s19
	s_and_saveexec_b32 s19, s63
	s_cbranch_execz .LBB116_50
.LBB116_113:                            ;   in Loop: Header=BB116_21 Depth=1
	v_add3_u32 v41, v12, s35, 0x80
	v_add3_u32 v42, v6, s35, 0x60
	v_cndmask_b32_e32 v41, v42, v41, vcc_lo
	v_ashrrev_i32_e32 v42, 31, v41
	v_lshlrev_b64 v[41:42], 2, v[41:42]
	v_add_co_u32 v41, s0, s22, v41
	v_add_co_ci_u32_e64 v42, null, s23, v42, s0
	global_load_dword v45, v[41:42], off
	v_add3_u32 v41, v0, v28, 0x80
	v_ashrrev_i32_e32 v42, 31, v41
	v_lshlrev_b64 v[41:42], 2, v[41:42]
	v_add_co_u32 v43, s0, s24, v41
	v_add_co_ci_u32_e64 v44, null, s25, v42, s0
	v_add_co_u32 v41, s0, s20, v41
	v_add_co_ci_u32_e64 v42, null, s21, v42, s0
	global_store_dword v[43:44], v37, off
	s_waitcnt vmcnt(0)
	global_store_dword v[41:42], v45, off
	s_or_b32 exec_lo, exec_lo, s19
	s_and_saveexec_b32 s19, s64
	s_cbranch_execz .LBB116_51
.LBB116_114:                            ;   in Loop: Header=BB116_21 Depth=1
	v_add3_u32 v41, v12, s35, 0xa0
	v_add3_u32 v42, v5, s35, 0x60
	v_cndmask_b32_e32 v41, v42, v41, vcc_lo
	v_ashrrev_i32_e32 v42, 31, v41
	v_lshlrev_b64 v[41:42], 2, v[41:42]
	v_add_co_u32 v41, s0, s22, v41
	v_add_co_ci_u32_e64 v42, null, s23, v42, s0
	global_load_dword v45, v[41:42], off
	v_add3_u32 v41, v0, v28, 0xa0
	v_ashrrev_i32_e32 v42, 31, v41
	v_lshlrev_b64 v[41:42], 2, v[41:42]
	v_add_co_u32 v43, s0, s24, v41
	v_add_co_ci_u32_e64 v44, null, s25, v42, s0
	v_add_co_u32 v41, s0, s20, v41
	v_add_co_ci_u32_e64 v42, null, s21, v42, s0
	global_store_dword v[43:44], v38, off
	s_waitcnt vmcnt(0)
	global_store_dword v[41:42], v45, off
	s_or_b32 exec_lo, exec_lo, s19
	s_and_saveexec_b32 s19, s65
	s_cbranch_execz .LBB116_52
.LBB116_115:                            ;   in Loop: Header=BB116_21 Depth=1
	v_add3_u32 v41, v12, s35, 0xc0
	v_add3_u32 v42, v4, s35, 0x60
	v_cndmask_b32_e32 v41, v42, v41, vcc_lo
	v_ashrrev_i32_e32 v42, 31, v41
	v_lshlrev_b64 v[41:42], 2, v[41:42]
	v_add_co_u32 v41, s0, s22, v41
	v_add_co_ci_u32_e64 v42, null, s23, v42, s0
	global_load_dword v45, v[41:42], off
	v_add3_u32 v41, v0, v28, 0xc0
	v_ashrrev_i32_e32 v42, 31, v41
	v_lshlrev_b64 v[41:42], 2, v[41:42]
	v_add_co_u32 v43, s0, s24, v41
	v_add_co_ci_u32_e64 v44, null, s25, v42, s0
	v_add_co_u32 v41, s0, s20, v41
	v_add_co_ci_u32_e64 v42, null, s21, v42, s0
	global_store_dword v[43:44], v39, off
	s_waitcnt vmcnt(0)
	global_store_dword v[41:42], v45, off
	s_or_b32 exec_lo, exec_lo, s19
	s_and_saveexec_b32 s19, s6
	s_cbranch_execz .LBB116_53
.LBB116_116:                            ;   in Loop: Header=BB116_21 Depth=1
	v_add3_u32 v41, v12, s35, 0xe0
	v_add3_u32 v42, v3, s35, 0x60
	v_cndmask_b32_e32 v41, v42, v41, vcc_lo
	v_ashrrev_i32_e32 v42, 31, v41
	v_lshlrev_b64 v[41:42], 2, v[41:42]
	v_add_co_u32 v41, s0, s22, v41
	v_add_co_ci_u32_e64 v42, null, s23, v42, s0
	global_load_dword v45, v[41:42], off
	v_add3_u32 v41, v0, v28, 0xe0
	v_ashrrev_i32_e32 v42, 31, v41
	v_lshlrev_b64 v[41:42], 2, v[41:42]
	v_add_co_u32 v43, s0, s24, v41
	v_add_co_ci_u32_e64 v44, null, s25, v42, s0
	v_add_co_u32 v41, s0, s20, v41
	v_add_co_ci_u32_e64 v42, null, s21, v42, s0
	global_store_dword v[43:44], v40, off
	s_waitcnt vmcnt(0)
	global_store_dword v[41:42], v45, off
	s_or_b32 exec_lo, exec_lo, s19
	s_and_saveexec_b32 s19, s66
	s_cbranch_execz .LBB116_54
.LBB116_117:                            ;   in Loop: Header=BB116_21 Depth=1
	v_add_nc_u32_e32 v41, s35, v13
	v_add3_u32 v42, v2, s35, 0x80
	v_cndmask_b32_e32 v41, v42, v41, vcc_lo
	v_ashrrev_i32_e32 v42, 31, v41
	v_lshlrev_b64 v[41:42], 2, v[41:42]
	v_add_co_u32 v41, s0, s22, v41
	v_add_co_ci_u32_e64 v42, null, s23, v42, s0
	global_load_dword v45, v[41:42], off
	v_add_nc_u32_e32 v41, v0, v27
	v_ashrrev_i32_e32 v42, 31, v41
	v_lshlrev_b64 v[41:42], 2, v[41:42]
	v_add_co_u32 v43, s0, s24, v41
	v_add_co_ci_u32_e64 v44, null, s25, v42, s0
	v_add_co_u32 v41, s0, s20, v41
	v_add_co_ci_u32_e64 v42, null, s21, v42, s0
	global_store_dword v[43:44], v34, off
	s_waitcnt vmcnt(0)
	global_store_dword v[41:42], v45, off
	s_or_b32 exec_lo, exec_lo, s19
	s_and_saveexec_b32 s19, s67
	s_cbranch_execz .LBB116_55
.LBB116_118:                            ;   in Loop: Header=BB116_21 Depth=1
	v_add3_u32 v41, v13, s35, 32
	v_add3_u32 v42, v9, s35, 0x80
	v_cndmask_b32_e32 v41, v42, v41, vcc_lo
	v_ashrrev_i32_e32 v42, 31, v41
	v_lshlrev_b64 v[41:42], 2, v[41:42]
	v_add_co_u32 v41, s0, s22, v41
	v_add_co_ci_u32_e64 v42, null, s23, v42, s0
	global_load_dword v45, v[41:42], off
	v_add3_u32 v41, v0, v27, 32
	v_ashrrev_i32_e32 v42, 31, v41
	v_lshlrev_b64 v[41:42], 2, v[41:42]
	v_add_co_u32 v43, s0, s24, v41
	v_add_co_ci_u32_e64 v44, null, s25, v42, s0
	v_add_co_u32 v41, s0, s20, v41
	v_add_co_ci_u32_e64 v42, null, s21, v42, s0
	global_store_dword v[43:44], v33, off
	s_waitcnt vmcnt(0)
	global_store_dword v[41:42], v45, off
	s_or_b32 exec_lo, exec_lo, s19
	s_and_saveexec_b32 s19, s68
	s_cbranch_execz .LBB116_56
.LBB116_119:                            ;   in Loop: Header=BB116_21 Depth=1
	v_add3_u32 v41, v13, s35, 64
	v_add3_u32 v42, v8, s35, 0x80
	v_cndmask_b32_e32 v41, v42, v41, vcc_lo
	v_ashrrev_i32_e32 v42, 31, v41
	v_lshlrev_b64 v[41:42], 2, v[41:42]
	v_add_co_u32 v41, s0, s22, v41
	v_add_co_ci_u32_e64 v42, null, s23, v42, s0
	global_load_dword v45, v[41:42], off
	v_add3_u32 v41, v0, v27, 64
	v_ashrrev_i32_e32 v42, 31, v41
	v_lshlrev_b64 v[41:42], 2, v[41:42]
	v_add_co_u32 v43, s0, s24, v41
	v_add_co_ci_u32_e64 v44, null, s25, v42, s0
	v_add_co_u32 v41, s0, s20, v41
	v_add_co_ci_u32_e64 v42, null, s21, v42, s0
	global_store_dword v[43:44], v35, off
	s_waitcnt vmcnt(0)
	global_store_dword v[41:42], v45, off
	s_or_b32 exec_lo, exec_lo, s19
	s_and_saveexec_b32 s19, s69
	s_cbranch_execz .LBB116_57
.LBB116_120:                            ;   in Loop: Header=BB116_21 Depth=1
	v_add3_u32 v41, v13, s35, 0x60
	v_add3_u32 v42, v7, s35, 0x80
	v_cndmask_b32_e32 v41, v42, v41, vcc_lo
	v_ashrrev_i32_e32 v42, 31, v41
	v_lshlrev_b64 v[41:42], 2, v[41:42]
	v_add_co_u32 v41, s0, s22, v41
	v_add_co_ci_u32_e64 v42, null, s23, v42, s0
	global_load_dword v45, v[41:42], off
	v_add3_u32 v41, v0, v27, 0x60
	v_ashrrev_i32_e32 v42, 31, v41
	v_lshlrev_b64 v[41:42], 2, v[41:42]
	v_add_co_u32 v43, s0, s24, v41
	v_add_co_ci_u32_e64 v44, null, s25, v42, s0
	v_add_co_u32 v41, s0, s20, v41
	v_add_co_ci_u32_e64 v42, null, s21, v42, s0
	global_store_dword v[43:44], v36, off
	s_waitcnt vmcnt(0)
	global_store_dword v[41:42], v45, off
	s_or_b32 exec_lo, exec_lo, s19
	s_and_saveexec_b32 s19, s70
	s_cbranch_execz .LBB116_58
.LBB116_121:                            ;   in Loop: Header=BB116_21 Depth=1
	v_cndmask_b32_e32 v41, v6, v13, vcc_lo
	v_add3_u32 v41, v41, s35, 0x80
	v_ashrrev_i32_e32 v42, 31, v41
	v_lshlrev_b64 v[41:42], 2, v[41:42]
	v_add_co_u32 v41, s0, s22, v41
	v_add_co_ci_u32_e64 v42, null, s23, v42, s0
	global_load_dword v45, v[41:42], off
	v_add3_u32 v41, v0, v27, 0x80
	v_ashrrev_i32_e32 v42, 31, v41
	v_lshlrev_b64 v[41:42], 2, v[41:42]
	v_add_co_u32 v43, s0, s24, v41
	v_add_co_ci_u32_e64 v44, null, s25, v42, s0
	v_add_co_u32 v41, s0, s20, v41
	v_add_co_ci_u32_e64 v42, null, s21, v42, s0
	global_store_dword v[43:44], v37, off
	s_waitcnt vmcnt(0)
	global_store_dword v[41:42], v45, off
	s_or_b32 exec_lo, exec_lo, s19
	s_and_saveexec_b32 s19, s71
	s_cbranch_execz .LBB116_59
.LBB116_122:                            ;   in Loop: Header=BB116_21 Depth=1
	v_add3_u32 v41, v13, s35, 0xa0
	v_add3_u32 v42, v5, s35, 0x80
	v_cndmask_b32_e32 v41, v42, v41, vcc_lo
	v_ashrrev_i32_e32 v42, 31, v41
	v_lshlrev_b64 v[41:42], 2, v[41:42]
	v_add_co_u32 v41, s0, s22, v41
	v_add_co_ci_u32_e64 v42, null, s23, v42, s0
	global_load_dword v45, v[41:42], off
	v_add3_u32 v41, v0, v27, 0xa0
	v_ashrrev_i32_e32 v42, 31, v41
	v_lshlrev_b64 v[41:42], 2, v[41:42]
	v_add_co_u32 v43, s0, s24, v41
	v_add_co_ci_u32_e64 v44, null, s25, v42, s0
	v_add_co_u32 v41, s0, s20, v41
	v_add_co_ci_u32_e64 v42, null, s21, v42, s0
	global_store_dword v[43:44], v38, off
	s_waitcnt vmcnt(0)
	global_store_dword v[41:42], v45, off
	s_or_b32 exec_lo, exec_lo, s19
	s_and_saveexec_b32 s19, s72
	s_cbranch_execz .LBB116_60
.LBB116_123:                            ;   in Loop: Header=BB116_21 Depth=1
	v_add3_u32 v41, v13, s35, 0xc0
	v_add3_u32 v42, v4, s35, 0x80
	v_cndmask_b32_e32 v41, v42, v41, vcc_lo
	v_ashrrev_i32_e32 v42, 31, v41
	v_lshlrev_b64 v[41:42], 2, v[41:42]
	v_add_co_u32 v41, s0, s22, v41
	v_add_co_ci_u32_e64 v42, null, s23, v42, s0
	global_load_dword v45, v[41:42], off
	v_add3_u32 v41, v0, v27, 0xc0
	v_ashrrev_i32_e32 v42, 31, v41
	v_lshlrev_b64 v[41:42], 2, v[41:42]
	v_add_co_u32 v43, s0, s24, v41
	v_add_co_ci_u32_e64 v44, null, s25, v42, s0
	v_add_co_u32 v41, s0, s20, v41
	v_add_co_ci_u32_e64 v42, null, s21, v42, s0
	global_store_dword v[43:44], v39, off
	s_waitcnt vmcnt(0)
	global_store_dword v[41:42], v45, off
	s_or_b32 exec_lo, exec_lo, s19
	s_and_saveexec_b32 s19, s7
	s_cbranch_execz .LBB116_61
.LBB116_124:                            ;   in Loop: Header=BB116_21 Depth=1
	v_add3_u32 v41, v13, s35, 0xe0
	v_add3_u32 v42, v3, s35, 0x80
	v_cndmask_b32_e32 v41, v42, v41, vcc_lo
	v_ashrrev_i32_e32 v42, 31, v41
	v_lshlrev_b64 v[41:42], 2, v[41:42]
	v_add_co_u32 v41, s0, s22, v41
	v_add_co_ci_u32_e64 v42, null, s23, v42, s0
	global_load_dword v45, v[41:42], off
	v_add3_u32 v41, v0, v27, 0xe0
	v_ashrrev_i32_e32 v42, 31, v41
	v_lshlrev_b64 v[41:42], 2, v[41:42]
	v_add_co_u32 v43, s0, s24, v41
	v_add_co_ci_u32_e64 v44, null, s25, v42, s0
	v_add_co_u32 v41, s0, s20, v41
	v_add_co_ci_u32_e64 v42, null, s21, v42, s0
	global_store_dword v[43:44], v40, off
	s_waitcnt vmcnt(0)
	global_store_dword v[41:42], v45, off
	s_or_b32 exec_lo, exec_lo, s19
	s_and_saveexec_b32 s19, s73
	s_cbranch_execz .LBB116_62
.LBB116_125:                            ;   in Loop: Header=BB116_21 Depth=1
	v_add_nc_u32_e32 v41, s35, v14
	v_add3_u32 v42, v2, s35, 0xa0
	v_cndmask_b32_e32 v41, v42, v41, vcc_lo
	v_ashrrev_i32_e32 v42, 31, v41
	v_lshlrev_b64 v[41:42], 2, v[41:42]
	v_add_co_u32 v41, s0, s22, v41
	v_add_co_ci_u32_e64 v42, null, s23, v42, s0
	global_load_dword v45, v[41:42], off
	v_add_nc_u32_e32 v41, v0, v26
	v_ashrrev_i32_e32 v42, 31, v41
	v_lshlrev_b64 v[41:42], 2, v[41:42]
	v_add_co_u32 v43, s0, s24, v41
	v_add_co_ci_u32_e64 v44, null, s25, v42, s0
	v_add_co_u32 v41, s0, s20, v41
	v_add_co_ci_u32_e64 v42, null, s21, v42, s0
	global_store_dword v[43:44], v34, off
	s_waitcnt vmcnt(0)
	global_store_dword v[41:42], v45, off
	s_or_b32 exec_lo, exec_lo, s19
	s_and_saveexec_b32 s19, s74
	s_cbranch_execz .LBB116_63
.LBB116_126:                            ;   in Loop: Header=BB116_21 Depth=1
	v_add3_u32 v41, v14, s35, 32
	v_add3_u32 v42, v9, s35, 0xa0
	v_cndmask_b32_e32 v41, v42, v41, vcc_lo
	v_ashrrev_i32_e32 v42, 31, v41
	v_lshlrev_b64 v[41:42], 2, v[41:42]
	v_add_co_u32 v41, s0, s22, v41
	v_add_co_ci_u32_e64 v42, null, s23, v42, s0
	global_load_dword v45, v[41:42], off
	v_add3_u32 v41, v0, v26, 32
	v_ashrrev_i32_e32 v42, 31, v41
	v_lshlrev_b64 v[41:42], 2, v[41:42]
	v_add_co_u32 v43, s0, s24, v41
	v_add_co_ci_u32_e64 v44, null, s25, v42, s0
	v_add_co_u32 v41, s0, s20, v41
	v_add_co_ci_u32_e64 v42, null, s21, v42, s0
	global_store_dword v[43:44], v33, off
	s_waitcnt vmcnt(0)
	global_store_dword v[41:42], v45, off
	s_or_b32 exec_lo, exec_lo, s19
	s_and_saveexec_b32 s19, s75
	s_cbranch_execz .LBB116_64
.LBB116_127:                            ;   in Loop: Header=BB116_21 Depth=1
	v_add3_u32 v41, v14, s35, 64
	v_add3_u32 v42, v8, s35, 0xa0
	v_cndmask_b32_e32 v41, v42, v41, vcc_lo
	v_ashrrev_i32_e32 v42, 31, v41
	v_lshlrev_b64 v[41:42], 2, v[41:42]
	v_add_co_u32 v41, s0, s22, v41
	v_add_co_ci_u32_e64 v42, null, s23, v42, s0
	global_load_dword v45, v[41:42], off
	v_add3_u32 v41, v0, v26, 64
	v_ashrrev_i32_e32 v42, 31, v41
	v_lshlrev_b64 v[41:42], 2, v[41:42]
	v_add_co_u32 v43, s0, s24, v41
	v_add_co_ci_u32_e64 v44, null, s25, v42, s0
	v_add_co_u32 v41, s0, s20, v41
	v_add_co_ci_u32_e64 v42, null, s21, v42, s0
	global_store_dword v[43:44], v35, off
	s_waitcnt vmcnt(0)
	global_store_dword v[41:42], v45, off
	s_or_b32 exec_lo, exec_lo, s19
	s_and_saveexec_b32 s19, s76
	s_cbranch_execz .LBB116_65
.LBB116_128:                            ;   in Loop: Header=BB116_21 Depth=1
	v_add3_u32 v41, v14, s35, 0x60
	v_add3_u32 v42, v7, s35, 0xa0
	v_cndmask_b32_e32 v41, v42, v41, vcc_lo
	v_ashrrev_i32_e32 v42, 31, v41
	v_lshlrev_b64 v[41:42], 2, v[41:42]
	v_add_co_u32 v41, s0, s22, v41
	v_add_co_ci_u32_e64 v42, null, s23, v42, s0
	global_load_dword v45, v[41:42], off
	v_add3_u32 v41, v0, v26, 0x60
	v_ashrrev_i32_e32 v42, 31, v41
	v_lshlrev_b64 v[41:42], 2, v[41:42]
	v_add_co_u32 v43, s0, s24, v41
	v_add_co_ci_u32_e64 v44, null, s25, v42, s0
	v_add_co_u32 v41, s0, s20, v41
	v_add_co_ci_u32_e64 v42, null, s21, v42, s0
	global_store_dword v[43:44], v36, off
	s_waitcnt vmcnt(0)
	global_store_dword v[41:42], v45, off
	s_or_b32 exec_lo, exec_lo, s19
	s_and_saveexec_b32 s19, s77
	s_cbranch_execz .LBB116_66
.LBB116_129:                            ;   in Loop: Header=BB116_21 Depth=1
	v_add3_u32 v41, v14, s35, 0x80
	v_add3_u32 v42, v6, s35, 0xa0
	v_cndmask_b32_e32 v41, v42, v41, vcc_lo
	v_ashrrev_i32_e32 v42, 31, v41
	v_lshlrev_b64 v[41:42], 2, v[41:42]
	v_add_co_u32 v41, s0, s22, v41
	v_add_co_ci_u32_e64 v42, null, s23, v42, s0
	global_load_dword v45, v[41:42], off
	v_add3_u32 v41, v0, v26, 0x80
	v_ashrrev_i32_e32 v42, 31, v41
	v_lshlrev_b64 v[41:42], 2, v[41:42]
	v_add_co_u32 v43, s0, s24, v41
	v_add_co_ci_u32_e64 v44, null, s25, v42, s0
	v_add_co_u32 v41, s0, s20, v41
	v_add_co_ci_u32_e64 v42, null, s21, v42, s0
	global_store_dword v[43:44], v37, off
	s_waitcnt vmcnt(0)
	global_store_dword v[41:42], v45, off
	s_or_b32 exec_lo, exec_lo, s19
	s_and_saveexec_b32 s19, s78
	s_cbranch_execz .LBB116_67
.LBB116_130:                            ;   in Loop: Header=BB116_21 Depth=1
	v_cndmask_b32_e32 v41, v5, v14, vcc_lo
	v_add3_u32 v41, v41, s35, 0xa0
	v_ashrrev_i32_e32 v42, 31, v41
	v_lshlrev_b64 v[41:42], 2, v[41:42]
	v_add_co_u32 v41, s0, s22, v41
	v_add_co_ci_u32_e64 v42, null, s23, v42, s0
	global_load_dword v45, v[41:42], off
	v_add3_u32 v41, v0, v26, 0xa0
	v_ashrrev_i32_e32 v42, 31, v41
	v_lshlrev_b64 v[41:42], 2, v[41:42]
	v_add_co_u32 v43, s0, s24, v41
	v_add_co_ci_u32_e64 v44, null, s25, v42, s0
	v_add_co_u32 v41, s0, s20, v41
	v_add_co_ci_u32_e64 v42, null, s21, v42, s0
	global_store_dword v[43:44], v38, off
	s_waitcnt vmcnt(0)
	global_store_dword v[41:42], v45, off
	s_or_b32 exec_lo, exec_lo, s19
	s_and_saveexec_b32 s19, s79
	s_cbranch_execz .LBB116_68
.LBB116_131:                            ;   in Loop: Header=BB116_21 Depth=1
	v_add3_u32 v41, v14, s35, 0xc0
	v_add3_u32 v42, v4, s35, 0xa0
	v_cndmask_b32_e32 v41, v42, v41, vcc_lo
	v_ashrrev_i32_e32 v42, 31, v41
	v_lshlrev_b64 v[41:42], 2, v[41:42]
	v_add_co_u32 v41, s0, s22, v41
	v_add_co_ci_u32_e64 v42, null, s23, v42, s0
	global_load_dword v45, v[41:42], off
	v_add3_u32 v41, v0, v26, 0xc0
	v_ashrrev_i32_e32 v42, 31, v41
	v_lshlrev_b64 v[41:42], 2, v[41:42]
	v_add_co_u32 v43, s0, s24, v41
	v_add_co_ci_u32_e64 v44, null, s25, v42, s0
	v_add_co_u32 v41, s0, s20, v41
	v_add_co_ci_u32_e64 v42, null, s21, v42, s0
	global_store_dword v[43:44], v39, off
	s_waitcnt vmcnt(0)
	global_store_dword v[41:42], v45, off
	s_or_b32 exec_lo, exec_lo, s19
	s_and_saveexec_b32 s19, s8
	s_cbranch_execz .LBB116_69
.LBB116_132:                            ;   in Loop: Header=BB116_21 Depth=1
	v_add3_u32 v41, v14, s35, 0xe0
	v_add3_u32 v42, v3, s35, 0xa0
	v_cndmask_b32_e32 v41, v42, v41, vcc_lo
	v_ashrrev_i32_e32 v42, 31, v41
	v_lshlrev_b64 v[41:42], 2, v[41:42]
	v_add_co_u32 v41, s0, s22, v41
	v_add_co_ci_u32_e64 v42, null, s23, v42, s0
	global_load_dword v45, v[41:42], off
	v_add3_u32 v41, v0, v26, 0xe0
	v_ashrrev_i32_e32 v42, 31, v41
	v_lshlrev_b64 v[41:42], 2, v[41:42]
	v_add_co_u32 v43, s0, s24, v41
	v_add_co_ci_u32_e64 v44, null, s25, v42, s0
	v_add_co_u32 v41, s0, s20, v41
	v_add_co_ci_u32_e64 v42, null, s21, v42, s0
	global_store_dword v[43:44], v40, off
	s_waitcnt vmcnt(0)
	global_store_dword v[41:42], v45, off
	s_or_b32 exec_lo, exec_lo, s19
	s_and_saveexec_b32 s19, s80
	s_cbranch_execz .LBB116_70
.LBB116_133:                            ;   in Loop: Header=BB116_21 Depth=1
	v_add_nc_u32_e32 v41, s35, v15
	v_add3_u32 v42, v2, s35, 0xc0
	v_cndmask_b32_e32 v41, v42, v41, vcc_lo
	v_ashrrev_i32_e32 v42, 31, v41
	v_lshlrev_b64 v[41:42], 2, v[41:42]
	v_add_co_u32 v41, s0, s22, v41
	v_add_co_ci_u32_e64 v42, null, s23, v42, s0
	global_load_dword v45, v[41:42], off
	v_add_nc_u32_e32 v41, v0, v25
	v_ashrrev_i32_e32 v42, 31, v41
	v_lshlrev_b64 v[41:42], 2, v[41:42]
	v_add_co_u32 v43, s0, s24, v41
	v_add_co_ci_u32_e64 v44, null, s25, v42, s0
	v_add_co_u32 v41, s0, s20, v41
	v_add_co_ci_u32_e64 v42, null, s21, v42, s0
	global_store_dword v[43:44], v34, off
	s_waitcnt vmcnt(0)
	global_store_dword v[41:42], v45, off
	s_or_b32 exec_lo, exec_lo, s19
	s_and_saveexec_b32 s19, s81
	s_cbranch_execz .LBB116_71
.LBB116_134:                            ;   in Loop: Header=BB116_21 Depth=1
	v_add3_u32 v41, v15, s35, 32
	v_add3_u32 v42, v9, s35, 0xc0
	v_cndmask_b32_e32 v41, v42, v41, vcc_lo
	v_ashrrev_i32_e32 v42, 31, v41
	v_lshlrev_b64 v[41:42], 2, v[41:42]
	v_add_co_u32 v41, s0, s22, v41
	v_add_co_ci_u32_e64 v42, null, s23, v42, s0
	global_load_dword v45, v[41:42], off
	v_add3_u32 v41, v0, v25, 32
	v_ashrrev_i32_e32 v42, 31, v41
	v_lshlrev_b64 v[41:42], 2, v[41:42]
	v_add_co_u32 v43, s0, s24, v41
	v_add_co_ci_u32_e64 v44, null, s25, v42, s0
	v_add_co_u32 v41, s0, s20, v41
	v_add_co_ci_u32_e64 v42, null, s21, v42, s0
	global_store_dword v[43:44], v33, off
	s_waitcnt vmcnt(0)
	global_store_dword v[41:42], v45, off
	s_or_b32 exec_lo, exec_lo, s19
	s_and_saveexec_b32 s19, s82
	s_cbranch_execz .LBB116_72
.LBB116_135:                            ;   in Loop: Header=BB116_21 Depth=1
	v_add3_u32 v41, v15, s35, 64
	v_add3_u32 v42, v8, s35, 0xc0
	v_cndmask_b32_e32 v41, v42, v41, vcc_lo
	v_ashrrev_i32_e32 v42, 31, v41
	v_lshlrev_b64 v[41:42], 2, v[41:42]
	v_add_co_u32 v41, s0, s22, v41
	v_add_co_ci_u32_e64 v42, null, s23, v42, s0
	global_load_dword v45, v[41:42], off
	v_add3_u32 v41, v0, v25, 64
	v_ashrrev_i32_e32 v42, 31, v41
	v_lshlrev_b64 v[41:42], 2, v[41:42]
	v_add_co_u32 v43, s0, s24, v41
	v_add_co_ci_u32_e64 v44, null, s25, v42, s0
	v_add_co_u32 v41, s0, s20, v41
	v_add_co_ci_u32_e64 v42, null, s21, v42, s0
	global_store_dword v[43:44], v35, off
	s_waitcnt vmcnt(0)
	global_store_dword v[41:42], v45, off
	s_or_b32 exec_lo, exec_lo, s19
	s_and_saveexec_b32 s19, s83
	s_cbranch_execz .LBB116_73
.LBB116_136:                            ;   in Loop: Header=BB116_21 Depth=1
	v_add3_u32 v41, v15, s35, 0x60
	v_add3_u32 v42, v7, s35, 0xc0
	v_cndmask_b32_e32 v41, v42, v41, vcc_lo
	v_ashrrev_i32_e32 v42, 31, v41
	v_lshlrev_b64 v[41:42], 2, v[41:42]
	v_add_co_u32 v41, s0, s22, v41
	v_add_co_ci_u32_e64 v42, null, s23, v42, s0
	global_load_dword v45, v[41:42], off
	v_add3_u32 v41, v0, v25, 0x60
	v_ashrrev_i32_e32 v42, 31, v41
	v_lshlrev_b64 v[41:42], 2, v[41:42]
	v_add_co_u32 v43, s0, s24, v41
	v_add_co_ci_u32_e64 v44, null, s25, v42, s0
	v_add_co_u32 v41, s0, s20, v41
	v_add_co_ci_u32_e64 v42, null, s21, v42, s0
	global_store_dword v[43:44], v36, off
	s_waitcnt vmcnt(0)
	global_store_dword v[41:42], v45, off
	s_or_b32 exec_lo, exec_lo, s19
	s_and_saveexec_b32 s19, s84
	s_cbranch_execz .LBB116_74
.LBB116_137:                            ;   in Loop: Header=BB116_21 Depth=1
	v_add3_u32 v41, v15, s35, 0x80
	v_add3_u32 v42, v6, s35, 0xc0
	v_cndmask_b32_e32 v41, v42, v41, vcc_lo
	v_ashrrev_i32_e32 v42, 31, v41
	v_lshlrev_b64 v[41:42], 2, v[41:42]
	v_add_co_u32 v41, s0, s22, v41
	v_add_co_ci_u32_e64 v42, null, s23, v42, s0
	global_load_dword v45, v[41:42], off
	v_add3_u32 v41, v0, v25, 0x80
	v_ashrrev_i32_e32 v42, 31, v41
	v_lshlrev_b64 v[41:42], 2, v[41:42]
	v_add_co_u32 v43, s0, s24, v41
	v_add_co_ci_u32_e64 v44, null, s25, v42, s0
	v_add_co_u32 v41, s0, s20, v41
	v_add_co_ci_u32_e64 v42, null, s21, v42, s0
	global_store_dword v[43:44], v37, off
	s_waitcnt vmcnt(0)
	global_store_dword v[41:42], v45, off
	s_or_b32 exec_lo, exec_lo, s19
	s_and_saveexec_b32 s19, s85
	s_cbranch_execz .LBB116_75
.LBB116_138:                            ;   in Loop: Header=BB116_21 Depth=1
	v_add3_u32 v41, v15, s35, 0xa0
	v_add3_u32 v42, v5, s35, 0xc0
	v_cndmask_b32_e32 v41, v42, v41, vcc_lo
	v_ashrrev_i32_e32 v42, 31, v41
	v_lshlrev_b64 v[41:42], 2, v[41:42]
	v_add_co_u32 v41, s0, s22, v41
	v_add_co_ci_u32_e64 v42, null, s23, v42, s0
	global_load_dword v45, v[41:42], off
	v_add3_u32 v41, v0, v25, 0xa0
	v_ashrrev_i32_e32 v42, 31, v41
	v_lshlrev_b64 v[41:42], 2, v[41:42]
	v_add_co_u32 v43, s0, s24, v41
	v_add_co_ci_u32_e64 v44, null, s25, v42, s0
	v_add_co_u32 v41, s0, s20, v41
	v_add_co_ci_u32_e64 v42, null, s21, v42, s0
	global_store_dword v[43:44], v38, off
	s_waitcnt vmcnt(0)
	global_store_dword v[41:42], v45, off
	s_or_b32 exec_lo, exec_lo, s19
	s_and_saveexec_b32 s19, s86
	s_cbranch_execz .LBB116_76
.LBB116_139:                            ;   in Loop: Header=BB116_21 Depth=1
	v_cndmask_b32_e32 v41, v4, v15, vcc_lo
	v_add3_u32 v41, v41, s35, 0xc0
	v_ashrrev_i32_e32 v42, 31, v41
	v_lshlrev_b64 v[41:42], 2, v[41:42]
	v_add_co_u32 v41, s0, s22, v41
	v_add_co_ci_u32_e64 v42, null, s23, v42, s0
	global_load_dword v45, v[41:42], off
	v_add3_u32 v41, v0, v25, 0xc0
	v_ashrrev_i32_e32 v42, 31, v41
	v_lshlrev_b64 v[41:42], 2, v[41:42]
	v_add_co_u32 v43, s0, s24, v41
	v_add_co_ci_u32_e64 v44, null, s25, v42, s0
	v_add_co_u32 v41, s0, s20, v41
	v_add_co_ci_u32_e64 v42, null, s21, v42, s0
	global_store_dword v[43:44], v39, off
	s_waitcnt vmcnt(0)
	global_store_dword v[41:42], v45, off
	s_or_b32 exec_lo, exec_lo, s19
	s_and_saveexec_b32 s19, s9
	s_cbranch_execz .LBB116_77
.LBB116_140:                            ;   in Loop: Header=BB116_21 Depth=1
	v_add3_u32 v41, v15, s35, 0xe0
	v_add3_u32 v42, v3, s35, 0xc0
	v_cndmask_b32_e32 v41, v42, v41, vcc_lo
	v_ashrrev_i32_e32 v42, 31, v41
	v_lshlrev_b64 v[41:42], 2, v[41:42]
	v_add_co_u32 v41, s0, s22, v41
	v_add_co_ci_u32_e64 v42, null, s23, v42, s0
	global_load_dword v45, v[41:42], off
	v_add3_u32 v41, v0, v25, 0xe0
	v_ashrrev_i32_e32 v42, 31, v41
	v_lshlrev_b64 v[41:42], 2, v[41:42]
	v_add_co_u32 v43, s0, s24, v41
	v_add_co_ci_u32_e64 v44, null, s25, v42, s0
	v_add_co_u32 v41, s0, s20, v41
	v_add_co_ci_u32_e64 v42, null, s21, v42, s0
	global_store_dword v[43:44], v40, off
	s_waitcnt vmcnt(0)
	global_store_dword v[41:42], v45, off
	s_or_b32 exec_lo, exec_lo, s19
	s_and_saveexec_b32 s19, s4
	s_cbranch_execz .LBB116_78
.LBB116_141:                            ;   in Loop: Header=BB116_21 Depth=1
	v_add_nc_u32_e32 v41, s35, v16
	v_add3_u32 v42, v2, s35, 0xe0
	v_cndmask_b32_e32 v41, v42, v41, vcc_lo
	v_ashrrev_i32_e32 v42, 31, v41
	v_lshlrev_b64 v[41:42], 2, v[41:42]
	v_add_co_u32 v41, s0, s22, v41
	v_add_co_ci_u32_e64 v42, null, s23, v42, s0
	global_load_dword v45, v[41:42], off
	v_add_nc_u32_e32 v41, v0, v17
	v_ashrrev_i32_e32 v42, 31, v41
	v_lshlrev_b64 v[41:42], 2, v[41:42]
	v_add_co_u32 v43, s0, s24, v41
	v_add_co_ci_u32_e64 v44, null, s25, v42, s0
	v_add_co_u32 v41, s0, s20, v41
	v_add_co_ci_u32_e64 v42, null, s21, v42, s0
	global_store_dword v[43:44], v34, off
	s_waitcnt vmcnt(0)
	global_store_dword v[41:42], v45, off
	s_or_b32 exec_lo, exec_lo, s19
	s_and_saveexec_b32 s19, s5
	s_cbranch_execz .LBB116_79
.LBB116_142:                            ;   in Loop: Header=BB116_21 Depth=1
	v_add3_u32 v34, v16, s35, 32
	v_add3_u32 v41, v9, s35, 0xe0
	v_cndmask_b32_e32 v41, v41, v34, vcc_lo
	v_ashrrev_i32_e32 v42, 31, v41
	v_lshlrev_b64 v[41:42], 2, v[41:42]
	v_add_co_u32 v41, s0, s22, v41
	v_add_co_ci_u32_e64 v42, null, s23, v42, s0
	global_load_dword v34, v[41:42], off
	v_add3_u32 v41, v0, v17, 32
	v_ashrrev_i32_e32 v42, 31, v41
	v_lshlrev_b64 v[41:42], 2, v[41:42]
	v_add_co_u32 v43, s0, s24, v41
	v_add_co_ci_u32_e64 v44, null, s25, v42, s0
	v_add_co_u32 v41, s0, s20, v41
	v_add_co_ci_u32_e64 v42, null, s21, v42, s0
	global_store_dword v[43:44], v33, off
	s_waitcnt vmcnt(0)
	global_store_dword v[41:42], v34, off
	s_or_b32 exec_lo, exec_lo, s19
	s_and_saveexec_b32 s19, s10
	s_cbranch_execz .LBB116_80
.LBB116_143:                            ;   in Loop: Header=BB116_21 Depth=1
	v_add3_u32 v33, v16, s35, 64
	v_add3_u32 v34, v8, s35, 0xe0
	v_cndmask_b32_e32 v33, v34, v33, vcc_lo
	v_ashrrev_i32_e32 v34, 31, v33
	v_lshlrev_b64 v[33:34], 2, v[33:34]
	v_add_co_u32 v33, s0, s22, v33
	v_add_co_ci_u32_e64 v34, null, s23, v34, s0
	global_load_dword v43, v[33:34], off
	v_add3_u32 v33, v0, v17, 64
	v_ashrrev_i32_e32 v34, 31, v33
	v_lshlrev_b64 v[33:34], 2, v[33:34]
	v_add_co_u32 v41, s0, s24, v33
	v_add_co_ci_u32_e64 v42, null, s25, v34, s0
	v_add_co_u32 v33, s0, s20, v33
	v_add_co_ci_u32_e64 v34, null, s21, v34, s0
	global_store_dword v[41:42], v35, off
	s_waitcnt vmcnt(0)
	global_store_dword v[33:34], v43, off
	s_or_b32 exec_lo, exec_lo, s19
	s_and_saveexec_b32 s19, s11
	s_cbranch_execz .LBB116_81
.LBB116_144:                            ;   in Loop: Header=BB116_21 Depth=1
	v_add3_u32 v33, v16, s35, 0x60
	v_add3_u32 v34, v7, s35, 0xe0
	v_cndmask_b32_e32 v33, v34, v33, vcc_lo
	v_ashrrev_i32_e32 v34, 31, v33
	v_lshlrev_b64 v[33:34], 2, v[33:34]
	v_add_co_u32 v33, s0, s22, v33
	v_add_co_ci_u32_e64 v34, null, s23, v34, s0
	global_load_dword v35, v[33:34], off
	v_add3_u32 v33, v0, v17, 0x60
	v_ashrrev_i32_e32 v34, 31, v33
	v_lshlrev_b64 v[33:34], 2, v[33:34]
	v_add_co_u32 v41, s0, s24, v33
	v_add_co_ci_u32_e64 v42, null, s25, v34, s0
	v_add_co_u32 v33, s0, s20, v33
	v_add_co_ci_u32_e64 v34, null, s21, v34, s0
	global_store_dword v[41:42], v36, off
	s_waitcnt vmcnt(0)
	global_store_dword v[33:34], v35, off
	s_or_b32 exec_lo, exec_lo, s19
	s_and_saveexec_b32 s19, s12
	s_cbranch_execz .LBB116_82
.LBB116_145:                            ;   in Loop: Header=BB116_21 Depth=1
	v_add3_u32 v33, v16, s35, 0x80
	v_add3_u32 v34, v6, s35, 0xe0
	v_cndmask_b32_e32 v33, v34, v33, vcc_lo
	v_ashrrev_i32_e32 v34, 31, v33
	v_lshlrev_b64 v[33:34], 2, v[33:34]
	v_add_co_u32 v33, s0, s22, v33
	v_add_co_ci_u32_e64 v34, null, s23, v34, s0
	global_load_dword v41, v[33:34], off
	v_add3_u32 v33, v0, v17, 0x80
	v_ashrrev_i32_e32 v34, 31, v33
	v_lshlrev_b64 v[33:34], 2, v[33:34]
	v_add_co_u32 v35, s0, s24, v33
	v_add_co_ci_u32_e64 v36, null, s25, v34, s0
	v_add_co_u32 v33, s0, s20, v33
	v_add_co_ci_u32_e64 v34, null, s21, v34, s0
	global_store_dword v[35:36], v37, off
	s_waitcnt vmcnt(0)
	global_store_dword v[33:34], v41, off
	s_or_b32 exec_lo, exec_lo, s19
	s_and_saveexec_b32 s19, s13
	s_cbranch_execz .LBB116_83
.LBB116_146:                            ;   in Loop: Header=BB116_21 Depth=1
	v_add3_u32 v33, v16, s35, 0xa0
	v_add3_u32 v34, v5, s35, 0xe0
	v_cndmask_b32_e32 v33, v34, v33, vcc_lo
	v_ashrrev_i32_e32 v34, 31, v33
	v_lshlrev_b64 v[33:34], 2, v[33:34]
	v_add_co_u32 v33, s0, s22, v33
	v_add_co_ci_u32_e64 v34, null, s23, v34, s0
	global_load_dword v37, v[33:34], off
	v_add3_u32 v33, v0, v17, 0xa0
	v_ashrrev_i32_e32 v34, 31, v33
	v_lshlrev_b64 v[33:34], 2, v[33:34]
	v_add_co_u32 v35, s0, s24, v33
	v_add_co_ci_u32_e64 v36, null, s25, v34, s0
	v_add_co_u32 v33, s0, s20, v33
	v_add_co_ci_u32_e64 v34, null, s21, v34, s0
	global_store_dword v[35:36], v38, off
	s_waitcnt vmcnt(0)
	global_store_dword v[33:34], v37, off
	s_or_b32 exec_lo, exec_lo, s19
	s_and_saveexec_b32 s19, s14
	s_cbranch_execz .LBB116_84
.LBB116_147:                            ;   in Loop: Header=BB116_21 Depth=1
	v_add3_u32 v33, v16, s35, 0xc0
	v_add3_u32 v34, v4, s35, 0xe0
	v_cndmask_b32_e32 v33, v34, v33, vcc_lo
	v_ashrrev_i32_e32 v34, 31, v33
	v_lshlrev_b64 v[33:34], 2, v[33:34]
	v_add_co_u32 v33, s0, s22, v33
	v_add_co_ci_u32_e64 v34, null, s23, v34, s0
	global_load_dword v37, v[33:34], off
	v_add3_u32 v33, v0, v17, 0xc0
	v_ashrrev_i32_e32 v34, 31, v33
	v_lshlrev_b64 v[33:34], 2, v[33:34]
	v_add_co_u32 v35, s0, s24, v33
	v_add_co_ci_u32_e64 v36, null, s25, v34, s0
	v_add_co_u32 v33, s0, s20, v33
	v_add_co_ci_u32_e64 v34, null, s21, v34, s0
	global_store_dword v[35:36], v39, off
	s_waitcnt vmcnt(0)
	global_store_dword v[33:34], v37, off
	s_or_b32 exec_lo, exec_lo, s19
	s_and_saveexec_b32 s19, s15
	s_cbranch_execz .LBB116_20
.LBB116_148:                            ;   in Loop: Header=BB116_21 Depth=1
	v_cndmask_b32_e32 v33, v3, v16, vcc_lo
	v_add3_u32 v33, v33, s35, 0xe0
	v_ashrrev_i32_e32 v34, 31, v33
	v_lshlrev_b64 v[33:34], 2, v[33:34]
	v_add_co_u32 v33, s0, s22, v33
	v_add_co_ci_u32_e64 v34, null, s23, v34, s0
	global_load_dword v37, v[33:34], off
	v_add3_u32 v33, v0, v17, 0xe0
	v_ashrrev_i32_e32 v34, 31, v33
	v_lshlrev_b64 v[33:34], 2, v[33:34]
	v_add_co_u32 v35, s0, s24, v33
	v_add_co_ci_u32_e64 v36, null, s25, v34, s0
	v_add_co_u32 v33, s0, s20, v33
	v_add_co_ci_u32_e64 v34, null, s21, v34, s0
	global_store_dword v[35:36], v40, off
	s_waitcnt vmcnt(0)
	global_store_dword v[33:34], v37, off
	s_branch .LBB116_20
.LBB116_149:
	s_endpgm
	.section	.rodata,"a",@progbits
	.p2align	6, 0x0
	.amdhsa_kernel _ZN9rocsparseL35bsr2csr_block_per_row_33_256_kernelILj1024ELj256ELj32EfiiEEv20rocsparse_direction_T4_S2_21rocsparse_index_base_PKT2_PKT3_PKS2_S2_S3_PS4_PS7_PS2_
		.amdhsa_group_segment_fixed_size 0
		.amdhsa_private_segment_fixed_size 0
		.amdhsa_kernarg_size 72
		.amdhsa_user_sgpr_count 6
		.amdhsa_user_sgpr_private_segment_buffer 1
		.amdhsa_user_sgpr_dispatch_ptr 0
		.amdhsa_user_sgpr_queue_ptr 0
		.amdhsa_user_sgpr_kernarg_segment_ptr 1
		.amdhsa_user_sgpr_dispatch_id 0
		.amdhsa_user_sgpr_flat_scratch_init 0
		.amdhsa_user_sgpr_private_segment_size 0
		.amdhsa_wavefront_size32 1
		.amdhsa_uses_dynamic_stack 0
		.amdhsa_system_sgpr_private_segment_wavefront_offset 0
		.amdhsa_system_sgpr_workgroup_id_x 1
		.amdhsa_system_sgpr_workgroup_id_y 0
		.amdhsa_system_sgpr_workgroup_id_z 0
		.amdhsa_system_sgpr_workgroup_info 0
		.amdhsa_system_vgpr_workitem_id 0
		.amdhsa_next_free_vgpr 46
		.amdhsa_next_free_sgpr 87
		.amdhsa_reserve_vcc 1
		.amdhsa_reserve_flat_scratch 0
		.amdhsa_float_round_mode_32 0
		.amdhsa_float_round_mode_16_64 0
		.amdhsa_float_denorm_mode_32 3
		.amdhsa_float_denorm_mode_16_64 3
		.amdhsa_dx10_clamp 1
		.amdhsa_ieee_mode 1
		.amdhsa_fp16_overflow 0
		.amdhsa_workgroup_processor_mode 1
		.amdhsa_memory_ordered 1
		.amdhsa_forward_progress 1
		.amdhsa_shared_vgpr_count 0
		.amdhsa_exception_fp_ieee_invalid_op 0
		.amdhsa_exception_fp_denorm_src 0
		.amdhsa_exception_fp_ieee_div_zero 0
		.amdhsa_exception_fp_ieee_overflow 0
		.amdhsa_exception_fp_ieee_underflow 0
		.amdhsa_exception_fp_ieee_inexact 0
		.amdhsa_exception_int_div_zero 0
	.end_amdhsa_kernel
	.section	.text._ZN9rocsparseL35bsr2csr_block_per_row_33_256_kernelILj1024ELj256ELj32EfiiEEv20rocsparse_direction_T4_S2_21rocsparse_index_base_PKT2_PKT3_PKS2_S2_S3_PS4_PS7_PS2_,"axG",@progbits,_ZN9rocsparseL35bsr2csr_block_per_row_33_256_kernelILj1024ELj256ELj32EfiiEEv20rocsparse_direction_T4_S2_21rocsparse_index_base_PKT2_PKT3_PKS2_S2_S3_PS4_PS7_PS2_,comdat
.Lfunc_end116:
	.size	_ZN9rocsparseL35bsr2csr_block_per_row_33_256_kernelILj1024ELj256ELj32EfiiEEv20rocsparse_direction_T4_S2_21rocsparse_index_base_PKT2_PKT3_PKS2_S2_S3_PS4_PS7_PS2_, .Lfunc_end116-_ZN9rocsparseL35bsr2csr_block_per_row_33_256_kernelILj1024ELj256ELj32EfiiEEv20rocsparse_direction_T4_S2_21rocsparse_index_base_PKT2_PKT3_PKS2_S2_S3_PS4_PS7_PS2_
                                        ; -- End function
	.set _ZN9rocsparseL35bsr2csr_block_per_row_33_256_kernelILj1024ELj256ELj32EfiiEEv20rocsparse_direction_T4_S2_21rocsparse_index_base_PKT2_PKT3_PKS2_S2_S3_PS4_PS7_PS2_.num_vgpr, 46
	.set _ZN9rocsparseL35bsr2csr_block_per_row_33_256_kernelILj1024ELj256ELj32EfiiEEv20rocsparse_direction_T4_S2_21rocsparse_index_base_PKT2_PKT3_PKS2_S2_S3_PS4_PS7_PS2_.num_agpr, 0
	.set _ZN9rocsparseL35bsr2csr_block_per_row_33_256_kernelILj1024ELj256ELj32EfiiEEv20rocsparse_direction_T4_S2_21rocsparse_index_base_PKT2_PKT3_PKS2_S2_S3_PS4_PS7_PS2_.numbered_sgpr, 87
	.set _ZN9rocsparseL35bsr2csr_block_per_row_33_256_kernelILj1024ELj256ELj32EfiiEEv20rocsparse_direction_T4_S2_21rocsparse_index_base_PKT2_PKT3_PKS2_S2_S3_PS4_PS7_PS2_.num_named_barrier, 0
	.set _ZN9rocsparseL35bsr2csr_block_per_row_33_256_kernelILj1024ELj256ELj32EfiiEEv20rocsparse_direction_T4_S2_21rocsparse_index_base_PKT2_PKT3_PKS2_S2_S3_PS4_PS7_PS2_.private_seg_size, 0
	.set _ZN9rocsparseL35bsr2csr_block_per_row_33_256_kernelILj1024ELj256ELj32EfiiEEv20rocsparse_direction_T4_S2_21rocsparse_index_base_PKT2_PKT3_PKS2_S2_S3_PS4_PS7_PS2_.uses_vcc, 1
	.set _ZN9rocsparseL35bsr2csr_block_per_row_33_256_kernelILj1024ELj256ELj32EfiiEEv20rocsparse_direction_T4_S2_21rocsparse_index_base_PKT2_PKT3_PKS2_S2_S3_PS4_PS7_PS2_.uses_flat_scratch, 0
	.set _ZN9rocsparseL35bsr2csr_block_per_row_33_256_kernelILj1024ELj256ELj32EfiiEEv20rocsparse_direction_T4_S2_21rocsparse_index_base_PKT2_PKT3_PKS2_S2_S3_PS4_PS7_PS2_.has_dyn_sized_stack, 0
	.set _ZN9rocsparseL35bsr2csr_block_per_row_33_256_kernelILj1024ELj256ELj32EfiiEEv20rocsparse_direction_T4_S2_21rocsparse_index_base_PKT2_PKT3_PKS2_S2_S3_PS4_PS7_PS2_.has_recursion, 0
	.set _ZN9rocsparseL35bsr2csr_block_per_row_33_256_kernelILj1024ELj256ELj32EfiiEEv20rocsparse_direction_T4_S2_21rocsparse_index_base_PKT2_PKT3_PKS2_S2_S3_PS4_PS7_PS2_.has_indirect_call, 0
	.section	.AMDGPU.csdata,"",@progbits
; Kernel info:
; codeLenInByte = 11904
; TotalNumSgprs: 89
; NumVgprs: 46
; ScratchSize: 0
; MemoryBound: 0
; FloatMode: 240
; IeeeMode: 1
; LDSByteSize: 0 bytes/workgroup (compile time only)
; SGPRBlocks: 0
; VGPRBlocks: 5
; NumSGPRsForWavesPerEU: 89
; NumVGPRsForWavesPerEU: 46
; Occupancy: 16
; WaveLimiterHint : 1
; COMPUTE_PGM_RSRC2:SCRATCH_EN: 0
; COMPUTE_PGM_RSRC2:USER_SGPR: 6
; COMPUTE_PGM_RSRC2:TRAP_HANDLER: 0
; COMPUTE_PGM_RSRC2:TGID_X_EN: 1
; COMPUTE_PGM_RSRC2:TGID_Y_EN: 0
; COMPUTE_PGM_RSRC2:TGID_Z_EN: 0
; COMPUTE_PGM_RSRC2:TIDIG_COMP_CNT: 0
	.section	.text._ZN9rocsparseL35bsr2csr_block_dim_equals_one_kernelILj1024EfliEEvT2_S1_21rocsparse_index_base_PKT0_PKT1_PKS1_S2_PS3_PS6_PS1_,"axG",@progbits,_ZN9rocsparseL35bsr2csr_block_dim_equals_one_kernelILj1024EfliEEvT2_S1_21rocsparse_index_base_PKT0_PKT1_PKS1_S2_PS3_PS6_PS1_,comdat
	.globl	_ZN9rocsparseL35bsr2csr_block_dim_equals_one_kernelILj1024EfliEEvT2_S1_21rocsparse_index_base_PKT0_PKT1_PKS1_S2_PS3_PS6_PS1_ ; -- Begin function _ZN9rocsparseL35bsr2csr_block_dim_equals_one_kernelILj1024EfliEEvT2_S1_21rocsparse_index_base_PKT0_PKT1_PKS1_S2_PS3_PS6_PS1_
	.p2align	8
	.type	_ZN9rocsparseL35bsr2csr_block_dim_equals_one_kernelILj1024EfliEEvT2_S1_21rocsparse_index_base_PKT0_PKT1_PKS1_S2_PS3_PS6_PS1_,@function
_ZN9rocsparseL35bsr2csr_block_dim_equals_one_kernelILj1024EfliEEvT2_S1_21rocsparse_index_base_PKT0_PKT1_PKS1_S2_PS3_PS6_PS1_: ; @_ZN9rocsparseL35bsr2csr_block_dim_equals_one_kernelILj1024EfliEEvT2_S1_21rocsparse_index_base_PKT0_PKT1_PKS1_S2_PS3_PS6_PS1_
; %bb.0:
	s_clause 0x1
	s_load_dword s12, s[4:5], 0x0
	s_load_dwordx2 s[0:1], s[4:5], 0x18
	s_lshl_b32 s18, s6, 10
	s_mov_b32 s2, exec_lo
	v_or_b32_e32 v1, s18, v0
	v_ashrrev_i32_e32 v2, 31, v1
	s_waitcnt lgkmcnt(0)
	v_cmpx_le_i32_e64 s12, v1
	s_xor_b32 s2, exec_lo, s2
	s_or_saveexec_b32 s13, s2
	s_clause 0x5
	s_load_dwordx2 s[2:3], s[4:5], 0x40
	s_load_dwordx2 s[6:7], s[4:5], 0x30
	;; [unrolled: 1-line block ×4, first 2 shown]
	s_load_dword s19, s[4:5], 0x28
	s_load_dword s20, s[4:5], 0x8
	s_xor_b32 exec_lo, exec_lo, s13
	s_cbranch_execz .LBB117_6
; %bb.1:
	s_load_dwordx2 s[14:15], s[4:5], 0x38
	s_mov_b32 s21, exec_lo
                                        ; implicit-def: $sgpr16_sgpr17
	v_cmpx_ne_u32_e32 0, v1
	s_xor_b32 s21, exec_lo, s21
	s_cbranch_execz .LBB117_3
; %bb.2:
	s_waitcnt lgkmcnt(0)
	s_sub_u32 s16, s19, s20
	s_subb_u32 s17, 0, 0
.LBB117_3:
	s_or_saveexec_b32 s21, s21
	v_mov_b32_e32 v3, s16
	v_mov_b32_e32 v4, s17
	s_xor_b32 exec_lo, exec_lo, s21
	s_cbranch_execz .LBB117_5
; %bb.4:
	s_load_dwordx2 s[16:17], s[0:1], 0x0
	s_waitcnt lgkmcnt(0)
	s_sub_u32 s22, s19, s20
	s_subb_u32 s23, 0, 0
	v_mov_b32_e32 v3, s22
	v_mov_b32_e32 v7, 0
	;; [unrolled: 1-line block ×3, first 2 shown]
	s_add_u32 s16, s22, s16
	s_addc_u32 s17, s23, s17
	v_mov_b32_e32 v5, s16
	v_mov_b32_e32 v6, s17
	global_store_dwordx2 v7, v[5:6], s[14:15]
.LBB117_5:
	s_or_b32 exec_lo, exec_lo, s21
	v_lshlrev_b64 v[5:6], 3, v[1:2]
	v_add_co_u32 v7, vcc_lo, s0, v5
	v_add_co_ci_u32_e64 v8, null, s1, v6, vcc_lo
	global_load_dwordx2 v[7:8], v[7:8], off offset:8
	s_waitcnt vmcnt(0)
	v_add_co_u32 v3, vcc_lo, v3, v7
	v_add_co_ci_u32_e64 v4, null, v4, v8, vcc_lo
	s_waitcnt lgkmcnt(0)
	v_add_co_u32 v5, vcc_lo, s14, v5
	v_add_co_ci_u32_e64 v6, null, s15, v6, vcc_lo
	global_store_dwordx2 v[5:6], v[3:4], off offset:8
.LBB117_6:
	s_or_b32 exec_lo, exec_lo, s13
	s_ashr_i32 s13, s12, 31
	s_lshl_b64 s[12:13], s[12:13], 3
	s_add_u32 s12, s0, s12
	s_addc_u32 s13, s1, s13
	s_clause 0x1
	s_load_dwordx2 s[12:13], s[12:13], 0x0
	s_load_dwordx2 s[0:1], s[0:1], 0x0
	s_waitcnt lgkmcnt(0)
	s_sub_u32 s12, s12, s0
	s_subb_u32 s13, s13, s1
	s_mov_b32 s0, exec_lo
	v_cmpx_gt_i64_e64 s[12:13], v[1:2]
	s_cbranch_execz .LBB117_9
; %bb.7:
	s_load_dword s0, s[4:5], 0x48
	s_sub_i32 s4, s19, s20
	s_mov_b32 s5, 0
	s_waitcnt lgkmcnt(0)
	s_lshl_b32 s1, s0, 10
	v_add3_u32 v3, s1, s18, v0
	s_inst_prefetch 0x1
	.p2align	6
.LBB117_8:                              ; =>This Inner Loop Header: Depth=1
	v_lshlrev_b64 v[5:6], 2, v[1:2]
	v_ashrrev_i32_e32 v4, 31, v3
	v_add_co_u32 v0, vcc_lo, s10, v5
	v_add_co_ci_u32_e64 v1, null, s11, v6, vcc_lo
	v_add_co_u32 v7, vcc_lo, s8, v5
	v_add_co_ci_u32_e64 v8, null, s9, v6, vcc_lo
	global_load_dword v0, v[0:1], off
	global_load_dword v9, v[7:8], off
	v_add_co_u32 v7, s0, s2, v5
	v_mov_b32_e32 v1, v3
	v_cmp_le_i64_e32 vcc_lo, s[12:13], v[3:4]
	v_mov_b32_e32 v2, v4
	v_add_co_ci_u32_e64 v8, null, s3, v6, s0
	v_add_co_u32 v4, s0, s6, v5
	v_add_co_ci_u32_e64 v5, null, s7, v6, s0
	v_add_nc_u32_e32 v3, s1, v3
	s_or_b32 s5, vcc_lo, s5
	s_waitcnt vmcnt(1)
	v_add_nc_u32_e32 v0, s4, v0
	s_waitcnt vmcnt(0)
	global_store_dword v[4:5], v9, off
	global_store_dword v[7:8], v0, off
	s_andn2_b32 exec_lo, exec_lo, s5
	s_cbranch_execnz .LBB117_8
.LBB117_9:
	s_inst_prefetch 0x2
	s_endpgm
	.section	.rodata,"a",@progbits
	.p2align	6, 0x0
	.amdhsa_kernel _ZN9rocsparseL35bsr2csr_block_dim_equals_one_kernelILj1024EfliEEvT2_S1_21rocsparse_index_base_PKT0_PKT1_PKS1_S2_PS3_PS6_PS1_
		.amdhsa_group_segment_fixed_size 0
		.amdhsa_private_segment_fixed_size 0
		.amdhsa_kernarg_size 328
		.amdhsa_user_sgpr_count 6
		.amdhsa_user_sgpr_private_segment_buffer 1
		.amdhsa_user_sgpr_dispatch_ptr 0
		.amdhsa_user_sgpr_queue_ptr 0
		.amdhsa_user_sgpr_kernarg_segment_ptr 1
		.amdhsa_user_sgpr_dispatch_id 0
		.amdhsa_user_sgpr_flat_scratch_init 0
		.amdhsa_user_sgpr_private_segment_size 0
		.amdhsa_wavefront_size32 1
		.amdhsa_uses_dynamic_stack 0
		.amdhsa_system_sgpr_private_segment_wavefront_offset 0
		.amdhsa_system_sgpr_workgroup_id_x 1
		.amdhsa_system_sgpr_workgroup_id_y 0
		.amdhsa_system_sgpr_workgroup_id_z 0
		.amdhsa_system_sgpr_workgroup_info 0
		.amdhsa_system_vgpr_workitem_id 0
		.amdhsa_next_free_vgpr 10
		.amdhsa_next_free_sgpr 24
		.amdhsa_reserve_vcc 1
		.amdhsa_reserve_flat_scratch 0
		.amdhsa_float_round_mode_32 0
		.amdhsa_float_round_mode_16_64 0
		.amdhsa_float_denorm_mode_32 3
		.amdhsa_float_denorm_mode_16_64 3
		.amdhsa_dx10_clamp 1
		.amdhsa_ieee_mode 1
		.amdhsa_fp16_overflow 0
		.amdhsa_workgroup_processor_mode 1
		.amdhsa_memory_ordered 1
		.amdhsa_forward_progress 1
		.amdhsa_shared_vgpr_count 0
		.amdhsa_exception_fp_ieee_invalid_op 0
		.amdhsa_exception_fp_denorm_src 0
		.amdhsa_exception_fp_ieee_div_zero 0
		.amdhsa_exception_fp_ieee_overflow 0
		.amdhsa_exception_fp_ieee_underflow 0
		.amdhsa_exception_fp_ieee_inexact 0
		.amdhsa_exception_int_div_zero 0
	.end_amdhsa_kernel
	.section	.text._ZN9rocsparseL35bsr2csr_block_dim_equals_one_kernelILj1024EfliEEvT2_S1_21rocsparse_index_base_PKT0_PKT1_PKS1_S2_PS3_PS6_PS1_,"axG",@progbits,_ZN9rocsparseL35bsr2csr_block_dim_equals_one_kernelILj1024EfliEEvT2_S1_21rocsparse_index_base_PKT0_PKT1_PKS1_S2_PS3_PS6_PS1_,comdat
.Lfunc_end117:
	.size	_ZN9rocsparseL35bsr2csr_block_dim_equals_one_kernelILj1024EfliEEvT2_S1_21rocsparse_index_base_PKT0_PKT1_PKS1_S2_PS3_PS6_PS1_, .Lfunc_end117-_ZN9rocsparseL35bsr2csr_block_dim_equals_one_kernelILj1024EfliEEvT2_S1_21rocsparse_index_base_PKT0_PKT1_PKS1_S2_PS3_PS6_PS1_
                                        ; -- End function
	.set _ZN9rocsparseL35bsr2csr_block_dim_equals_one_kernelILj1024EfliEEvT2_S1_21rocsparse_index_base_PKT0_PKT1_PKS1_S2_PS3_PS6_PS1_.num_vgpr, 10
	.set _ZN9rocsparseL35bsr2csr_block_dim_equals_one_kernelILj1024EfliEEvT2_S1_21rocsparse_index_base_PKT0_PKT1_PKS1_S2_PS3_PS6_PS1_.num_agpr, 0
	.set _ZN9rocsparseL35bsr2csr_block_dim_equals_one_kernelILj1024EfliEEvT2_S1_21rocsparse_index_base_PKT0_PKT1_PKS1_S2_PS3_PS6_PS1_.numbered_sgpr, 24
	.set _ZN9rocsparseL35bsr2csr_block_dim_equals_one_kernelILj1024EfliEEvT2_S1_21rocsparse_index_base_PKT0_PKT1_PKS1_S2_PS3_PS6_PS1_.num_named_barrier, 0
	.set _ZN9rocsparseL35bsr2csr_block_dim_equals_one_kernelILj1024EfliEEvT2_S1_21rocsparse_index_base_PKT0_PKT1_PKS1_S2_PS3_PS6_PS1_.private_seg_size, 0
	.set _ZN9rocsparseL35bsr2csr_block_dim_equals_one_kernelILj1024EfliEEvT2_S1_21rocsparse_index_base_PKT0_PKT1_PKS1_S2_PS3_PS6_PS1_.uses_vcc, 1
	.set _ZN9rocsparseL35bsr2csr_block_dim_equals_one_kernelILj1024EfliEEvT2_S1_21rocsparse_index_base_PKT0_PKT1_PKS1_S2_PS3_PS6_PS1_.uses_flat_scratch, 0
	.set _ZN9rocsparseL35bsr2csr_block_dim_equals_one_kernelILj1024EfliEEvT2_S1_21rocsparse_index_base_PKT0_PKT1_PKS1_S2_PS3_PS6_PS1_.has_dyn_sized_stack, 0
	.set _ZN9rocsparseL35bsr2csr_block_dim_equals_one_kernelILj1024EfliEEvT2_S1_21rocsparse_index_base_PKT0_PKT1_PKS1_S2_PS3_PS6_PS1_.has_recursion, 0
	.set _ZN9rocsparseL35bsr2csr_block_dim_equals_one_kernelILj1024EfliEEvT2_S1_21rocsparse_index_base_PKT0_PKT1_PKS1_S2_PS3_PS6_PS1_.has_indirect_call, 0
	.section	.AMDGPU.csdata,"",@progbits
; Kernel info:
; codeLenInByte = 604
; TotalNumSgprs: 26
; NumVgprs: 10
; ScratchSize: 0
; MemoryBound: 0
; FloatMode: 240
; IeeeMode: 1
; LDSByteSize: 0 bytes/workgroup (compile time only)
; SGPRBlocks: 0
; VGPRBlocks: 1
; NumSGPRsForWavesPerEU: 26
; NumVGPRsForWavesPerEU: 10
; Occupancy: 16
; WaveLimiterHint : 0
; COMPUTE_PGM_RSRC2:SCRATCH_EN: 0
; COMPUTE_PGM_RSRC2:USER_SGPR: 6
; COMPUTE_PGM_RSRC2:TRAP_HANDLER: 0
; COMPUTE_PGM_RSRC2:TGID_X_EN: 1
; COMPUTE_PGM_RSRC2:TGID_Y_EN: 0
; COMPUTE_PGM_RSRC2:TGID_Z_EN: 0
; COMPUTE_PGM_RSRC2:TIDIG_COMP_CNT: 0
	.section	.text._ZN9rocsparseL32bsr2csr_block_per_row_2_7_kernelILj256ELj2EfliEEv20rocsparse_direction_T3_S2_21rocsparse_index_base_PKT1_PKT2_PKS2_S2_S3_PS4_PS7_PS2_,"axG",@progbits,_ZN9rocsparseL32bsr2csr_block_per_row_2_7_kernelILj256ELj2EfliEEv20rocsparse_direction_T3_S2_21rocsparse_index_base_PKT1_PKT2_PKS2_S2_S3_PS4_PS7_PS2_,comdat
	.globl	_ZN9rocsparseL32bsr2csr_block_per_row_2_7_kernelILj256ELj2EfliEEv20rocsparse_direction_T3_S2_21rocsparse_index_base_PKT1_PKT2_PKS2_S2_S3_PS4_PS7_PS2_ ; -- Begin function _ZN9rocsparseL32bsr2csr_block_per_row_2_7_kernelILj256ELj2EfliEEv20rocsparse_direction_T3_S2_21rocsparse_index_base_PKT1_PKT2_PKS2_S2_S3_PS4_PS7_PS2_
	.p2align	8
	.type	_ZN9rocsparseL32bsr2csr_block_per_row_2_7_kernelILj256ELj2EfliEEv20rocsparse_direction_T3_S2_21rocsparse_index_base_PKT1_PKT2_PKS2_S2_S3_PS4_PS7_PS2_,@function
_ZN9rocsparseL32bsr2csr_block_per_row_2_7_kernelILj256ELj2EfliEEv20rocsparse_direction_T3_S2_21rocsparse_index_base_PKT1_PKT2_PKS2_S2_S3_PS4_PS7_PS2_: ; @_ZN9rocsparseL32bsr2csr_block_per_row_2_7_kernelILj256ELj2EfliEEv20rocsparse_direction_T3_S2_21rocsparse_index_base_PKT1_PKT2_PKS2_S2_S3_PS4_PS7_PS2_
; %bb.0:
	s_load_dwordx2 s[0:1], s[4:5], 0x18
	s_ashr_i32 s7, s6, 31
	s_clause 0x1
	s_load_dword s8, s[4:5], 0x2c
	s_load_dwordx2 s[12:13], s[4:5], 0x38
	s_lshl_b64 s[2:3], s[6:7], 3
	v_or_b32_e32 v1, s6, v0
	s_mov_b32 s11, 0
	s_mov_b32 s7, exec_lo
	s_waitcnt lgkmcnt(0)
	s_add_u32 s0, s0, s2
	s_addc_u32 s1, s1, s3
	s_load_dwordx4 s[0:3], s[0:1], 0x0
	v_cmpx_eq_u32_e32 0, v1
	s_cbranch_execz .LBB118_2
; %bb.1:
	s_mov_b32 s9, s11
	v_mov_b32_e32 v1, s8
	v_mov_b32_e32 v3, 0
	;; [unrolled: 1-line block ×3, first 2 shown]
	global_store_dwordx2 v3, v[1:2], s[12:13]
.LBB118_2:
	s_or_b32 exec_lo, exec_lo, s7
	s_load_dword s10, s[4:5], 0xc
	v_and_b32_e32 v8, 1, v0
	v_mov_b32_e32 v4, 0
	v_lshrrev_b32_e32 v2, 1, v0
	v_lshl_or_b32 v1, s6, 1, v8
	v_add_nc_u32_e32 v3, 1, v1
	v_lshlrev_b64 v[0:1], 3, v[3:4]
	s_waitcnt lgkmcnt(0)
	s_sub_u32 s6, s0, s10
	s_subb_u32 s7, s1, 0
	s_sub_u32 s2, s2, s10
	s_subb_u32 s3, s3, 0
	s_lshl_b64 s[14:15], s[6:7], 2
	s_sub_u32 s16, s2, s6
	s_subb_u32 s17, s3, s7
	v_add_co_u32 v5, vcc_lo, s12, v0
	v_add_co_ci_u32_e64 v6, null, s13, v1, vcc_lo
	s_lshl_b64 s[12:13], s[16:17], 1
	s_lshr_b64 s[16:17], s[16:17], 31
	v_mul_lo_u32 v3, s12, v8
	v_add_co_u32 v0, s6, s6, v2
	v_mul_lo_u32 v4, s16, v8
	v_add_co_ci_u32_e64 v1, null, s7, 0, s6
	s_add_u32 s6, s12, s8
	s_addc_u32 s7, s13, 0
	s_add_u32 s6, s6, s14
	s_addc_u32 s7, s7, s15
	v_add_co_u32 v9, vcc_lo, s6, v3
	v_add_co_ci_u32_e64 v10, null, s7, v4, vcc_lo
	s_mov_b32 s6, exec_lo
	global_store_dwordx2 v[5:6], v[9:10], off
	v_cmpx_gt_i64_e64 s[2:3], v[0:1]
	s_cbranch_execz .LBB118_5
; %bb.3:
	s_clause 0x2
	s_load_dwordx2 s[6:7], s[4:5], 0x20
	s_load_dwordx2 s[12:13], s[4:5], 0x30
	s_load_dword s9, s[4:5], 0x0
	v_lshlrev_b32_e32 v2, 1, v2
	s_clause 0x1
	s_load_dwordx2 s[14:15], s[4:5], 0x10
	s_load_dwordx2 s[4:5], s[4:5], 0x40
	v_lshlrev_b64 v[6:7], 4, v[0:1]
	v_lshlrev_b32_e32 v9, 2, v8
	v_lshlrev_b32_e32 v8, 3, v8
	s_waitcnt lgkmcnt(0)
	s_cmp_eq_u32 s9, 0
	s_cselect_b32 vcc_lo, -1, 0
	s_lshl_b64 s[0:1], s[0:1], 2
	v_add_co_u32 v3, s0, v3, s0
	v_add_co_ci_u32_e64 v4, null, s1, v4, s0
	v_add_co_u32 v2, s0, v3, v2
	v_add_co_ci_u32_e64 v3, null, 0, v4, s0
	s_lshl_b64 s[0:1], s[10:11], 2
	v_lshlrev_b64 v[4:5], 2, v[0:1]
	v_sub_co_u32 v2, s0, v2, s0
	v_subrev_co_ci_u32_e64 v3, null, s1, v3, s0
	v_lshlrev_b64 v[10:11], 2, v[2:3]
	v_add_co_u32 v2, s0, s6, v4
	v_add_co_ci_u32_e64 v3, null, s7, v5, s0
	v_add_co_u32 v12, s0, v10, 4
	v_add_co_ci_u32_e64 v13, null, 0, v11, s0
	;; [unrolled: 2-line block ×5, first 2 shown]
	s_mov_b32 s4, 0
.LBB118_4:                              ; =>This Inner Loop Header: Depth=1
	v_add_co_u32 v12, s0, v10, v8
	v_add_co_ci_u32_e64 v13, null, 0, v11, s0
	v_add_co_u32 v14, s0, v10, v9
	global_load_dword v16, v[2:3], off
	v_add_co_ci_u32_e64 v15, null, 0, v11, s0
	v_add_co_u32 v17, s0, v12, 4
	v_add_co_ci_u32_e64 v18, null, 0, v13, s0
	v_add_co_u32 v19, s0, v14, 8
	v_add_co_ci_u32_e64 v20, null, 0, v15, s0
	v_cndmask_b32_e32 v13, v15, v13, vcc_lo
	v_cndmask_b32_e32 v12, v14, v12, vcc_lo
	;; [unrolled: 1-line block ×4, first 2 shown]
	global_load_dword v12, v[12:13], off
	global_load_dword v13, v[14:15], off
	v_add_co_u32 v0, s0, 0x80, v0
	v_add_co_ci_u32_e64 v1, null, 0, v1, s0
	v_add_co_u32 v2, s0, 0x200, v2
	v_add_co_ci_u32_e64 v3, null, 0, v3, s0
	;; [unrolled: 2-line block ×3, first 2 shown]
	v_cmp_le_i64_e64 s0, s[2:3], v[0:1]
	s_or_b32 s4, s0, s4
	s_waitcnt vmcnt(2)
	v_subrev_nc_u32_e32 v14, s10, v16
	v_lshl_add_u32 v14, v14, 1, s8
	v_add_nc_u32_e32 v15, 1, v14
	global_store_dwordx2 v[6:7], v[14:15], off offset:-4
	s_waitcnt vmcnt(0)
	global_store_dwordx2 v[4:5], v[12:13], off offset:-4
	v_add_co_u32 v4, s1, 0x400, v4
	v_add_co_ci_u32_e64 v5, null, 0, v5, s1
	v_add_co_u32 v6, s1, 0x400, v6
	v_add_co_ci_u32_e64 v7, null, 0, v7, s1
	s_andn2_b32 exec_lo, exec_lo, s4
	s_cbranch_execnz .LBB118_4
.LBB118_5:
	s_endpgm
	.section	.rodata,"a",@progbits
	.p2align	6, 0x0
	.amdhsa_kernel _ZN9rocsparseL32bsr2csr_block_per_row_2_7_kernelILj256ELj2EfliEEv20rocsparse_direction_T3_S2_21rocsparse_index_base_PKT1_PKT2_PKS2_S2_S3_PS4_PS7_PS2_
		.amdhsa_group_segment_fixed_size 0
		.amdhsa_private_segment_fixed_size 0
		.amdhsa_kernarg_size 72
		.amdhsa_user_sgpr_count 6
		.amdhsa_user_sgpr_private_segment_buffer 1
		.amdhsa_user_sgpr_dispatch_ptr 0
		.amdhsa_user_sgpr_queue_ptr 0
		.amdhsa_user_sgpr_kernarg_segment_ptr 1
		.amdhsa_user_sgpr_dispatch_id 0
		.amdhsa_user_sgpr_flat_scratch_init 0
		.amdhsa_user_sgpr_private_segment_size 0
		.amdhsa_wavefront_size32 1
		.amdhsa_uses_dynamic_stack 0
		.amdhsa_system_sgpr_private_segment_wavefront_offset 0
		.amdhsa_system_sgpr_workgroup_id_x 1
		.amdhsa_system_sgpr_workgroup_id_y 0
		.amdhsa_system_sgpr_workgroup_id_z 0
		.amdhsa_system_sgpr_workgroup_info 0
		.amdhsa_system_vgpr_workitem_id 0
		.amdhsa_next_free_vgpr 21
		.amdhsa_next_free_sgpr 18
		.amdhsa_reserve_vcc 1
		.amdhsa_reserve_flat_scratch 0
		.amdhsa_float_round_mode_32 0
		.amdhsa_float_round_mode_16_64 0
		.amdhsa_float_denorm_mode_32 3
		.amdhsa_float_denorm_mode_16_64 3
		.amdhsa_dx10_clamp 1
		.amdhsa_ieee_mode 1
		.amdhsa_fp16_overflow 0
		.amdhsa_workgroup_processor_mode 1
		.amdhsa_memory_ordered 1
		.amdhsa_forward_progress 1
		.amdhsa_shared_vgpr_count 0
		.amdhsa_exception_fp_ieee_invalid_op 0
		.amdhsa_exception_fp_denorm_src 0
		.amdhsa_exception_fp_ieee_div_zero 0
		.amdhsa_exception_fp_ieee_overflow 0
		.amdhsa_exception_fp_ieee_underflow 0
		.amdhsa_exception_fp_ieee_inexact 0
		.amdhsa_exception_int_div_zero 0
	.end_amdhsa_kernel
	.section	.text._ZN9rocsparseL32bsr2csr_block_per_row_2_7_kernelILj256ELj2EfliEEv20rocsparse_direction_T3_S2_21rocsparse_index_base_PKT1_PKT2_PKS2_S2_S3_PS4_PS7_PS2_,"axG",@progbits,_ZN9rocsparseL32bsr2csr_block_per_row_2_7_kernelILj256ELj2EfliEEv20rocsparse_direction_T3_S2_21rocsparse_index_base_PKT1_PKT2_PKS2_S2_S3_PS4_PS7_PS2_,comdat
.Lfunc_end118:
	.size	_ZN9rocsparseL32bsr2csr_block_per_row_2_7_kernelILj256ELj2EfliEEv20rocsparse_direction_T3_S2_21rocsparse_index_base_PKT1_PKT2_PKS2_S2_S3_PS4_PS7_PS2_, .Lfunc_end118-_ZN9rocsparseL32bsr2csr_block_per_row_2_7_kernelILj256ELj2EfliEEv20rocsparse_direction_T3_S2_21rocsparse_index_base_PKT1_PKT2_PKS2_S2_S3_PS4_PS7_PS2_
                                        ; -- End function
	.set _ZN9rocsparseL32bsr2csr_block_per_row_2_7_kernelILj256ELj2EfliEEv20rocsparse_direction_T3_S2_21rocsparse_index_base_PKT1_PKT2_PKS2_S2_S3_PS4_PS7_PS2_.num_vgpr, 21
	.set _ZN9rocsparseL32bsr2csr_block_per_row_2_7_kernelILj256ELj2EfliEEv20rocsparse_direction_T3_S2_21rocsparse_index_base_PKT1_PKT2_PKS2_S2_S3_PS4_PS7_PS2_.num_agpr, 0
	.set _ZN9rocsparseL32bsr2csr_block_per_row_2_7_kernelILj256ELj2EfliEEv20rocsparse_direction_T3_S2_21rocsparse_index_base_PKT1_PKT2_PKS2_S2_S3_PS4_PS7_PS2_.numbered_sgpr, 18
	.set _ZN9rocsparseL32bsr2csr_block_per_row_2_7_kernelILj256ELj2EfliEEv20rocsparse_direction_T3_S2_21rocsparse_index_base_PKT1_PKT2_PKS2_S2_S3_PS4_PS7_PS2_.num_named_barrier, 0
	.set _ZN9rocsparseL32bsr2csr_block_per_row_2_7_kernelILj256ELj2EfliEEv20rocsparse_direction_T3_S2_21rocsparse_index_base_PKT1_PKT2_PKS2_S2_S3_PS4_PS7_PS2_.private_seg_size, 0
	.set _ZN9rocsparseL32bsr2csr_block_per_row_2_7_kernelILj256ELj2EfliEEv20rocsparse_direction_T3_S2_21rocsparse_index_base_PKT1_PKT2_PKS2_S2_S3_PS4_PS7_PS2_.uses_vcc, 1
	.set _ZN9rocsparseL32bsr2csr_block_per_row_2_7_kernelILj256ELj2EfliEEv20rocsparse_direction_T3_S2_21rocsparse_index_base_PKT1_PKT2_PKS2_S2_S3_PS4_PS7_PS2_.uses_flat_scratch, 0
	.set _ZN9rocsparseL32bsr2csr_block_per_row_2_7_kernelILj256ELj2EfliEEv20rocsparse_direction_T3_S2_21rocsparse_index_base_PKT1_PKT2_PKS2_S2_S3_PS4_PS7_PS2_.has_dyn_sized_stack, 0
	.set _ZN9rocsparseL32bsr2csr_block_per_row_2_7_kernelILj256ELj2EfliEEv20rocsparse_direction_T3_S2_21rocsparse_index_base_PKT1_PKT2_PKS2_S2_S3_PS4_PS7_PS2_.has_recursion, 0
	.set _ZN9rocsparseL32bsr2csr_block_per_row_2_7_kernelILj256ELj2EfliEEv20rocsparse_direction_T3_S2_21rocsparse_index_base_PKT1_PKT2_PKS2_S2_S3_PS4_PS7_PS2_.has_indirect_call, 0
	.section	.AMDGPU.csdata,"",@progbits
; Kernel info:
; codeLenInByte = 792
; TotalNumSgprs: 20
; NumVgprs: 21
; ScratchSize: 0
; MemoryBound: 0
; FloatMode: 240
; IeeeMode: 1
; LDSByteSize: 0 bytes/workgroup (compile time only)
; SGPRBlocks: 0
; VGPRBlocks: 2
; NumSGPRsForWavesPerEU: 20
; NumVGPRsForWavesPerEU: 21
; Occupancy: 16
; WaveLimiterHint : 0
; COMPUTE_PGM_RSRC2:SCRATCH_EN: 0
; COMPUTE_PGM_RSRC2:USER_SGPR: 6
; COMPUTE_PGM_RSRC2:TRAP_HANDLER: 0
; COMPUTE_PGM_RSRC2:TGID_X_EN: 1
; COMPUTE_PGM_RSRC2:TGID_Y_EN: 0
; COMPUTE_PGM_RSRC2:TGID_Z_EN: 0
; COMPUTE_PGM_RSRC2:TIDIG_COMP_CNT: 0
	.section	.text._ZN9rocsparseL32bsr2csr_block_per_row_2_7_kernelILj256ELj3EfliEEv20rocsparse_direction_T3_S2_21rocsparse_index_base_PKT1_PKT2_PKS2_S2_S3_PS4_PS7_PS2_,"axG",@progbits,_ZN9rocsparseL32bsr2csr_block_per_row_2_7_kernelILj256ELj3EfliEEv20rocsparse_direction_T3_S2_21rocsparse_index_base_PKT1_PKT2_PKS2_S2_S3_PS4_PS7_PS2_,comdat
	.globl	_ZN9rocsparseL32bsr2csr_block_per_row_2_7_kernelILj256ELj3EfliEEv20rocsparse_direction_T3_S2_21rocsparse_index_base_PKT1_PKT2_PKS2_S2_S3_PS4_PS7_PS2_ ; -- Begin function _ZN9rocsparseL32bsr2csr_block_per_row_2_7_kernelILj256ELj3EfliEEv20rocsparse_direction_T3_S2_21rocsparse_index_base_PKT1_PKT2_PKS2_S2_S3_PS4_PS7_PS2_
	.p2align	8
	.type	_ZN9rocsparseL32bsr2csr_block_per_row_2_7_kernelILj256ELj3EfliEEv20rocsparse_direction_T3_S2_21rocsparse_index_base_PKT1_PKT2_PKS2_S2_S3_PS4_PS7_PS2_,@function
_ZN9rocsparseL32bsr2csr_block_per_row_2_7_kernelILj256ELj3EfliEEv20rocsparse_direction_T3_S2_21rocsparse_index_base_PKT1_PKT2_PKS2_S2_S3_PS4_PS7_PS2_: ; @_ZN9rocsparseL32bsr2csr_block_per_row_2_7_kernelILj256ELj3EfliEEv20rocsparse_direction_T3_S2_21rocsparse_index_base_PKT1_PKT2_PKS2_S2_S3_PS4_PS7_PS2_
; %bb.0:
	s_clause 0x2
	s_load_dwordx2 s[0:1], s[4:5], 0x18
	s_load_dword s8, s[4:5], 0x2c
	s_load_dwordx2 s[10:11], s[4:5], 0x38
	s_ashr_i32 s7, s6, 31
	v_or_b32_e32 v1, s6, v0
	s_lshl_b64 s[2:3], s[6:7], 3
	s_waitcnt lgkmcnt(0)
	s_add_u32 s0, s0, s2
	s_addc_u32 s1, s1, s3
	s_mov_b32 s2, exec_lo
	v_cmpx_eq_u32_e32 0, v1
	s_cbranch_execz .LBB119_2
; %bb.1:
	v_mov_b32_e32 v1, s8
	v_mov_b32_e32 v2, 0
	global_store_dwordx2 v2, v[1:2], s[10:11]
.LBB119_2:
	s_or_b32 exec_lo, exec_lo, s2
	v_and_b32_e32 v4, 3, v0
	s_mov_b32 s2, exec_lo
	v_cmpx_ne_u32_e32 3, v4
	s_cbranch_execz .LBB119_6
; %bb.3:
	s_load_dwordx4 s[0:3], s[0:1], 0x0
	s_load_dword s7, s[4:5], 0xc
	s_mul_i32 s6, s6, 3
	v_mov_b32_e32 v2, 0
	v_add3_u32 v1, v4, s6, 1
	v_lshrrev_b32_e32 v5, 2, v0
	v_lshlrev_b64 v[6:7], 3, v[1:2]
	v_add_co_u32 v6, vcc_lo, s10, v6
	v_add_co_ci_u32_e64 v7, null, s11, v7, vcc_lo
	s_waitcnt lgkmcnt(0)
	s_sub_u32 s6, s0, s7
	s_subb_u32 s9, s1, 0
	s_mul_hi_u32 s12, s6, 9
	s_mul_i32 s13, s9, 9
	s_sub_u32 s2, s2, s7
	s_subb_u32 s3, s3, 0
	s_add_i32 s12, s12, s13
	s_sub_u32 s13, s2, s6
	s_subb_u32 s11, s3, s9
	s_mul_i32 s14, s13, 3
	s_mul_hi_u32 s13, s13, 3
	v_mad_u64_u32 v[2:3], null, s14, v4, 0
	s_mul_i32 s11, s11, 3
	s_mul_i32 s10, s6, 9
	s_add_i32 s13, s13, s11
	v_add_co_u32 v0, s6, s6, v5
	v_add_co_ci_u32_e64 v1, null, s9, 0, s6
	v_mad_u64_u32 v[8:9], null, s13, v4, v[3:4]
	s_add_u32 s6, s14, s8
	s_addc_u32 s9, s13, 0
	s_add_u32 s6, s6, s10
	s_addc_u32 s9, s9, s12
	v_add_co_u32 v9, vcc_lo, s6, v2
	v_add_co_ci_u32_e64 v10, null, s9, v8, vcc_lo
	v_cmp_gt_i64_e32 vcc_lo, s[2:3], v[0:1]
	v_mov_b32_e32 v3, v8
	s_mov_b32 s6, 0
	global_store_dwordx2 v[6:7], v[9:10], off
	s_and_b32 exec_lo, exec_lo, vcc_lo
	s_cbranch_execz .LBB119_6
; %bb.4:
	v_mad_u64_u32 v[6:7], null, s0, 9, v[2:3]
	s_clause 0x1
	s_load_dwordx2 s[10:11], s[4:5], 0x30
	s_load_dwordx2 s[12:13], s[4:5], 0x10
	v_mul_u32_u24_e32 v12, 3, v4
	v_lshlrev_b32_e32 v9, 2, v4
	v_mov_b32_e32 v2, v7
	v_mad_u64_u32 v[2:3], null, s1, 9, v[2:3]
	s_clause 0x2
	s_load_dwordx2 s[0:1], s[4:5], 0x20
	s_load_dword s9, s[4:5], 0x0
	s_load_dwordx2 s[4:5], s[4:5], 0x40
	v_mov_b32_e32 v7, v2
	s_waitcnt lgkmcnt(0)
	v_mad_u64_u32 v[2:3], null, v0, 36, s[12:13]
	s_mul_i32 s13, s7, 9
	s_mul_hi_u32 s12, s7, 9
	v_mad_u64_u32 v[5:6], null, v5, 3, v[6:7]
	v_lshlrev_b64 v[7:8], 2, v[0:1]
	v_mad_u64_u32 v[10:11], null, v1, 36, v[3:4]
	v_lshlrev_b32_e32 v11, 2, v12
	v_sub_co_u32 v5, vcc_lo, v5, s13
	v_subrev_co_ci_u32_e64 v6, null, s12, v6, vcc_lo
	v_add_co_u32 v3, vcc_lo, s0, v7
	v_add_co_ci_u32_e64 v4, null, s1, v8, vcc_lo
	v_lshlrev_b64 v[5:6], 2, v[5:6]
	s_cmp_eq_u32 s9, 0
	v_add_co_u32 v7, vcc_lo, v5, 4
	v_add_co_ci_u32_e64 v8, null, 0, v6, vcc_lo
	v_add_co_u32 v5, vcc_lo, s10, v7
	v_add_co_ci_u32_e64 v6, null, s11, v8, vcc_lo
	;; [unrolled: 2-line block ×3, first 2 shown]
	s_cselect_b32 vcc_lo, -1, 0
.LBB119_5:                              ; =>This Inner Loop Header: Depth=1
	v_add_co_u32 v12, s0, v2, v11
	v_add_co_ci_u32_e64 v13, null, 0, v10, s0
	v_add_co_u32 v14, s0, v2, v9
	v_add_co_ci_u32_e64 v15, null, 0, v10, s0
	global_load_dword v18, v[3:4], off
	v_add_co_u32 v16, s0, v12, 4
	v_add_co_ci_u32_e64 v17, null, 0, v13, s0
	v_add_co_u32 v19, s0, v14, 12
	v_add_co_ci_u32_e64 v20, null, 0, v15, s0
	;; [unrolled: 2-line block ×4, first 2 shown]
	v_cndmask_b32_e32 v13, v15, v13, vcc_lo
	v_cndmask_b32_e32 v12, v14, v12, vcc_lo
	v_cndmask_b32_e32 v15, v20, v17, vcc_lo
	v_cndmask_b32_e32 v14, v19, v16, vcc_lo
	v_cndmask_b32_e32 v17, v24, v22, vcc_lo
	v_cndmask_b32_e32 v16, v23, v21, vcc_lo
	global_load_dword v12, v[12:13], off
	global_load_dword v13, v[14:15], off
	global_load_dword v14, v[16:17], off
	v_add_co_u32 v0, s0, v0, 64
	v_add_co_ci_u32_e64 v1, null, 0, v1, s0
	v_add_co_u32 v3, s0, 0x100, v3
	v_add_co_ci_u32_e64 v4, null, 0, v4, s0
	;; [unrolled: 2-line block ×3, first 2 shown]
	v_cmp_le_i64_e64 s0, s[2:3], v[0:1]
	s_or_b32 s6, s0, s6
	s_waitcnt vmcnt(3)
	v_subrev_nc_u32_e32 v15, s7, v18
	v_mad_u64_u32 v[15:16], null, v15, 3, s[8:9]
	v_add_nc_u32_e32 v16, 1, v15
	v_add_nc_u32_e32 v17, 2, v15
	global_store_dwordx3 v[7:8], v[15:17], off offset:-4
	s_waitcnt vmcnt(0)
	global_store_dwordx3 v[5:6], v[12:14], off offset:-4
	v_add_co_u32 v5, s1, 0x300, v5
	v_add_co_ci_u32_e64 v6, null, 0, v6, s1
	v_add_co_u32 v7, s1, 0x300, v7
	v_add_co_ci_u32_e64 v8, null, 0, v8, s1
	s_andn2_b32 exec_lo, exec_lo, s6
	s_cbranch_execnz .LBB119_5
.LBB119_6:
	s_endpgm
	.section	.rodata,"a",@progbits
	.p2align	6, 0x0
	.amdhsa_kernel _ZN9rocsparseL32bsr2csr_block_per_row_2_7_kernelILj256ELj3EfliEEv20rocsparse_direction_T3_S2_21rocsparse_index_base_PKT1_PKT2_PKS2_S2_S3_PS4_PS7_PS2_
		.amdhsa_group_segment_fixed_size 0
		.amdhsa_private_segment_fixed_size 0
		.amdhsa_kernarg_size 72
		.amdhsa_user_sgpr_count 6
		.amdhsa_user_sgpr_private_segment_buffer 1
		.amdhsa_user_sgpr_dispatch_ptr 0
		.amdhsa_user_sgpr_queue_ptr 0
		.amdhsa_user_sgpr_kernarg_segment_ptr 1
		.amdhsa_user_sgpr_dispatch_id 0
		.amdhsa_user_sgpr_flat_scratch_init 0
		.amdhsa_user_sgpr_private_segment_size 0
		.amdhsa_wavefront_size32 1
		.amdhsa_uses_dynamic_stack 0
		.amdhsa_system_sgpr_private_segment_wavefront_offset 0
		.amdhsa_system_sgpr_workgroup_id_x 1
		.amdhsa_system_sgpr_workgroup_id_y 0
		.amdhsa_system_sgpr_workgroup_id_z 0
		.amdhsa_system_sgpr_workgroup_info 0
		.amdhsa_system_vgpr_workitem_id 0
		.amdhsa_next_free_vgpr 25
		.amdhsa_next_free_sgpr 15
		.amdhsa_reserve_vcc 1
		.amdhsa_reserve_flat_scratch 0
		.amdhsa_float_round_mode_32 0
		.amdhsa_float_round_mode_16_64 0
		.amdhsa_float_denorm_mode_32 3
		.amdhsa_float_denorm_mode_16_64 3
		.amdhsa_dx10_clamp 1
		.amdhsa_ieee_mode 1
		.amdhsa_fp16_overflow 0
		.amdhsa_workgroup_processor_mode 1
		.amdhsa_memory_ordered 1
		.amdhsa_forward_progress 1
		.amdhsa_shared_vgpr_count 0
		.amdhsa_exception_fp_ieee_invalid_op 0
		.amdhsa_exception_fp_denorm_src 0
		.amdhsa_exception_fp_ieee_div_zero 0
		.amdhsa_exception_fp_ieee_overflow 0
		.amdhsa_exception_fp_ieee_underflow 0
		.amdhsa_exception_fp_ieee_inexact 0
		.amdhsa_exception_int_div_zero 0
	.end_amdhsa_kernel
	.section	.text._ZN9rocsparseL32bsr2csr_block_per_row_2_7_kernelILj256ELj3EfliEEv20rocsparse_direction_T3_S2_21rocsparse_index_base_PKT1_PKT2_PKS2_S2_S3_PS4_PS7_PS2_,"axG",@progbits,_ZN9rocsparseL32bsr2csr_block_per_row_2_7_kernelILj256ELj3EfliEEv20rocsparse_direction_T3_S2_21rocsparse_index_base_PKT1_PKT2_PKS2_S2_S3_PS4_PS7_PS2_,comdat
.Lfunc_end119:
	.size	_ZN9rocsparseL32bsr2csr_block_per_row_2_7_kernelILj256ELj3EfliEEv20rocsparse_direction_T3_S2_21rocsparse_index_base_PKT1_PKT2_PKS2_S2_S3_PS4_PS7_PS2_, .Lfunc_end119-_ZN9rocsparseL32bsr2csr_block_per_row_2_7_kernelILj256ELj3EfliEEv20rocsparse_direction_T3_S2_21rocsparse_index_base_PKT1_PKT2_PKS2_S2_S3_PS4_PS7_PS2_
                                        ; -- End function
	.set _ZN9rocsparseL32bsr2csr_block_per_row_2_7_kernelILj256ELj3EfliEEv20rocsparse_direction_T3_S2_21rocsparse_index_base_PKT1_PKT2_PKS2_S2_S3_PS4_PS7_PS2_.num_vgpr, 25
	.set _ZN9rocsparseL32bsr2csr_block_per_row_2_7_kernelILj256ELj3EfliEEv20rocsparse_direction_T3_S2_21rocsparse_index_base_PKT1_PKT2_PKS2_S2_S3_PS4_PS7_PS2_.num_agpr, 0
	.set _ZN9rocsparseL32bsr2csr_block_per_row_2_7_kernelILj256ELj3EfliEEv20rocsparse_direction_T3_S2_21rocsparse_index_base_PKT1_PKT2_PKS2_S2_S3_PS4_PS7_PS2_.numbered_sgpr, 15
	.set _ZN9rocsparseL32bsr2csr_block_per_row_2_7_kernelILj256ELj3EfliEEv20rocsparse_direction_T3_S2_21rocsparse_index_base_PKT1_PKT2_PKS2_S2_S3_PS4_PS7_PS2_.num_named_barrier, 0
	.set _ZN9rocsparseL32bsr2csr_block_per_row_2_7_kernelILj256ELj3EfliEEv20rocsparse_direction_T3_S2_21rocsparse_index_base_PKT1_PKT2_PKS2_S2_S3_PS4_PS7_PS2_.private_seg_size, 0
	.set _ZN9rocsparseL32bsr2csr_block_per_row_2_7_kernelILj256ELj3EfliEEv20rocsparse_direction_T3_S2_21rocsparse_index_base_PKT1_PKT2_PKS2_S2_S3_PS4_PS7_PS2_.uses_vcc, 1
	.set _ZN9rocsparseL32bsr2csr_block_per_row_2_7_kernelILj256ELj3EfliEEv20rocsparse_direction_T3_S2_21rocsparse_index_base_PKT1_PKT2_PKS2_S2_S3_PS4_PS7_PS2_.uses_flat_scratch, 0
	.set _ZN9rocsparseL32bsr2csr_block_per_row_2_7_kernelILj256ELj3EfliEEv20rocsparse_direction_T3_S2_21rocsparse_index_base_PKT1_PKT2_PKS2_S2_S3_PS4_PS7_PS2_.has_dyn_sized_stack, 0
	.set _ZN9rocsparseL32bsr2csr_block_per_row_2_7_kernelILj256ELj3EfliEEv20rocsparse_direction_T3_S2_21rocsparse_index_base_PKT1_PKT2_PKS2_S2_S3_PS4_PS7_PS2_.has_recursion, 0
	.set _ZN9rocsparseL32bsr2csr_block_per_row_2_7_kernelILj256ELj3EfliEEv20rocsparse_direction_T3_S2_21rocsparse_index_base_PKT1_PKT2_PKS2_S2_S3_PS4_PS7_PS2_.has_indirect_call, 0
	.section	.AMDGPU.csdata,"",@progbits
; Kernel info:
; codeLenInByte = 852
; TotalNumSgprs: 17
; NumVgprs: 25
; ScratchSize: 0
; MemoryBound: 0
; FloatMode: 240
; IeeeMode: 1
; LDSByteSize: 0 bytes/workgroup (compile time only)
; SGPRBlocks: 0
; VGPRBlocks: 3
; NumSGPRsForWavesPerEU: 17
; NumVGPRsForWavesPerEU: 25
; Occupancy: 16
; WaveLimiterHint : 0
; COMPUTE_PGM_RSRC2:SCRATCH_EN: 0
; COMPUTE_PGM_RSRC2:USER_SGPR: 6
; COMPUTE_PGM_RSRC2:TRAP_HANDLER: 0
; COMPUTE_PGM_RSRC2:TGID_X_EN: 1
; COMPUTE_PGM_RSRC2:TGID_Y_EN: 0
; COMPUTE_PGM_RSRC2:TGID_Z_EN: 0
; COMPUTE_PGM_RSRC2:TIDIG_COMP_CNT: 0
	.section	.text._ZN9rocsparseL32bsr2csr_block_per_row_2_7_kernelILj256ELj4EfliEEv20rocsparse_direction_T3_S2_21rocsparse_index_base_PKT1_PKT2_PKS2_S2_S3_PS4_PS7_PS2_,"axG",@progbits,_ZN9rocsparseL32bsr2csr_block_per_row_2_7_kernelILj256ELj4EfliEEv20rocsparse_direction_T3_S2_21rocsparse_index_base_PKT1_PKT2_PKS2_S2_S3_PS4_PS7_PS2_,comdat
	.globl	_ZN9rocsparseL32bsr2csr_block_per_row_2_7_kernelILj256ELj4EfliEEv20rocsparse_direction_T3_S2_21rocsparse_index_base_PKT1_PKT2_PKS2_S2_S3_PS4_PS7_PS2_ ; -- Begin function _ZN9rocsparseL32bsr2csr_block_per_row_2_7_kernelILj256ELj4EfliEEv20rocsparse_direction_T3_S2_21rocsparse_index_base_PKT1_PKT2_PKS2_S2_S3_PS4_PS7_PS2_
	.p2align	8
	.type	_ZN9rocsparseL32bsr2csr_block_per_row_2_7_kernelILj256ELj4EfliEEv20rocsparse_direction_T3_S2_21rocsparse_index_base_PKT1_PKT2_PKS2_S2_S3_PS4_PS7_PS2_,@function
_ZN9rocsparseL32bsr2csr_block_per_row_2_7_kernelILj256ELj4EfliEEv20rocsparse_direction_T3_S2_21rocsparse_index_base_PKT1_PKT2_PKS2_S2_S3_PS4_PS7_PS2_: ; @_ZN9rocsparseL32bsr2csr_block_per_row_2_7_kernelILj256ELj4EfliEEv20rocsparse_direction_T3_S2_21rocsparse_index_base_PKT1_PKT2_PKS2_S2_S3_PS4_PS7_PS2_
; %bb.0:
	s_load_dwordx2 s[0:1], s[4:5], 0x18
	s_ashr_i32 s7, s6, 31
	s_clause 0x1
	s_load_dword s8, s[4:5], 0x2c
	s_load_dwordx2 s[12:13], s[4:5], 0x38
	s_lshl_b64 s[2:3], s[6:7], 3
	v_or_b32_e32 v1, s6, v0
	s_mov_b32 s11, 0
	s_mov_b32 s7, exec_lo
	s_waitcnt lgkmcnt(0)
	s_add_u32 s0, s0, s2
	s_addc_u32 s1, s1, s3
	s_load_dwordx4 s[0:3], s[0:1], 0x0
	v_cmpx_eq_u32_e32 0, v1
	s_cbranch_execz .LBB120_2
; %bb.1:
	s_mov_b32 s9, s11
	v_mov_b32_e32 v1, s8
	v_mov_b32_e32 v3, 0
	;; [unrolled: 1-line block ×3, first 2 shown]
	global_store_dwordx2 v3, v[1:2], s[12:13]
.LBB120_2:
	s_or_b32 exec_lo, exec_lo, s7
	s_load_dword s10, s[4:5], 0xc
	v_and_b32_e32 v4, 3, v0
	v_mov_b32_e32 v2, 0
	v_lshrrev_b32_e32 v5, 2, v0
	v_lshl_or_b32 v1, s6, 2, v4
	v_add_nc_u32_e32 v1, 1, v1
	v_lshlrev_b64 v[6:7], 3, v[1:2]
	s_waitcnt lgkmcnt(0)
	s_sub_u32 s6, s0, s10
	s_subb_u32 s7, s1, 0
	s_sub_u32 s2, s2, s10
	s_subb_u32 s3, s3, 0
	s_lshl_b64 s[14:15], s[6:7], 4
	s_sub_u32 s16, s2, s6
	s_subb_u32 s17, s3, s7
	v_add_co_u32 v0, s6, s6, v5
	s_lshl_b64 s[18:19], s[16:17], 2
	v_add_co_ci_u32_e64 v1, null, s7, 0, s6
	v_mad_u64_u32 v[2:3], null, s18, v4, 0
	s_lshr_b64 s[6:7], s[16:17], 30
	v_add_co_u32 v6, vcc_lo, s12, v6
	v_add_co_ci_u32_e64 v7, null, s13, v7, vcc_lo
	v_mad_u64_u32 v[8:9], null, s6, v4, v[3:4]
	s_add_u32 s6, s18, s8
	s_addc_u32 s7, s19, 0
	s_add_u32 s6, s6, s14
	s_addc_u32 s7, s7, s15
	v_add_co_u32 v9, vcc_lo, s6, v2
	v_add_co_ci_u32_e64 v10, null, s7, v8, vcc_lo
	v_mov_b32_e32 v3, v8
	s_mov_b32 s6, exec_lo
	global_store_dwordx2 v[6:7], v[9:10], off
	v_cmpx_gt_i64_e64 s[2:3], v[0:1]
	s_cbranch_execz .LBB120_5
; %bb.3:
	s_clause 0x3
	s_load_dwordx2 s[6:7], s[4:5], 0x20
	s_load_dwordx2 s[12:13], s[4:5], 0x30
	s_load_dword s9, s[4:5], 0x0
	s_load_dwordx2 s[14:15], s[4:5], 0x10
	v_lshlrev_b32_e32 v5, 2, v5
	s_load_dwordx2 s[4:5], s[4:5], 0x40
	v_lshlrev_b64 v[10:11], 6, v[0:1]
	v_lshlrev_b32_e32 v8, 2, v4
	v_lshlrev_b32_e32 v9, 4, v4
	s_waitcnt lgkmcnt(0)
	s_cmp_eq_u32 s9, 0
	s_cselect_b32 vcc_lo, -1, 0
	s_lshl_b64 s[0:1], s[0:1], 4
	v_add_co_u32 v2, s0, v2, s0
	v_add_co_ci_u32_e64 v3, null, s1, v3, s0
	v_add_co_u32 v2, s0, v2, v5
	v_add_co_ci_u32_e64 v3, null, 0, v3, s0
	s_lshl_b64 s[0:1], s[10:11], 4
	v_lshlrev_b64 v[5:6], 2, v[0:1]
	v_sub_co_u32 v2, s0, v2, s0
	v_subrev_co_ci_u32_e64 v3, null, s1, v3, s0
	v_lshlrev_b64 v[12:13], 2, v[2:3]
	v_add_co_u32 v2, s0, s6, v5
	v_add_co_ci_u32_e64 v3, null, s7, v6, s0
	v_add_co_u32 v6, s0, v12, 8
	v_add_co_ci_u32_e64 v7, null, 0, v13, s0
	;; [unrolled: 2-line block ×5, first 2 shown]
	s_mov_b32 s4, 0
.LBB120_4:                              ; =>This Inner Loop Header: Depth=1
	v_add_co_u32 v14, s0, v10, v8
	v_add_co_ci_u32_e64 v15, null, 0, v11, s0
	v_add_co_u32 v16, s0, v10, v9
	v_add_co_ci_u32_e64 v17, null, 0, v11, s0
	global_load_dword v20, v[2:3], off
	v_add_co_u32 v18, s0, v16, 4
	v_add_co_ci_u32_e64 v19, null, 0, v17, s0
	v_add_co_u32 v21, s0, v14, 16
	v_add_co_ci_u32_e64 v22, null, 0, v15, s0
	;; [unrolled: 2-line block ×6, first 2 shown]
	v_cndmask_b32_e32 v13, v15, v17, vcc_lo
	v_cndmask_b32_e32 v12, v14, v16, vcc_lo
	;; [unrolled: 1-line block ×8, first 2 shown]
	global_load_dword v12, v[12:13], off
	global_load_dword v13, v[14:15], off
	;; [unrolled: 1-line block ×4, first 2 shown]
	v_add_co_u32 v0, s0, v0, 64
	v_add_co_ci_u32_e64 v1, null, 0, v1, s0
	v_add_co_u32 v2, s0, 0x100, v2
	v_add_co_ci_u32_e64 v3, null, 0, v3, s0
	;; [unrolled: 2-line block ×3, first 2 shown]
	v_cmp_le_i64_e64 s0, s[2:3], v[0:1]
	s_or_b32 s4, s0, s4
	s_waitcnt vmcnt(4)
	v_subrev_nc_u32_e32 v16, s10, v20
	v_lshl_add_u32 v16, v16, 2, s8
	v_add_nc_u32_e32 v17, 1, v16
	v_add_nc_u32_e32 v18, 2, v16
	v_add_nc_u32_e32 v19, 3, v16
	global_store_dwordx4 v[6:7], v[16:19], off offset:-8
	s_waitcnt vmcnt(0)
	global_store_dwordx4 v[4:5], v[12:15], off offset:-8
	v_add_co_u32 v4, s1, 0x400, v4
	v_add_co_ci_u32_e64 v5, null, 0, v5, s1
	v_add_co_u32 v6, s1, 0x400, v6
	v_add_co_ci_u32_e64 v7, null, 0, v7, s1
	s_andn2_b32 exec_lo, exec_lo, s4
	s_cbranch_execnz .LBB120_4
.LBB120_5:
	s_endpgm
	.section	.rodata,"a",@progbits
	.p2align	6, 0x0
	.amdhsa_kernel _ZN9rocsparseL32bsr2csr_block_per_row_2_7_kernelILj256ELj4EfliEEv20rocsparse_direction_T3_S2_21rocsparse_index_base_PKT1_PKT2_PKS2_S2_S3_PS4_PS7_PS2_
		.amdhsa_group_segment_fixed_size 0
		.amdhsa_private_segment_fixed_size 0
		.amdhsa_kernarg_size 72
		.amdhsa_user_sgpr_count 6
		.amdhsa_user_sgpr_private_segment_buffer 1
		.amdhsa_user_sgpr_dispatch_ptr 0
		.amdhsa_user_sgpr_queue_ptr 0
		.amdhsa_user_sgpr_kernarg_segment_ptr 1
		.amdhsa_user_sgpr_dispatch_id 0
		.amdhsa_user_sgpr_flat_scratch_init 0
		.amdhsa_user_sgpr_private_segment_size 0
		.amdhsa_wavefront_size32 1
		.amdhsa_uses_dynamic_stack 0
		.amdhsa_system_sgpr_private_segment_wavefront_offset 0
		.amdhsa_system_sgpr_workgroup_id_x 1
		.amdhsa_system_sgpr_workgroup_id_y 0
		.amdhsa_system_sgpr_workgroup_id_z 0
		.amdhsa_system_sgpr_workgroup_info 0
		.amdhsa_system_vgpr_workitem_id 0
		.amdhsa_next_free_vgpr 31
		.amdhsa_next_free_sgpr 20
		.amdhsa_reserve_vcc 1
		.amdhsa_reserve_flat_scratch 0
		.amdhsa_float_round_mode_32 0
		.amdhsa_float_round_mode_16_64 0
		.amdhsa_float_denorm_mode_32 3
		.amdhsa_float_denorm_mode_16_64 3
		.amdhsa_dx10_clamp 1
		.amdhsa_ieee_mode 1
		.amdhsa_fp16_overflow 0
		.amdhsa_workgroup_processor_mode 1
		.amdhsa_memory_ordered 1
		.amdhsa_forward_progress 1
		.amdhsa_shared_vgpr_count 0
		.amdhsa_exception_fp_ieee_invalid_op 0
		.amdhsa_exception_fp_denorm_src 0
		.amdhsa_exception_fp_ieee_div_zero 0
		.amdhsa_exception_fp_ieee_overflow 0
		.amdhsa_exception_fp_ieee_underflow 0
		.amdhsa_exception_fp_ieee_inexact 0
		.amdhsa_exception_int_div_zero 0
	.end_amdhsa_kernel
	.section	.text._ZN9rocsparseL32bsr2csr_block_per_row_2_7_kernelILj256ELj4EfliEEv20rocsparse_direction_T3_S2_21rocsparse_index_base_PKT1_PKT2_PKS2_S2_S3_PS4_PS7_PS2_,"axG",@progbits,_ZN9rocsparseL32bsr2csr_block_per_row_2_7_kernelILj256ELj4EfliEEv20rocsparse_direction_T3_S2_21rocsparse_index_base_PKT1_PKT2_PKS2_S2_S3_PS4_PS7_PS2_,comdat
.Lfunc_end120:
	.size	_ZN9rocsparseL32bsr2csr_block_per_row_2_7_kernelILj256ELj4EfliEEv20rocsparse_direction_T3_S2_21rocsparse_index_base_PKT1_PKT2_PKS2_S2_S3_PS4_PS7_PS2_, .Lfunc_end120-_ZN9rocsparseL32bsr2csr_block_per_row_2_7_kernelILj256ELj4EfliEEv20rocsparse_direction_T3_S2_21rocsparse_index_base_PKT1_PKT2_PKS2_S2_S3_PS4_PS7_PS2_
                                        ; -- End function
	.set _ZN9rocsparseL32bsr2csr_block_per_row_2_7_kernelILj256ELj4EfliEEv20rocsparse_direction_T3_S2_21rocsparse_index_base_PKT1_PKT2_PKS2_S2_S3_PS4_PS7_PS2_.num_vgpr, 31
	.set _ZN9rocsparseL32bsr2csr_block_per_row_2_7_kernelILj256ELj4EfliEEv20rocsparse_direction_T3_S2_21rocsparse_index_base_PKT1_PKT2_PKS2_S2_S3_PS4_PS7_PS2_.num_agpr, 0
	.set _ZN9rocsparseL32bsr2csr_block_per_row_2_7_kernelILj256ELj4EfliEEv20rocsparse_direction_T3_S2_21rocsparse_index_base_PKT1_PKT2_PKS2_S2_S3_PS4_PS7_PS2_.numbered_sgpr, 20
	.set _ZN9rocsparseL32bsr2csr_block_per_row_2_7_kernelILj256ELj4EfliEEv20rocsparse_direction_T3_S2_21rocsparse_index_base_PKT1_PKT2_PKS2_S2_S3_PS4_PS7_PS2_.num_named_barrier, 0
	.set _ZN9rocsparseL32bsr2csr_block_per_row_2_7_kernelILj256ELj4EfliEEv20rocsparse_direction_T3_S2_21rocsparse_index_base_PKT1_PKT2_PKS2_S2_S3_PS4_PS7_PS2_.private_seg_size, 0
	.set _ZN9rocsparseL32bsr2csr_block_per_row_2_7_kernelILj256ELj4EfliEEv20rocsparse_direction_T3_S2_21rocsparse_index_base_PKT1_PKT2_PKS2_S2_S3_PS4_PS7_PS2_.uses_vcc, 1
	.set _ZN9rocsparseL32bsr2csr_block_per_row_2_7_kernelILj256ELj4EfliEEv20rocsparse_direction_T3_S2_21rocsparse_index_base_PKT1_PKT2_PKS2_S2_S3_PS4_PS7_PS2_.uses_flat_scratch, 0
	.set _ZN9rocsparseL32bsr2csr_block_per_row_2_7_kernelILj256ELj4EfliEEv20rocsparse_direction_T3_S2_21rocsparse_index_base_PKT1_PKT2_PKS2_S2_S3_PS4_PS7_PS2_.has_dyn_sized_stack, 0
	.set _ZN9rocsparseL32bsr2csr_block_per_row_2_7_kernelILj256ELj4EfliEEv20rocsparse_direction_T3_S2_21rocsparse_index_base_PKT1_PKT2_PKS2_S2_S3_PS4_PS7_PS2_.has_recursion, 0
	.set _ZN9rocsparseL32bsr2csr_block_per_row_2_7_kernelILj256ELj4EfliEEv20rocsparse_direction_T3_S2_21rocsparse_index_base_PKT1_PKT2_PKS2_S2_S3_PS4_PS7_PS2_.has_indirect_call, 0
	.section	.AMDGPU.csdata,"",@progbits
; Kernel info:
; codeLenInByte = 892
; TotalNumSgprs: 22
; NumVgprs: 31
; ScratchSize: 0
; MemoryBound: 0
; FloatMode: 240
; IeeeMode: 1
; LDSByteSize: 0 bytes/workgroup (compile time only)
; SGPRBlocks: 0
; VGPRBlocks: 3
; NumSGPRsForWavesPerEU: 22
; NumVGPRsForWavesPerEU: 31
; Occupancy: 16
; WaveLimiterHint : 0
; COMPUTE_PGM_RSRC2:SCRATCH_EN: 0
; COMPUTE_PGM_RSRC2:USER_SGPR: 6
; COMPUTE_PGM_RSRC2:TRAP_HANDLER: 0
; COMPUTE_PGM_RSRC2:TGID_X_EN: 1
; COMPUTE_PGM_RSRC2:TGID_Y_EN: 0
; COMPUTE_PGM_RSRC2:TGID_Z_EN: 0
; COMPUTE_PGM_RSRC2:TIDIG_COMP_CNT: 0
	.section	.text._ZN9rocsparseL32bsr2csr_block_per_row_2_7_kernelILj256ELj5EfliEEv20rocsparse_direction_T3_S2_21rocsparse_index_base_PKT1_PKT2_PKS2_S2_S3_PS4_PS7_PS2_,"axG",@progbits,_ZN9rocsparseL32bsr2csr_block_per_row_2_7_kernelILj256ELj5EfliEEv20rocsparse_direction_T3_S2_21rocsparse_index_base_PKT1_PKT2_PKS2_S2_S3_PS4_PS7_PS2_,comdat
	.globl	_ZN9rocsparseL32bsr2csr_block_per_row_2_7_kernelILj256ELj5EfliEEv20rocsparse_direction_T3_S2_21rocsparse_index_base_PKT1_PKT2_PKS2_S2_S3_PS4_PS7_PS2_ ; -- Begin function _ZN9rocsparseL32bsr2csr_block_per_row_2_7_kernelILj256ELj5EfliEEv20rocsparse_direction_T3_S2_21rocsparse_index_base_PKT1_PKT2_PKS2_S2_S3_PS4_PS7_PS2_
	.p2align	8
	.type	_ZN9rocsparseL32bsr2csr_block_per_row_2_7_kernelILj256ELj5EfliEEv20rocsparse_direction_T3_S2_21rocsparse_index_base_PKT1_PKT2_PKS2_S2_S3_PS4_PS7_PS2_,@function
_ZN9rocsparseL32bsr2csr_block_per_row_2_7_kernelILj256ELj5EfliEEv20rocsparse_direction_T3_S2_21rocsparse_index_base_PKT1_PKT2_PKS2_S2_S3_PS4_PS7_PS2_: ; @_ZN9rocsparseL32bsr2csr_block_per_row_2_7_kernelILj256ELj5EfliEEv20rocsparse_direction_T3_S2_21rocsparse_index_base_PKT1_PKT2_PKS2_S2_S3_PS4_PS7_PS2_
; %bb.0:
	s_clause 0x2
	s_load_dwordx2 s[0:1], s[4:5], 0x18
	s_load_dword s8, s[4:5], 0x2c
	s_load_dwordx2 s[10:11], s[4:5], 0x38
	s_ashr_i32 s7, s6, 31
	v_or_b32_e32 v1, s6, v0
	s_lshl_b64 s[2:3], s[6:7], 3
	s_waitcnt lgkmcnt(0)
	s_add_u32 s0, s0, s2
	s_addc_u32 s1, s1, s3
	s_mov_b32 s2, exec_lo
	v_cmpx_eq_u32_e32 0, v1
	s_cbranch_execz .LBB121_2
; %bb.1:
	v_mov_b32_e32 v1, s8
	v_mov_b32_e32 v2, 0
	global_store_dwordx2 v2, v[1:2], s[10:11]
.LBB121_2:
	s_or_b32 exec_lo, exec_lo, s2
	v_and_b32_e32 v4, 7, v0
	s_mov_b32 s2, exec_lo
	v_cmpx_gt_u32_e32 5, v4
	s_cbranch_execz .LBB121_6
; %bb.3:
	s_load_dwordx4 s[0:3], s[0:1], 0x0
	s_load_dword s7, s[4:5], 0xc
	s_mul_i32 s6, s6, 5
	v_mov_b32_e32 v2, 0
	v_add3_u32 v1, v4, s6, 1
	v_lshrrev_b32_e32 v5, 3, v0
	v_lshlrev_b64 v[6:7], 3, v[1:2]
	v_add_co_u32 v6, vcc_lo, s10, v6
	v_add_co_ci_u32_e64 v7, null, s11, v7, vcc_lo
	s_waitcnt lgkmcnt(0)
	s_sub_u32 s6, s0, s7
	s_subb_u32 s9, s1, 0
	s_mul_hi_u32 s12, s6, 25
	s_mul_i32 s13, s9, 25
	s_sub_u32 s2, s2, s7
	s_subb_u32 s3, s3, 0
	s_add_i32 s12, s12, s13
	s_sub_u32 s13, s2, s6
	s_subb_u32 s11, s3, s9
	s_mul_i32 s14, s13, 5
	s_mul_hi_u32 s13, s13, 5
	v_mad_u64_u32 v[2:3], null, s14, v4, 0
	s_mul_i32 s11, s11, 5
	s_mul_i32 s10, s6, 25
	s_add_i32 s13, s13, s11
	v_add_co_u32 v0, s6, s6, v5
	v_add_co_ci_u32_e64 v1, null, s9, 0, s6
	v_mad_u64_u32 v[8:9], null, s13, v4, v[3:4]
	s_add_u32 s6, s14, s8
	s_addc_u32 s9, s13, 0
	s_add_u32 s6, s6, s10
	s_addc_u32 s9, s9, s12
	v_add_co_u32 v9, vcc_lo, s6, v2
	v_add_co_ci_u32_e64 v10, null, s9, v8, vcc_lo
	v_cmp_gt_i64_e32 vcc_lo, s[2:3], v[0:1]
	v_mov_b32_e32 v3, v8
	s_mov_b32 s6, 0
	global_store_dwordx2 v[6:7], v[9:10], off
	s_and_b32 exec_lo, exec_lo, vcc_lo
	s_cbranch_execz .LBB121_6
; %bb.4:
	v_mad_u64_u32 v[6:7], null, s0, 25, v[2:3]
	s_clause 0x1
	s_load_dwordx2 s[10:11], s[4:5], 0x30
	s_load_dwordx2 s[12:13], s[4:5], 0x10
	v_mul_u32_u24_e32 v10, 5, v4
	v_lshlrev_b32_e32 v9, 2, v4
	v_lshlrev_b32_e32 v10, 2, v10
	v_mov_b32_e32 v2, v7
	v_mad_u64_u32 v[2:3], null, s1, 25, v[2:3]
	s_clause 0x2
	s_load_dwordx2 s[0:1], s[4:5], 0x20
	s_load_dword s9, s[4:5], 0x0
	s_load_dwordx2 s[4:5], s[4:5], 0x40
	v_mov_b32_e32 v7, v2
	s_waitcnt lgkmcnt(0)
	v_mad_u64_u32 v[2:3], null, 0x64, v0, s[12:13]
	s_mul_i32 s13, s7, 25
	s_mul_hi_u32 s12, s7, 25
	v_mad_u64_u32 v[5:6], null, v5, 5, v[6:7]
	v_lshlrev_b64 v[7:8], 2, v[0:1]
	v_mad_u64_u32 v[11:12], null, 0x64, v1, v[3:4]
	v_sub_co_u32 v5, vcc_lo, v5, s13
	v_subrev_co_ci_u32_e64 v6, null, s12, v6, vcc_lo
	v_add_co_u32 v3, vcc_lo, s0, v7
	v_add_co_ci_u32_e64 v4, null, s1, v8, vcc_lo
	v_lshlrev_b64 v[5:6], 2, v[5:6]
	s_cmp_eq_u32 s9, 0
	v_add_co_u32 v7, vcc_lo, v5, 8
	v_add_co_ci_u32_e64 v8, null, 0, v6, vcc_lo
	v_add_co_u32 v5, vcc_lo, s10, v7
	v_add_co_ci_u32_e64 v6, null, s11, v8, vcc_lo
	;; [unrolled: 2-line block ×3, first 2 shown]
	s_cselect_b32 vcc_lo, -1, 0
.LBB121_5:                              ; =>This Inner Loop Header: Depth=1
	v_add_co_u32 v14, s0, v2, v9
	v_add_co_ci_u32_e64 v15, null, 0, v11, s0
	v_add_co_u32 v16, s0, v2, v10
	v_add_co_ci_u32_e64 v17, null, 0, v11, s0
	global_load_dword v22, v[3:4], off
	v_add_co_u32 v18, s0, v16, 4
	v_add_co_ci_u32_e64 v19, null, 0, v17, s0
	v_add_co_u32 v20, s0, v14, 20
	v_add_co_ci_u32_e64 v21, null, 0, v15, s0
	;; [unrolled: 2-line block ×8, first 2 shown]
	v_cndmask_b32_e32 v13, v15, v17, vcc_lo
	v_cndmask_b32_e32 v12, v14, v16, vcc_lo
	;; [unrolled: 1-line block ×10, first 2 shown]
	global_load_dword v12, v[12:13], off
	global_load_dword v13, v[14:15], off
	;; [unrolled: 1-line block ×5, first 2 shown]
	v_add_co_u32 v0, s0, v0, 32
	v_add_co_ci_u32_e64 v1, null, 0, v1, s0
	v_add_co_u32 v3, s0, 0x80, v3
	v_add_co_ci_u32_e64 v4, null, 0, v4, s0
	;; [unrolled: 2-line block ×3, first 2 shown]
	v_cmp_le_i64_e64 s0, s[2:3], v[0:1]
	s_waitcnt vmcnt(1)
	global_store_dwordx4 v[5:6], v[12:15], off offset:-8
	s_waitcnt vmcnt(0)
	global_store_dword v[5:6], v20, off offset:8
	v_subrev_nc_u32_e32 v16, s7, v22
	v_add_co_u32 v5, s1, 0x280, v5
	v_add_co_ci_u32_e64 v6, null, 0, v6, s1
	v_mad_u64_u32 v[16:17], null, v16, 5, s[8:9]
	s_or_b32 s6, s0, s6
	v_add_nc_u32_e32 v17, 1, v16
	v_add_nc_u32_e32 v18, 2, v16
	;; [unrolled: 1-line block ×4, first 2 shown]
	global_store_dwordx4 v[7:8], v[16:19], off offset:-8
	global_store_dword v[7:8], v21, off offset:8
	v_add_co_u32 v7, s1, 0x280, v7
	v_add_co_ci_u32_e64 v8, null, 0, v8, s1
	s_andn2_b32 exec_lo, exec_lo, s6
	s_cbranch_execnz .LBB121_5
.LBB121_6:
	s_endpgm
	.section	.rodata,"a",@progbits
	.p2align	6, 0x0
	.amdhsa_kernel _ZN9rocsparseL32bsr2csr_block_per_row_2_7_kernelILj256ELj5EfliEEv20rocsparse_direction_T3_S2_21rocsparse_index_base_PKT1_PKT2_PKS2_S2_S3_PS4_PS7_PS2_
		.amdhsa_group_segment_fixed_size 0
		.amdhsa_private_segment_fixed_size 0
		.amdhsa_kernarg_size 72
		.amdhsa_user_sgpr_count 6
		.amdhsa_user_sgpr_private_segment_buffer 1
		.amdhsa_user_sgpr_dispatch_ptr 0
		.amdhsa_user_sgpr_queue_ptr 0
		.amdhsa_user_sgpr_kernarg_segment_ptr 1
		.amdhsa_user_sgpr_dispatch_id 0
		.amdhsa_user_sgpr_flat_scratch_init 0
		.amdhsa_user_sgpr_private_segment_size 0
		.amdhsa_wavefront_size32 1
		.amdhsa_uses_dynamic_stack 0
		.amdhsa_system_sgpr_private_segment_wavefront_offset 0
		.amdhsa_system_sgpr_workgroup_id_x 1
		.amdhsa_system_sgpr_workgroup_id_y 0
		.amdhsa_system_sgpr_workgroup_id_z 0
		.amdhsa_system_sgpr_workgroup_info 0
		.amdhsa_system_vgpr_workitem_id 0
		.amdhsa_next_free_vgpr 35
		.amdhsa_next_free_sgpr 15
		.amdhsa_reserve_vcc 1
		.amdhsa_reserve_flat_scratch 0
		.amdhsa_float_round_mode_32 0
		.amdhsa_float_round_mode_16_64 0
		.amdhsa_float_denorm_mode_32 3
		.amdhsa_float_denorm_mode_16_64 3
		.amdhsa_dx10_clamp 1
		.amdhsa_ieee_mode 1
		.amdhsa_fp16_overflow 0
		.amdhsa_workgroup_processor_mode 1
		.amdhsa_memory_ordered 1
		.amdhsa_forward_progress 1
		.amdhsa_shared_vgpr_count 0
		.amdhsa_exception_fp_ieee_invalid_op 0
		.amdhsa_exception_fp_denorm_src 0
		.amdhsa_exception_fp_ieee_div_zero 0
		.amdhsa_exception_fp_ieee_overflow 0
		.amdhsa_exception_fp_ieee_underflow 0
		.amdhsa_exception_fp_ieee_inexact 0
		.amdhsa_exception_int_div_zero 0
	.end_amdhsa_kernel
	.section	.text._ZN9rocsparseL32bsr2csr_block_per_row_2_7_kernelILj256ELj5EfliEEv20rocsparse_direction_T3_S2_21rocsparse_index_base_PKT1_PKT2_PKS2_S2_S3_PS4_PS7_PS2_,"axG",@progbits,_ZN9rocsparseL32bsr2csr_block_per_row_2_7_kernelILj256ELj5EfliEEv20rocsparse_direction_T3_S2_21rocsparse_index_base_PKT1_PKT2_PKS2_S2_S3_PS4_PS7_PS2_,comdat
.Lfunc_end121:
	.size	_ZN9rocsparseL32bsr2csr_block_per_row_2_7_kernelILj256ELj5EfliEEv20rocsparse_direction_T3_S2_21rocsparse_index_base_PKT1_PKT2_PKS2_S2_S3_PS4_PS7_PS2_, .Lfunc_end121-_ZN9rocsparseL32bsr2csr_block_per_row_2_7_kernelILj256ELj5EfliEEv20rocsparse_direction_T3_S2_21rocsparse_index_base_PKT1_PKT2_PKS2_S2_S3_PS4_PS7_PS2_
                                        ; -- End function
	.set _ZN9rocsparseL32bsr2csr_block_per_row_2_7_kernelILj256ELj5EfliEEv20rocsparse_direction_T3_S2_21rocsparse_index_base_PKT1_PKT2_PKS2_S2_S3_PS4_PS7_PS2_.num_vgpr, 35
	.set _ZN9rocsparseL32bsr2csr_block_per_row_2_7_kernelILj256ELj5EfliEEv20rocsparse_direction_T3_S2_21rocsparse_index_base_PKT1_PKT2_PKS2_S2_S3_PS4_PS7_PS2_.num_agpr, 0
	.set _ZN9rocsparseL32bsr2csr_block_per_row_2_7_kernelILj256ELj5EfliEEv20rocsparse_direction_T3_S2_21rocsparse_index_base_PKT1_PKT2_PKS2_S2_S3_PS4_PS7_PS2_.numbered_sgpr, 15
	.set _ZN9rocsparseL32bsr2csr_block_per_row_2_7_kernelILj256ELj5EfliEEv20rocsparse_direction_T3_S2_21rocsparse_index_base_PKT1_PKT2_PKS2_S2_S3_PS4_PS7_PS2_.num_named_barrier, 0
	.set _ZN9rocsparseL32bsr2csr_block_per_row_2_7_kernelILj256ELj5EfliEEv20rocsparse_direction_T3_S2_21rocsparse_index_base_PKT1_PKT2_PKS2_S2_S3_PS4_PS7_PS2_.private_seg_size, 0
	.set _ZN9rocsparseL32bsr2csr_block_per_row_2_7_kernelILj256ELj5EfliEEv20rocsparse_direction_T3_S2_21rocsparse_index_base_PKT1_PKT2_PKS2_S2_S3_PS4_PS7_PS2_.uses_vcc, 1
	.set _ZN9rocsparseL32bsr2csr_block_per_row_2_7_kernelILj256ELj5EfliEEv20rocsparse_direction_T3_S2_21rocsparse_index_base_PKT1_PKT2_PKS2_S2_S3_PS4_PS7_PS2_.uses_flat_scratch, 0
	.set _ZN9rocsparseL32bsr2csr_block_per_row_2_7_kernelILj256ELj5EfliEEv20rocsparse_direction_T3_S2_21rocsparse_index_base_PKT1_PKT2_PKS2_S2_S3_PS4_PS7_PS2_.has_dyn_sized_stack, 0
	.set _ZN9rocsparseL32bsr2csr_block_per_row_2_7_kernelILj256ELj5EfliEEv20rocsparse_direction_T3_S2_21rocsparse_index_base_PKT1_PKT2_PKS2_S2_S3_PS4_PS7_PS2_.has_recursion, 0
	.set _ZN9rocsparseL32bsr2csr_block_per_row_2_7_kernelILj256ELj5EfliEEv20rocsparse_direction_T3_S2_21rocsparse_index_base_PKT1_PKT2_PKS2_S2_S3_PS4_PS7_PS2_.has_indirect_call, 0
	.section	.AMDGPU.csdata,"",@progbits
; Kernel info:
; codeLenInByte = 984
; TotalNumSgprs: 17
; NumVgprs: 35
; ScratchSize: 0
; MemoryBound: 0
; FloatMode: 240
; IeeeMode: 1
; LDSByteSize: 0 bytes/workgroup (compile time only)
; SGPRBlocks: 0
; VGPRBlocks: 4
; NumSGPRsForWavesPerEU: 17
; NumVGPRsForWavesPerEU: 35
; Occupancy: 16
; WaveLimiterHint : 0
; COMPUTE_PGM_RSRC2:SCRATCH_EN: 0
; COMPUTE_PGM_RSRC2:USER_SGPR: 6
; COMPUTE_PGM_RSRC2:TRAP_HANDLER: 0
; COMPUTE_PGM_RSRC2:TGID_X_EN: 1
; COMPUTE_PGM_RSRC2:TGID_Y_EN: 0
; COMPUTE_PGM_RSRC2:TGID_Z_EN: 0
; COMPUTE_PGM_RSRC2:TIDIG_COMP_CNT: 0
	.section	.text._ZN9rocsparseL32bsr2csr_block_per_row_2_7_kernelILj256ELj6EfliEEv20rocsparse_direction_T3_S2_21rocsparse_index_base_PKT1_PKT2_PKS2_S2_S3_PS4_PS7_PS2_,"axG",@progbits,_ZN9rocsparseL32bsr2csr_block_per_row_2_7_kernelILj256ELj6EfliEEv20rocsparse_direction_T3_S2_21rocsparse_index_base_PKT1_PKT2_PKS2_S2_S3_PS4_PS7_PS2_,comdat
	.globl	_ZN9rocsparseL32bsr2csr_block_per_row_2_7_kernelILj256ELj6EfliEEv20rocsparse_direction_T3_S2_21rocsparse_index_base_PKT1_PKT2_PKS2_S2_S3_PS4_PS7_PS2_ ; -- Begin function _ZN9rocsparseL32bsr2csr_block_per_row_2_7_kernelILj256ELj6EfliEEv20rocsparse_direction_T3_S2_21rocsparse_index_base_PKT1_PKT2_PKS2_S2_S3_PS4_PS7_PS2_
	.p2align	8
	.type	_ZN9rocsparseL32bsr2csr_block_per_row_2_7_kernelILj256ELj6EfliEEv20rocsparse_direction_T3_S2_21rocsparse_index_base_PKT1_PKT2_PKS2_S2_S3_PS4_PS7_PS2_,@function
_ZN9rocsparseL32bsr2csr_block_per_row_2_7_kernelILj256ELj6EfliEEv20rocsparse_direction_T3_S2_21rocsparse_index_base_PKT1_PKT2_PKS2_S2_S3_PS4_PS7_PS2_: ; @_ZN9rocsparseL32bsr2csr_block_per_row_2_7_kernelILj256ELj6EfliEEv20rocsparse_direction_T3_S2_21rocsparse_index_base_PKT1_PKT2_PKS2_S2_S3_PS4_PS7_PS2_
; %bb.0:
	s_clause 0x2
	s_load_dwordx2 s[0:1], s[4:5], 0x18
	s_load_dword s8, s[4:5], 0x2c
	s_load_dwordx2 s[10:11], s[4:5], 0x38
	s_ashr_i32 s7, s6, 31
	v_or_b32_e32 v1, s6, v0
	s_lshl_b64 s[2:3], s[6:7], 3
	s_waitcnt lgkmcnt(0)
	s_add_u32 s0, s0, s2
	s_addc_u32 s1, s1, s3
	s_mov_b32 s2, exec_lo
	v_cmpx_eq_u32_e32 0, v1
	s_cbranch_execz .LBB122_2
; %bb.1:
	v_mov_b32_e32 v1, s8
	v_mov_b32_e32 v2, 0
	global_store_dwordx2 v2, v[1:2], s[10:11]
.LBB122_2:
	s_or_b32 exec_lo, exec_lo, s2
	v_and_b32_e32 v4, 7, v0
	s_mov_b32 s2, exec_lo
	v_cmpx_gt_u32_e32 6, v4
	s_cbranch_execz .LBB122_6
; %bb.3:
	s_load_dwordx4 s[0:3], s[0:1], 0x0
	s_load_dword s7, s[4:5], 0xc
	s_mul_i32 s6, s6, 6
	v_mov_b32_e32 v2, 0
	v_add3_u32 v1, v4, s6, 1
	v_lshrrev_b32_e32 v5, 3, v0
	v_lshlrev_b64 v[6:7], 3, v[1:2]
	v_add_co_u32 v6, vcc_lo, s10, v6
	v_add_co_ci_u32_e64 v7, null, s11, v7, vcc_lo
	s_waitcnt lgkmcnt(0)
	s_sub_u32 s6, s0, s7
	s_subb_u32 s9, s1, 0
	s_mul_hi_u32 s12, s6, 36
	s_mul_i32 s13, s9, 36
	s_sub_u32 s2, s2, s7
	s_subb_u32 s3, s3, 0
	s_add_i32 s12, s12, s13
	s_sub_u32 s13, s2, s6
	s_subb_u32 s11, s3, s9
	s_mul_i32 s14, s13, 6
	s_mul_hi_u32 s13, s13, 6
	v_mad_u64_u32 v[2:3], null, s14, v4, 0
	s_mul_i32 s11, s11, 6
	s_mul_i32 s10, s6, 36
	s_add_i32 s13, s13, s11
	v_add_co_u32 v0, s6, s6, v5
	v_add_co_ci_u32_e64 v1, null, s9, 0, s6
	v_mad_u64_u32 v[8:9], null, s13, v4, v[3:4]
	s_add_u32 s6, s14, s8
	s_addc_u32 s9, s13, 0
	s_add_u32 s6, s6, s10
	s_addc_u32 s9, s9, s12
	v_add_co_u32 v9, vcc_lo, s6, v2
	v_add_co_ci_u32_e64 v10, null, s9, v8, vcc_lo
	v_cmp_gt_i64_e32 vcc_lo, s[2:3], v[0:1]
	v_mov_b32_e32 v3, v8
	s_mov_b32 s6, 0
	global_store_dwordx2 v[6:7], v[9:10], off
	s_and_b32 exec_lo, exec_lo, vcc_lo
	s_cbranch_execz .LBB122_6
; %bb.4:
	v_mad_u64_u32 v[6:7], null, s0, 36, v[2:3]
	s_clause 0x1
	s_load_dwordx2 s[10:11], s[4:5], 0x30
	s_load_dwordx2 s[12:13], s[4:5], 0x10
	v_mul_u32_u24_e32 v10, 6, v4
	v_lshlrev_b32_e32 v9, 2, v4
	v_lshlrev_b32_e32 v10, 2, v10
	v_mov_b32_e32 v2, v7
	v_mad_u64_u32 v[2:3], null, s1, 36, v[2:3]
	s_clause 0x2
	s_load_dwordx2 s[0:1], s[4:5], 0x20
	s_load_dword s9, s[4:5], 0x0
	s_load_dwordx2 s[4:5], s[4:5], 0x40
	v_mov_b32_e32 v7, v2
	s_waitcnt lgkmcnt(0)
	v_mad_u64_u32 v[2:3], null, 0x90, v0, s[12:13]
	s_mul_i32 s13, s7, 36
	s_mul_hi_u32 s12, s7, 36
	v_mad_u64_u32 v[5:6], null, v5, 6, v[6:7]
	v_lshlrev_b64 v[7:8], 2, v[0:1]
	v_mad_u64_u32 v[11:12], null, 0x90, v1, v[3:4]
	v_sub_co_u32 v5, vcc_lo, v5, s13
	v_subrev_co_ci_u32_e64 v6, null, s12, v6, vcc_lo
	v_add_co_u32 v3, vcc_lo, s0, v7
	v_add_co_ci_u32_e64 v4, null, s1, v8, vcc_lo
	v_lshlrev_b64 v[5:6], 2, v[5:6]
	s_cmp_eq_u32 s9, 0
	v_add_co_u32 v7, vcc_lo, v5, 12
	v_add_co_ci_u32_e64 v8, null, 0, v6, vcc_lo
	v_add_co_u32 v5, vcc_lo, s10, v7
	v_add_co_ci_u32_e64 v6, null, s11, v8, vcc_lo
	;; [unrolled: 2-line block ×3, first 2 shown]
	s_cselect_b32 vcc_lo, -1, 0
.LBB122_5:                              ; =>This Inner Loop Header: Depth=1
	v_add_co_u32 v14, s0, v2, v9
	v_add_co_ci_u32_e64 v15, null, 0, v11, s0
	v_add_co_u32 v16, s0, v2, v10
	v_add_co_ci_u32_e64 v17, null, 0, v11, s0
	global_load_dword v23, v[3:4], off
	v_add_co_u32 v18, s0, v16, 4
	v_add_co_ci_u32_e64 v19, null, 0, v17, s0
	v_add_co_u32 v20, s0, v14, 24
	v_add_co_ci_u32_e64 v21, null, 0, v15, s0
	;; [unrolled: 2-line block ×7, first 2 shown]
	v_add_co_u32 v33, s0, 0x60, v14
	v_cndmask_b32_e32 v13, v15, v17, vcc_lo
	v_cndmask_b32_e32 v12, v14, v16, vcc_lo
	v_add_co_ci_u32_e64 v34, null, 0, v15, s0
	v_add_co_u32 v35, s0, v16, 20
	v_add_co_ci_u32_e64 v36, null, 0, v17, s0
	v_add_co_u32 v37, s0, 0x78, v14
	v_add_co_ci_u32_e64 v38, null, 0, v15, s0
	global_load_dword v12, v[12:13], off
	v_cndmask_b32_e32 v14, v21, v19, vcc_lo
	v_cndmask_b32_e32 v13, v20, v18, vcc_lo
	;; [unrolled: 1-line block ×10, first 2 shown]
	global_load_dword v13, v[13:14], off
	global_load_dword v14, v[15:16], off
	;; [unrolled: 1-line block ×5, first 2 shown]
	v_add_co_u32 v0, s0, v0, 32
	v_add_co_ci_u32_e64 v1, null, 0, v1, s0
	v_add_co_u32 v3, s0, 0x80, v3
	v_add_co_ci_u32_e64 v4, null, 0, v4, s0
	;; [unrolled: 2-line block ×3, first 2 shown]
	v_cmp_le_i64_e64 s0, s[2:3], v[0:1]
	s_waitcnt vmcnt(2)
	global_store_dwordx4 v[5:6], v[12:15], off offset:-12
	s_waitcnt vmcnt(0)
	global_store_dwordx2 v[5:6], v[20:21], off offset:4
	v_subrev_nc_u32_e32 v16, s7, v23
	v_add_co_u32 v5, s1, 0x300, v5
	v_add_co_ci_u32_e64 v6, null, 0, v6, s1
	v_mad_u64_u32 v[16:17], null, v16, 6, s[8:9]
	s_or_b32 s6, s0, s6
	v_add_nc_u32_e32 v17, 1, v16
	v_add_nc_u32_e32 v18, 2, v16
	;; [unrolled: 1-line block ×5, first 2 shown]
	global_store_dwordx4 v[7:8], v[16:19], off offset:-12
	global_store_dwordx2 v[7:8], v[22:23], off offset:4
	v_add_co_u32 v7, s1, 0x300, v7
	v_add_co_ci_u32_e64 v8, null, 0, v8, s1
	s_andn2_b32 exec_lo, exec_lo, s6
	s_cbranch_execnz .LBB122_5
.LBB122_6:
	s_endpgm
	.section	.rodata,"a",@progbits
	.p2align	6, 0x0
	.amdhsa_kernel _ZN9rocsparseL32bsr2csr_block_per_row_2_7_kernelILj256ELj6EfliEEv20rocsparse_direction_T3_S2_21rocsparse_index_base_PKT1_PKT2_PKS2_S2_S3_PS4_PS7_PS2_
		.amdhsa_group_segment_fixed_size 0
		.amdhsa_private_segment_fixed_size 0
		.amdhsa_kernarg_size 72
		.amdhsa_user_sgpr_count 6
		.amdhsa_user_sgpr_private_segment_buffer 1
		.amdhsa_user_sgpr_dispatch_ptr 0
		.amdhsa_user_sgpr_queue_ptr 0
		.amdhsa_user_sgpr_kernarg_segment_ptr 1
		.amdhsa_user_sgpr_dispatch_id 0
		.amdhsa_user_sgpr_flat_scratch_init 0
		.amdhsa_user_sgpr_private_segment_size 0
		.amdhsa_wavefront_size32 1
		.amdhsa_uses_dynamic_stack 0
		.amdhsa_system_sgpr_private_segment_wavefront_offset 0
		.amdhsa_system_sgpr_workgroup_id_x 1
		.amdhsa_system_sgpr_workgroup_id_y 0
		.amdhsa_system_sgpr_workgroup_id_z 0
		.amdhsa_system_sgpr_workgroup_info 0
		.amdhsa_system_vgpr_workitem_id 0
		.amdhsa_next_free_vgpr 39
		.amdhsa_next_free_sgpr 15
		.amdhsa_reserve_vcc 1
		.amdhsa_reserve_flat_scratch 0
		.amdhsa_float_round_mode_32 0
		.amdhsa_float_round_mode_16_64 0
		.amdhsa_float_denorm_mode_32 3
		.amdhsa_float_denorm_mode_16_64 3
		.amdhsa_dx10_clamp 1
		.amdhsa_ieee_mode 1
		.amdhsa_fp16_overflow 0
		.amdhsa_workgroup_processor_mode 1
		.amdhsa_memory_ordered 1
		.amdhsa_forward_progress 1
		.amdhsa_shared_vgpr_count 0
		.amdhsa_exception_fp_ieee_invalid_op 0
		.amdhsa_exception_fp_denorm_src 0
		.amdhsa_exception_fp_ieee_div_zero 0
		.amdhsa_exception_fp_ieee_overflow 0
		.amdhsa_exception_fp_ieee_underflow 0
		.amdhsa_exception_fp_ieee_inexact 0
		.amdhsa_exception_int_div_zero 0
	.end_amdhsa_kernel
	.section	.text._ZN9rocsparseL32bsr2csr_block_per_row_2_7_kernelILj256ELj6EfliEEv20rocsparse_direction_T3_S2_21rocsparse_index_base_PKT1_PKT2_PKS2_S2_S3_PS4_PS7_PS2_,"axG",@progbits,_ZN9rocsparseL32bsr2csr_block_per_row_2_7_kernelILj256ELj6EfliEEv20rocsparse_direction_T3_S2_21rocsparse_index_base_PKT1_PKT2_PKS2_S2_S3_PS4_PS7_PS2_,comdat
.Lfunc_end122:
	.size	_ZN9rocsparseL32bsr2csr_block_per_row_2_7_kernelILj256ELj6EfliEEv20rocsparse_direction_T3_S2_21rocsparse_index_base_PKT1_PKT2_PKS2_S2_S3_PS4_PS7_PS2_, .Lfunc_end122-_ZN9rocsparseL32bsr2csr_block_per_row_2_7_kernelILj256ELj6EfliEEv20rocsparse_direction_T3_S2_21rocsparse_index_base_PKT1_PKT2_PKS2_S2_S3_PS4_PS7_PS2_
                                        ; -- End function
	.set _ZN9rocsparseL32bsr2csr_block_per_row_2_7_kernelILj256ELj6EfliEEv20rocsparse_direction_T3_S2_21rocsparse_index_base_PKT1_PKT2_PKS2_S2_S3_PS4_PS7_PS2_.num_vgpr, 39
	.set _ZN9rocsparseL32bsr2csr_block_per_row_2_7_kernelILj256ELj6EfliEEv20rocsparse_direction_T3_S2_21rocsparse_index_base_PKT1_PKT2_PKS2_S2_S3_PS4_PS7_PS2_.num_agpr, 0
	.set _ZN9rocsparseL32bsr2csr_block_per_row_2_7_kernelILj256ELj6EfliEEv20rocsparse_direction_T3_S2_21rocsparse_index_base_PKT1_PKT2_PKS2_S2_S3_PS4_PS7_PS2_.numbered_sgpr, 15
	.set _ZN9rocsparseL32bsr2csr_block_per_row_2_7_kernelILj256ELj6EfliEEv20rocsparse_direction_T3_S2_21rocsparse_index_base_PKT1_PKT2_PKS2_S2_S3_PS4_PS7_PS2_.num_named_barrier, 0
	.set _ZN9rocsparseL32bsr2csr_block_per_row_2_7_kernelILj256ELj6EfliEEv20rocsparse_direction_T3_S2_21rocsparse_index_base_PKT1_PKT2_PKS2_S2_S3_PS4_PS7_PS2_.private_seg_size, 0
	.set _ZN9rocsparseL32bsr2csr_block_per_row_2_7_kernelILj256ELj6EfliEEv20rocsparse_direction_T3_S2_21rocsparse_index_base_PKT1_PKT2_PKS2_S2_S3_PS4_PS7_PS2_.uses_vcc, 1
	.set _ZN9rocsparseL32bsr2csr_block_per_row_2_7_kernelILj256ELj6EfliEEv20rocsparse_direction_T3_S2_21rocsparse_index_base_PKT1_PKT2_PKS2_S2_S3_PS4_PS7_PS2_.uses_flat_scratch, 0
	.set _ZN9rocsparseL32bsr2csr_block_per_row_2_7_kernelILj256ELj6EfliEEv20rocsparse_direction_T3_S2_21rocsparse_index_base_PKT1_PKT2_PKS2_S2_S3_PS4_PS7_PS2_.has_dyn_sized_stack, 0
	.set _ZN9rocsparseL32bsr2csr_block_per_row_2_7_kernelILj256ELj6EfliEEv20rocsparse_direction_T3_S2_21rocsparse_index_base_PKT1_PKT2_PKS2_S2_S3_PS4_PS7_PS2_.has_recursion, 0
	.set _ZN9rocsparseL32bsr2csr_block_per_row_2_7_kernelILj256ELj6EfliEEv20rocsparse_direction_T3_S2_21rocsparse_index_base_PKT1_PKT2_PKS2_S2_S3_PS4_PS7_PS2_.has_indirect_call, 0
	.section	.AMDGPU.csdata,"",@progbits
; Kernel info:
; codeLenInByte = 1044
; TotalNumSgprs: 17
; NumVgprs: 39
; ScratchSize: 0
; MemoryBound: 0
; FloatMode: 240
; IeeeMode: 1
; LDSByteSize: 0 bytes/workgroup (compile time only)
; SGPRBlocks: 0
; VGPRBlocks: 4
; NumSGPRsForWavesPerEU: 17
; NumVGPRsForWavesPerEU: 39
; Occupancy: 16
; WaveLimiterHint : 0
; COMPUTE_PGM_RSRC2:SCRATCH_EN: 0
; COMPUTE_PGM_RSRC2:USER_SGPR: 6
; COMPUTE_PGM_RSRC2:TRAP_HANDLER: 0
; COMPUTE_PGM_RSRC2:TGID_X_EN: 1
; COMPUTE_PGM_RSRC2:TGID_Y_EN: 0
; COMPUTE_PGM_RSRC2:TGID_Z_EN: 0
; COMPUTE_PGM_RSRC2:TIDIG_COMP_CNT: 0
	.section	.text._ZN9rocsparseL32bsr2csr_block_per_row_2_7_kernelILj256ELj7EfliEEv20rocsparse_direction_T3_S2_21rocsparse_index_base_PKT1_PKT2_PKS2_S2_S3_PS4_PS7_PS2_,"axG",@progbits,_ZN9rocsparseL32bsr2csr_block_per_row_2_7_kernelILj256ELj7EfliEEv20rocsparse_direction_T3_S2_21rocsparse_index_base_PKT1_PKT2_PKS2_S2_S3_PS4_PS7_PS2_,comdat
	.globl	_ZN9rocsparseL32bsr2csr_block_per_row_2_7_kernelILj256ELj7EfliEEv20rocsparse_direction_T3_S2_21rocsparse_index_base_PKT1_PKT2_PKS2_S2_S3_PS4_PS7_PS2_ ; -- Begin function _ZN9rocsparseL32bsr2csr_block_per_row_2_7_kernelILj256ELj7EfliEEv20rocsparse_direction_T3_S2_21rocsparse_index_base_PKT1_PKT2_PKS2_S2_S3_PS4_PS7_PS2_
	.p2align	8
	.type	_ZN9rocsparseL32bsr2csr_block_per_row_2_7_kernelILj256ELj7EfliEEv20rocsparse_direction_T3_S2_21rocsparse_index_base_PKT1_PKT2_PKS2_S2_S3_PS4_PS7_PS2_,@function
_ZN9rocsparseL32bsr2csr_block_per_row_2_7_kernelILj256ELj7EfliEEv20rocsparse_direction_T3_S2_21rocsparse_index_base_PKT1_PKT2_PKS2_S2_S3_PS4_PS7_PS2_: ; @_ZN9rocsparseL32bsr2csr_block_per_row_2_7_kernelILj256ELj7EfliEEv20rocsparse_direction_T3_S2_21rocsparse_index_base_PKT1_PKT2_PKS2_S2_S3_PS4_PS7_PS2_
; %bb.0:
	s_clause 0x2
	s_load_dwordx2 s[0:1], s[4:5], 0x18
	s_load_dword s8, s[4:5], 0x2c
	s_load_dwordx2 s[10:11], s[4:5], 0x38
	s_ashr_i32 s7, s6, 31
	v_or_b32_e32 v1, s6, v0
	s_lshl_b64 s[2:3], s[6:7], 3
	s_waitcnt lgkmcnt(0)
	s_add_u32 s0, s0, s2
	s_addc_u32 s1, s1, s3
	s_mov_b32 s2, exec_lo
	v_cmpx_eq_u32_e32 0, v1
	s_cbranch_execz .LBB123_2
; %bb.1:
	v_mov_b32_e32 v1, s8
	v_mov_b32_e32 v2, 0
	global_store_dwordx2 v2, v[1:2], s[10:11]
.LBB123_2:
	s_or_b32 exec_lo, exec_lo, s2
	v_and_b32_e32 v4, 7, v0
	s_mov_b32 s2, exec_lo
	v_cmpx_ne_u32_e32 7, v4
	s_cbranch_execz .LBB123_6
; %bb.3:
	s_load_dwordx4 s[0:3], s[0:1], 0x0
	s_load_dword s7, s[4:5], 0xc
	s_mul_i32 s6, s6, 7
	v_mov_b32_e32 v2, 0
	v_add3_u32 v1, v4, s6, 1
	v_lshrrev_b32_e32 v5, 3, v0
	v_lshlrev_b64 v[6:7], 3, v[1:2]
	v_add_co_u32 v6, vcc_lo, s10, v6
	v_add_co_ci_u32_e64 v7, null, s11, v7, vcc_lo
	s_waitcnt lgkmcnt(0)
	s_sub_u32 s6, s0, s7
	s_subb_u32 s9, s1, 0
	s_mul_hi_u32 s12, s6, 49
	s_mul_i32 s13, s9, 49
	s_sub_u32 s2, s2, s7
	s_subb_u32 s3, s3, 0
	s_add_i32 s12, s12, s13
	s_sub_u32 s13, s2, s6
	s_subb_u32 s11, s3, s9
	s_mul_i32 s14, s13, 7
	s_mul_hi_u32 s13, s13, 7
	v_mad_u64_u32 v[2:3], null, s14, v4, 0
	s_mul_i32 s11, s11, 7
	s_mul_i32 s10, s6, 49
	s_add_i32 s13, s13, s11
	v_add_co_u32 v0, s6, s6, v5
	v_add_co_ci_u32_e64 v1, null, s9, 0, s6
	v_mad_u64_u32 v[8:9], null, s13, v4, v[3:4]
	s_add_u32 s6, s14, s8
	s_addc_u32 s9, s13, 0
	s_add_u32 s6, s6, s10
	s_addc_u32 s9, s9, s12
	v_add_co_u32 v9, vcc_lo, s6, v2
	v_add_co_ci_u32_e64 v10, null, s9, v8, vcc_lo
	v_cmp_gt_i64_e32 vcc_lo, s[2:3], v[0:1]
	v_mov_b32_e32 v3, v8
	s_mov_b32 s6, 0
	global_store_dwordx2 v[6:7], v[9:10], off
	s_and_b32 exec_lo, exec_lo, vcc_lo
	s_cbranch_execz .LBB123_6
; %bb.4:
	v_mad_u64_u32 v[6:7], null, s0, 49, v[2:3]
	s_clause 0x1
	s_load_dwordx2 s[10:11], s[4:5], 0x30
	s_load_dwordx2 s[12:13], s[4:5], 0x10
	v_mul_u32_u24_e32 v10, 7, v4
	v_lshlrev_b32_e32 v9, 2, v4
	v_lshlrev_b32_e32 v10, 2, v10
	v_mov_b32_e32 v2, v7
	v_mad_u64_u32 v[2:3], null, s1, 49, v[2:3]
	s_clause 0x2
	s_load_dwordx2 s[0:1], s[4:5], 0x20
	s_load_dword s9, s[4:5], 0x0
	s_load_dwordx2 s[4:5], s[4:5], 0x40
	v_mov_b32_e32 v7, v2
	s_waitcnt lgkmcnt(0)
	v_mad_u64_u32 v[2:3], null, 0xc4, v0, s[12:13]
	s_mul_i32 s13, s7, 49
	s_mul_hi_u32 s12, s7, 49
	v_mad_u64_u32 v[5:6], null, v5, 7, v[6:7]
	v_lshlrev_b64 v[7:8], 2, v[0:1]
	v_mad_u64_u32 v[11:12], null, 0xc4, v1, v[3:4]
	v_sub_co_u32 v5, vcc_lo, v5, s13
	v_subrev_co_ci_u32_e64 v6, null, s12, v6, vcc_lo
	v_add_co_u32 v3, vcc_lo, s0, v7
	v_add_co_ci_u32_e64 v4, null, s1, v8, vcc_lo
	v_lshlrev_b64 v[5:6], 2, v[5:6]
	s_cmp_eq_u32 s9, 0
	v_add_co_u32 v7, vcc_lo, v5, 12
	v_add_co_ci_u32_e64 v8, null, 0, v6, vcc_lo
	v_add_co_u32 v5, vcc_lo, s10, v7
	v_add_co_ci_u32_e64 v6, null, s11, v8, vcc_lo
	;; [unrolled: 2-line block ×3, first 2 shown]
	s_cselect_b32 vcc_lo, -1, 0
.LBB123_5:                              ; =>This Inner Loop Header: Depth=1
	v_add_co_u32 v14, s0, v2, v9
	v_add_co_ci_u32_e64 v15, null, 0, v11, s0
	v_add_co_u32 v16, s0, v2, v10
	v_add_co_ci_u32_e64 v17, null, 0, v11, s0
	global_load_dword v25, v[3:4], off
	v_add_co_u32 v18, s0, v16, 4
	v_add_co_ci_u32_e64 v19, null, 0, v17, s0
	v_add_co_u32 v20, s0, v14, 28
	v_add_co_ci_u32_e64 v21, null, 0, v15, s0
	v_add_co_u32 v22, s0, v16, 8
	v_add_co_ci_u32_e64 v23, null, 0, v17, s0
	v_add_co_u32 v24, s0, v14, 56
	v_add_co_ci_u32_e64 v26, null, 0, v15, s0
	v_add_co_u32 v27, s0, v16, 12
	v_add_co_ci_u32_e64 v28, null, 0, v17, s0
	v_add_co_u32 v29, s0, 0x54, v14
	v_add_co_ci_u32_e64 v30, null, 0, v15, s0
	v_add_co_u32 v31, s0, v16, 16
	v_add_co_ci_u32_e64 v32, null, 0, v17, s0
	v_add_co_u32 v33, s0, 0x70, v14
	v_add_co_ci_u32_e64 v34, null, 0, v15, s0
	v_add_co_u32 v35, s0, v16, 20
	v_add_co_ci_u32_e64 v36, null, 0, v17, s0
	v_add_co_u32 v37, s0, 0x8c, v14
	v_cndmask_b32_e32 v13, v15, v17, vcc_lo
	v_cndmask_b32_e32 v12, v14, v16, vcc_lo
	v_add_co_ci_u32_e64 v38, null, 0, v15, s0
	v_add_co_u32 v39, s0, v16, 24
	v_add_co_ci_u32_e64 v40, null, 0, v17, s0
	v_add_co_u32 v41, s0, 0xa8, v14
	v_add_co_ci_u32_e64 v42, null, 0, v15, s0
	global_load_dword v12, v[12:13], off
	v_cndmask_b32_e32 v14, v21, v19, vcc_lo
	v_cndmask_b32_e32 v13, v20, v18, vcc_lo
	;; [unrolled: 1-line block ×12, first 2 shown]
	global_load_dword v13, v[13:14], off
	global_load_dword v14, v[15:16], off
	;; [unrolled: 1-line block ×6, first 2 shown]
	v_add_co_u32 v0, s0, v0, 32
	v_add_co_ci_u32_e64 v1, null, 0, v1, s0
	v_add_co_u32 v3, s0, 0x80, v3
	v_add_co_ci_u32_e64 v4, null, 0, v4, s0
	;; [unrolled: 2-line block ×3, first 2 shown]
	v_cmp_le_i64_e64 s0, s[2:3], v[0:1]
	s_waitcnt vmcnt(3)
	global_store_dwordx4 v[5:6], v[12:15], off offset:-12
	s_waitcnt vmcnt(0)
	global_store_dwordx3 v[5:6], v[20:22], off offset:4
	v_subrev_nc_u32_e32 v16, s7, v25
	v_add_co_u32 v5, s1, 0x380, v5
	v_add_co_ci_u32_e64 v6, null, 0, v6, s1
	v_mad_u64_u32 v[16:17], null, v16, 7, s[8:9]
	s_or_b32 s6, s0, s6
	v_add_nc_u32_e32 v17, 1, v16
	v_add_nc_u32_e32 v18, 2, v16
	;; [unrolled: 1-line block ×6, first 2 shown]
	global_store_dwordx4 v[7:8], v[16:19], off offset:-12
	global_store_dwordx3 v[7:8], v[23:25], off offset:4
	v_add_co_u32 v7, s1, 0x380, v7
	v_add_co_ci_u32_e64 v8, null, 0, v8, s1
	s_andn2_b32 exec_lo, exec_lo, s6
	s_cbranch_execnz .LBB123_5
.LBB123_6:
	s_endpgm
	.section	.rodata,"a",@progbits
	.p2align	6, 0x0
	.amdhsa_kernel _ZN9rocsparseL32bsr2csr_block_per_row_2_7_kernelILj256ELj7EfliEEv20rocsparse_direction_T3_S2_21rocsparse_index_base_PKT1_PKT2_PKS2_S2_S3_PS4_PS7_PS2_
		.amdhsa_group_segment_fixed_size 0
		.amdhsa_private_segment_fixed_size 0
		.amdhsa_kernarg_size 72
		.amdhsa_user_sgpr_count 6
		.amdhsa_user_sgpr_private_segment_buffer 1
		.amdhsa_user_sgpr_dispatch_ptr 0
		.amdhsa_user_sgpr_queue_ptr 0
		.amdhsa_user_sgpr_kernarg_segment_ptr 1
		.amdhsa_user_sgpr_dispatch_id 0
		.amdhsa_user_sgpr_flat_scratch_init 0
		.amdhsa_user_sgpr_private_segment_size 0
		.amdhsa_wavefront_size32 1
		.amdhsa_uses_dynamic_stack 0
		.amdhsa_system_sgpr_private_segment_wavefront_offset 0
		.amdhsa_system_sgpr_workgroup_id_x 1
		.amdhsa_system_sgpr_workgroup_id_y 0
		.amdhsa_system_sgpr_workgroup_id_z 0
		.amdhsa_system_sgpr_workgroup_info 0
		.amdhsa_system_vgpr_workitem_id 0
		.amdhsa_next_free_vgpr 43
		.amdhsa_next_free_sgpr 15
		.amdhsa_reserve_vcc 1
		.amdhsa_reserve_flat_scratch 0
		.amdhsa_float_round_mode_32 0
		.amdhsa_float_round_mode_16_64 0
		.amdhsa_float_denorm_mode_32 3
		.amdhsa_float_denorm_mode_16_64 3
		.amdhsa_dx10_clamp 1
		.amdhsa_ieee_mode 1
		.amdhsa_fp16_overflow 0
		.amdhsa_workgroup_processor_mode 1
		.amdhsa_memory_ordered 1
		.amdhsa_forward_progress 1
		.amdhsa_shared_vgpr_count 0
		.amdhsa_exception_fp_ieee_invalid_op 0
		.amdhsa_exception_fp_denorm_src 0
		.amdhsa_exception_fp_ieee_div_zero 0
		.amdhsa_exception_fp_ieee_overflow 0
		.amdhsa_exception_fp_ieee_underflow 0
		.amdhsa_exception_fp_ieee_inexact 0
		.amdhsa_exception_int_div_zero 0
	.end_amdhsa_kernel
	.section	.text._ZN9rocsparseL32bsr2csr_block_per_row_2_7_kernelILj256ELj7EfliEEv20rocsparse_direction_T3_S2_21rocsparse_index_base_PKT1_PKT2_PKS2_S2_S3_PS4_PS7_PS2_,"axG",@progbits,_ZN9rocsparseL32bsr2csr_block_per_row_2_7_kernelILj256ELj7EfliEEv20rocsparse_direction_T3_S2_21rocsparse_index_base_PKT1_PKT2_PKS2_S2_S3_PS4_PS7_PS2_,comdat
.Lfunc_end123:
	.size	_ZN9rocsparseL32bsr2csr_block_per_row_2_7_kernelILj256ELj7EfliEEv20rocsparse_direction_T3_S2_21rocsparse_index_base_PKT1_PKT2_PKS2_S2_S3_PS4_PS7_PS2_, .Lfunc_end123-_ZN9rocsparseL32bsr2csr_block_per_row_2_7_kernelILj256ELj7EfliEEv20rocsparse_direction_T3_S2_21rocsparse_index_base_PKT1_PKT2_PKS2_S2_S3_PS4_PS7_PS2_
                                        ; -- End function
	.set _ZN9rocsparseL32bsr2csr_block_per_row_2_7_kernelILj256ELj7EfliEEv20rocsparse_direction_T3_S2_21rocsparse_index_base_PKT1_PKT2_PKS2_S2_S3_PS4_PS7_PS2_.num_vgpr, 43
	.set _ZN9rocsparseL32bsr2csr_block_per_row_2_7_kernelILj256ELj7EfliEEv20rocsparse_direction_T3_S2_21rocsparse_index_base_PKT1_PKT2_PKS2_S2_S3_PS4_PS7_PS2_.num_agpr, 0
	.set _ZN9rocsparseL32bsr2csr_block_per_row_2_7_kernelILj256ELj7EfliEEv20rocsparse_direction_T3_S2_21rocsparse_index_base_PKT1_PKT2_PKS2_S2_S3_PS4_PS7_PS2_.numbered_sgpr, 15
	.set _ZN9rocsparseL32bsr2csr_block_per_row_2_7_kernelILj256ELj7EfliEEv20rocsparse_direction_T3_S2_21rocsparse_index_base_PKT1_PKT2_PKS2_S2_S3_PS4_PS7_PS2_.num_named_barrier, 0
	.set _ZN9rocsparseL32bsr2csr_block_per_row_2_7_kernelILj256ELj7EfliEEv20rocsparse_direction_T3_S2_21rocsparse_index_base_PKT1_PKT2_PKS2_S2_S3_PS4_PS7_PS2_.private_seg_size, 0
	.set _ZN9rocsparseL32bsr2csr_block_per_row_2_7_kernelILj256ELj7EfliEEv20rocsparse_direction_T3_S2_21rocsparse_index_base_PKT1_PKT2_PKS2_S2_S3_PS4_PS7_PS2_.uses_vcc, 1
	.set _ZN9rocsparseL32bsr2csr_block_per_row_2_7_kernelILj256ELj7EfliEEv20rocsparse_direction_T3_S2_21rocsparse_index_base_PKT1_PKT2_PKS2_S2_S3_PS4_PS7_PS2_.uses_flat_scratch, 0
	.set _ZN9rocsparseL32bsr2csr_block_per_row_2_7_kernelILj256ELj7EfliEEv20rocsparse_direction_T3_S2_21rocsparse_index_base_PKT1_PKT2_PKS2_S2_S3_PS4_PS7_PS2_.has_dyn_sized_stack, 0
	.set _ZN9rocsparseL32bsr2csr_block_per_row_2_7_kernelILj256ELj7EfliEEv20rocsparse_direction_T3_S2_21rocsparse_index_base_PKT1_PKT2_PKS2_S2_S3_PS4_PS7_PS2_.has_recursion, 0
	.set _ZN9rocsparseL32bsr2csr_block_per_row_2_7_kernelILj256ELj7EfliEEv20rocsparse_direction_T3_S2_21rocsparse_index_base_PKT1_PKT2_PKS2_S2_S3_PS4_PS7_PS2_.has_indirect_call, 0
	.section	.AMDGPU.csdata,"",@progbits
; Kernel info:
; codeLenInByte = 1100
; TotalNumSgprs: 17
; NumVgprs: 43
; ScratchSize: 0
; MemoryBound: 0
; FloatMode: 240
; IeeeMode: 1
; LDSByteSize: 0 bytes/workgroup (compile time only)
; SGPRBlocks: 0
; VGPRBlocks: 5
; NumSGPRsForWavesPerEU: 17
; NumVGPRsForWavesPerEU: 43
; Occupancy: 16
; WaveLimiterHint : 0
; COMPUTE_PGM_RSRC2:SCRATCH_EN: 0
; COMPUTE_PGM_RSRC2:USER_SGPR: 6
; COMPUTE_PGM_RSRC2:TRAP_HANDLER: 0
; COMPUTE_PGM_RSRC2:TGID_X_EN: 1
; COMPUTE_PGM_RSRC2:TGID_Y_EN: 0
; COMPUTE_PGM_RSRC2:TGID_Z_EN: 0
; COMPUTE_PGM_RSRC2:TIDIG_COMP_CNT: 0
	.section	.text._ZN9rocsparseL33bsr2csr_block_per_row_8_32_kernelILj1024ELj8EfliEEv20rocsparse_direction_T3_S2_21rocsparse_index_base_PKT1_PKT2_PKS2_S2_S3_PS4_PS7_PS2_,"axG",@progbits,_ZN9rocsparseL33bsr2csr_block_per_row_8_32_kernelILj1024ELj8EfliEEv20rocsparse_direction_T3_S2_21rocsparse_index_base_PKT1_PKT2_PKS2_S2_S3_PS4_PS7_PS2_,comdat
	.globl	_ZN9rocsparseL33bsr2csr_block_per_row_8_32_kernelILj1024ELj8EfliEEv20rocsparse_direction_T3_S2_21rocsparse_index_base_PKT1_PKT2_PKS2_S2_S3_PS4_PS7_PS2_ ; -- Begin function _ZN9rocsparseL33bsr2csr_block_per_row_8_32_kernelILj1024ELj8EfliEEv20rocsparse_direction_T3_S2_21rocsparse_index_base_PKT1_PKT2_PKS2_S2_S3_PS4_PS7_PS2_
	.p2align	8
	.type	_ZN9rocsparseL33bsr2csr_block_per_row_8_32_kernelILj1024ELj8EfliEEv20rocsparse_direction_T3_S2_21rocsparse_index_base_PKT1_PKT2_PKS2_S2_S3_PS4_PS7_PS2_,@function
_ZN9rocsparseL33bsr2csr_block_per_row_8_32_kernelILj1024ELj8EfliEEv20rocsparse_direction_T3_S2_21rocsparse_index_base_PKT1_PKT2_PKS2_S2_S3_PS4_PS7_PS2_: ; @_ZN9rocsparseL33bsr2csr_block_per_row_8_32_kernelILj1024ELj8EfliEEv20rocsparse_direction_T3_S2_21rocsparse_index_base_PKT1_PKT2_PKS2_S2_S3_PS4_PS7_PS2_
; %bb.0:
	s_clause 0x2
	s_load_dwordx2 s[0:1], s[4:5], 0x18
	s_load_dwordx2 s[2:3], s[4:5], 0x28
	;; [unrolled: 1-line block ×3, first 2 shown]
	s_ashr_i32 s7, s6, 31
	v_or_b32_e32 v1, s6, v0
	s_lshl_b64 s[10:11], s[6:7], 3
	s_mov_b32 s7, exec_lo
	s_waitcnt lgkmcnt(0)
	s_add_u32 s0, s0, s10
	s_addc_u32 s1, s1, s11
	v_cmpx_eq_u32_e32 0, v1
	s_cbranch_execz .LBB124_2
; %bb.1:
	v_mov_b32_e32 v1, s3
	v_mov_b32_e32 v2, 0
	global_store_dwordx2 v2, v[1:2], s[8:9]
.LBB124_2:
	s_or_b32 exec_lo, exec_lo, s7
	v_and_b32_e32 v6, 7, v0
	v_bfe_u32 v2, v0, 3, 3
	s_mov_b32 s7, exec_lo
	v_max_i32_e32 v1, v2, v6
	v_cmpx_gt_i32_e64 s2, v1
	s_cbranch_execz .LBB124_6
; %bb.3:
	s_load_dwordx4 s[16:19], s[0:1], 0x0
	s_load_dword s14, s[4:5], 0xc
	s_mul_i32 s0, s2, s2
	v_mad_u64_u32 v[7:8], null, s2, s6, v[2:3]
	v_lshrrev_b32_e32 v4, 6, v0
	v_mov_b32_e32 v5, 0
	v_ashrrev_i32_e32 v8, 31, v7
	v_lshlrev_b64 v[7:8], 3, v[7:8]
	s_waitcnt lgkmcnt(0)
	s_sub_u32 s1, s16, s14
	s_subb_u32 s15, s17, 0
	s_mul_hi_u32 s11, s1, s0
	s_mul_i32 s12, s15, s0
	s_sub_u32 s6, s18, s14
	s_subb_u32 s7, s19, 0
	s_add_i32 s11, s11, s12
	s_sub_u32 s13, s6, s1
	s_subb_u32 s12, s7, s15
	s_mul_hi_u32 s16, s13, s2
	s_mul_i32 s17, s12, s2
	s_mul_i32 s18, s13, s2
	s_add_i32 s19, s16, s17
	s_mul_i32 s10, s1, s0
	s_add_u32 s16, s18, s3
	s_addc_u32 s17, s19, 0
	s_add_u32 s16, s16, s10
	s_addc_u32 s17, s17, s11
	v_add_co_u32 v0, s1, s1, v4
	v_mad_u64_u32 v[9:10], null, s18, v2, s[16:17]
	v_add_co_u32 v7, vcc_lo, s8, v7
	v_add_co_ci_u32_e64 v8, null, s9, v8, vcc_lo
	v_mov_b32_e32 v1, v10
	v_mad_u64_u32 v[10:11], null, s19, v2, v[1:2]
	v_add_co_ci_u32_e64 v1, null, s15, 0, s1
	s_mov_b32 s1, 0
	v_cmp_gt_i64_e32 vcc_lo, s[6:7], v[0:1]
	global_store_dwordx2 v[7:8], v[9:10], off offset:8
	s_and_b32 exec_lo, exec_lo, vcc_lo
	s_cbranch_execz .LBB124_6
; %bb.4:
	s_clause 0x3
	s_load_dwordx2 s[16:17], s[4:5], 0x10
	s_load_dwordx2 s[18:19], s[4:5], 0x20
	;; [unrolled: 1-line block ×3, first 2 shown]
	s_load_dword s15, s[4:5], 0x0
	v_mul_lo_u32 v7, s2, v6
	v_mov_b32_e32 v8, v5
	v_mad_u64_u32 v[11:12], null, v0, s0, 0
	v_mov_b32_e32 v10, v5
	v_mad_u64_u32 v[4:5], null, s13, v2, v[4:5]
	v_mul_lo_u32 v9, s2, v2
	v_lshlrev_b64 v[7:8], 2, v[7:8]
	v_lshlrev_b32_e32 v13, 2, v2
	s_mov_b32 s20, s2
	v_add_nc_u32_e32 v3, s3, v6
	s_load_dwordx2 s[4:5], s[4:5], 0x40
	s_mov_b32 s21, s1
	v_lshlrev_b64 v[9:10], 2, v[9:10]
	s_waitcnt lgkmcnt(0)
	v_add_co_u32 v7, vcc_lo, s16, v7
	v_add_co_ci_u32_e64 v8, null, s17, v8, vcc_lo
	s_cmp_eq_u32 s15, 0
	v_add_co_u32 v15, vcc_lo, v7, v13
	v_mov_b32_e32 v7, v12
	v_mad_u64_u32 v[13:14], null, v4, s20, s[10:11]
	v_mov_b32_e32 v4, v5
	v_add_co_ci_u32_e64 v16, null, 0, v8, vcc_lo
	v_mad_u64_u32 v[7:8], null, v1, s0, v[7:8]
	v_mad_u64_u32 v[4:5], null, s12, v2, v[4:5]
	v_add_co_u32 v9, vcc_lo, s16, v9
	v_lshlrev_b32_e32 v12, 2, v6
	v_mov_b32_e32 v2, v14
	v_add_co_ci_u32_e64 v10, null, s17, v10, vcc_lo
	v_add_co_u32 v8, vcc_lo, v9, v12
	v_mov_b32_e32 v12, v7
	v_mad_u64_u32 v[4:5], null, v4, s20, v[2:3]
	v_add_co_ci_u32_e64 v9, null, 0, v10, vcc_lo
	s_cselect_b32 vcc_lo, -1, 0
	s_lshl_b64 s[10:11], s[0:1], 6
	v_cndmask_b32_e32 v5, v15, v8, vcc_lo
	v_lshlrev_b64 v[7:8], 2, v[11:12]
	v_cndmask_b32_e32 v2, v16, v9, vcc_lo
	v_add_co_u32 v9, vcc_lo, v13, v6
	v_lshlrev_b64 v[11:12], 2, v[0:1]
	v_add_co_ci_u32_e64 v10, null, 0, v4, vcc_lo
	v_add_co_u32 v4, vcc_lo, v5, v7
	v_add_co_ci_u32_e64 v5, null, v2, v8, vcc_lo
	v_add_co_u32 v8, vcc_lo, s18, v11
	v_lshlrev_b64 v[6:7], 2, v[9:10]
	v_add_co_ci_u32_e64 v9, null, s19, v12, vcc_lo
	s_lshl_b64 s[12:13], s[20:21], 6
	s_inst_prefetch 0x1
	.p2align	6
.LBB124_5:                              ; =>This Inner Loop Header: Depth=1
	global_load_dword v2, v[8:9], off
	global_load_dword v16, v[4:5], off
	v_add_co_u32 v10, vcc_lo, s4, v6
	v_add_co_ci_u32_e64 v11, null, s5, v7, vcc_lo
	v_add_co_u32 v12, vcc_lo, s8, v6
	v_add_co_ci_u32_e64 v13, null, s9, v7, vcc_lo
	;; [unrolled: 2-line block ×5, first 2 shown]
	v_cmp_le_i64_e32 vcc_lo, s[6:7], v[0:1]
	v_add_co_u32 v8, s0, v8, 64
	v_add_co_ci_u32_e64 v9, null, 0, v9, s0
	s_or_b32 s1, vcc_lo, s1
	s_waitcnt vmcnt(1)
	v_subrev_nc_u32_e32 v2, s14, v2
	v_mad_u64_u32 v[14:15], null, v2, s2, v[3:4]
	s_waitcnt vmcnt(0)
	global_store_dword v[12:13], v16, off
	global_store_dword v[10:11], v14, off
	s_andn2_b32 exec_lo, exec_lo, s1
	s_cbranch_execnz .LBB124_5
.LBB124_6:
	s_inst_prefetch 0x2
	s_endpgm
	.section	.rodata,"a",@progbits
	.p2align	6, 0x0
	.amdhsa_kernel _ZN9rocsparseL33bsr2csr_block_per_row_8_32_kernelILj1024ELj8EfliEEv20rocsparse_direction_T3_S2_21rocsparse_index_base_PKT1_PKT2_PKS2_S2_S3_PS4_PS7_PS2_
		.amdhsa_group_segment_fixed_size 0
		.amdhsa_private_segment_fixed_size 0
		.amdhsa_kernarg_size 72
		.amdhsa_user_sgpr_count 6
		.amdhsa_user_sgpr_private_segment_buffer 1
		.amdhsa_user_sgpr_dispatch_ptr 0
		.amdhsa_user_sgpr_queue_ptr 0
		.amdhsa_user_sgpr_kernarg_segment_ptr 1
		.amdhsa_user_sgpr_dispatch_id 0
		.amdhsa_user_sgpr_flat_scratch_init 0
		.amdhsa_user_sgpr_private_segment_size 0
		.amdhsa_wavefront_size32 1
		.amdhsa_uses_dynamic_stack 0
		.amdhsa_system_sgpr_private_segment_wavefront_offset 0
		.amdhsa_system_sgpr_workgroup_id_x 1
		.amdhsa_system_sgpr_workgroup_id_y 0
		.amdhsa_system_sgpr_workgroup_id_z 0
		.amdhsa_system_sgpr_workgroup_info 0
		.amdhsa_system_vgpr_workitem_id 0
		.amdhsa_next_free_vgpr 17
		.amdhsa_next_free_sgpr 22
		.amdhsa_reserve_vcc 1
		.amdhsa_reserve_flat_scratch 0
		.amdhsa_float_round_mode_32 0
		.amdhsa_float_round_mode_16_64 0
		.amdhsa_float_denorm_mode_32 3
		.amdhsa_float_denorm_mode_16_64 3
		.amdhsa_dx10_clamp 1
		.amdhsa_ieee_mode 1
		.amdhsa_fp16_overflow 0
		.amdhsa_workgroup_processor_mode 1
		.amdhsa_memory_ordered 1
		.amdhsa_forward_progress 1
		.amdhsa_shared_vgpr_count 0
		.amdhsa_exception_fp_ieee_invalid_op 0
		.amdhsa_exception_fp_denorm_src 0
		.amdhsa_exception_fp_ieee_div_zero 0
		.amdhsa_exception_fp_ieee_overflow 0
		.amdhsa_exception_fp_ieee_underflow 0
		.amdhsa_exception_fp_ieee_inexact 0
		.amdhsa_exception_int_div_zero 0
	.end_amdhsa_kernel
	.section	.text._ZN9rocsparseL33bsr2csr_block_per_row_8_32_kernelILj1024ELj8EfliEEv20rocsparse_direction_T3_S2_21rocsparse_index_base_PKT1_PKT2_PKS2_S2_S3_PS4_PS7_PS2_,"axG",@progbits,_ZN9rocsparseL33bsr2csr_block_per_row_8_32_kernelILj1024ELj8EfliEEv20rocsparse_direction_T3_S2_21rocsparse_index_base_PKT1_PKT2_PKS2_S2_S3_PS4_PS7_PS2_,comdat
.Lfunc_end124:
	.size	_ZN9rocsparseL33bsr2csr_block_per_row_8_32_kernelILj1024ELj8EfliEEv20rocsparse_direction_T3_S2_21rocsparse_index_base_PKT1_PKT2_PKS2_S2_S3_PS4_PS7_PS2_, .Lfunc_end124-_ZN9rocsparseL33bsr2csr_block_per_row_8_32_kernelILj1024ELj8EfliEEv20rocsparse_direction_T3_S2_21rocsparse_index_base_PKT1_PKT2_PKS2_S2_S3_PS4_PS7_PS2_
                                        ; -- End function
	.set _ZN9rocsparseL33bsr2csr_block_per_row_8_32_kernelILj1024ELj8EfliEEv20rocsparse_direction_T3_S2_21rocsparse_index_base_PKT1_PKT2_PKS2_S2_S3_PS4_PS7_PS2_.num_vgpr, 17
	.set _ZN9rocsparseL33bsr2csr_block_per_row_8_32_kernelILj1024ELj8EfliEEv20rocsparse_direction_T3_S2_21rocsparse_index_base_PKT1_PKT2_PKS2_S2_S3_PS4_PS7_PS2_.num_agpr, 0
	.set _ZN9rocsparseL33bsr2csr_block_per_row_8_32_kernelILj1024ELj8EfliEEv20rocsparse_direction_T3_S2_21rocsparse_index_base_PKT1_PKT2_PKS2_S2_S3_PS4_PS7_PS2_.numbered_sgpr, 22
	.set _ZN9rocsparseL33bsr2csr_block_per_row_8_32_kernelILj1024ELj8EfliEEv20rocsparse_direction_T3_S2_21rocsparse_index_base_PKT1_PKT2_PKS2_S2_S3_PS4_PS7_PS2_.num_named_barrier, 0
	.set _ZN9rocsparseL33bsr2csr_block_per_row_8_32_kernelILj1024ELj8EfliEEv20rocsparse_direction_T3_S2_21rocsparse_index_base_PKT1_PKT2_PKS2_S2_S3_PS4_PS7_PS2_.private_seg_size, 0
	.set _ZN9rocsparseL33bsr2csr_block_per_row_8_32_kernelILj1024ELj8EfliEEv20rocsparse_direction_T3_S2_21rocsparse_index_base_PKT1_PKT2_PKS2_S2_S3_PS4_PS7_PS2_.uses_vcc, 1
	.set _ZN9rocsparseL33bsr2csr_block_per_row_8_32_kernelILj1024ELj8EfliEEv20rocsparse_direction_T3_S2_21rocsparse_index_base_PKT1_PKT2_PKS2_S2_S3_PS4_PS7_PS2_.uses_flat_scratch, 0
	.set _ZN9rocsparseL33bsr2csr_block_per_row_8_32_kernelILj1024ELj8EfliEEv20rocsparse_direction_T3_S2_21rocsparse_index_base_PKT1_PKT2_PKS2_S2_S3_PS4_PS7_PS2_.has_dyn_sized_stack, 0
	.set _ZN9rocsparseL33bsr2csr_block_per_row_8_32_kernelILj1024ELj8EfliEEv20rocsparse_direction_T3_S2_21rocsparse_index_base_PKT1_PKT2_PKS2_S2_S3_PS4_PS7_PS2_.has_recursion, 0
	.set _ZN9rocsparseL33bsr2csr_block_per_row_8_32_kernelILj1024ELj8EfliEEv20rocsparse_direction_T3_S2_21rocsparse_index_base_PKT1_PKT2_PKS2_S2_S3_PS4_PS7_PS2_.has_indirect_call, 0
	.section	.AMDGPU.csdata,"",@progbits
; Kernel info:
; codeLenInByte = 876
; TotalNumSgprs: 24
; NumVgprs: 17
; ScratchSize: 0
; MemoryBound: 0
; FloatMode: 240
; IeeeMode: 1
; LDSByteSize: 0 bytes/workgroup (compile time only)
; SGPRBlocks: 0
; VGPRBlocks: 2
; NumSGPRsForWavesPerEU: 24
; NumVGPRsForWavesPerEU: 17
; Occupancy: 16
; WaveLimiterHint : 0
; COMPUTE_PGM_RSRC2:SCRATCH_EN: 0
; COMPUTE_PGM_RSRC2:USER_SGPR: 6
; COMPUTE_PGM_RSRC2:TRAP_HANDLER: 0
; COMPUTE_PGM_RSRC2:TGID_X_EN: 1
; COMPUTE_PGM_RSRC2:TGID_Y_EN: 0
; COMPUTE_PGM_RSRC2:TGID_Z_EN: 0
; COMPUTE_PGM_RSRC2:TIDIG_COMP_CNT: 0
	.section	.text._ZN9rocsparseL33bsr2csr_block_per_row_8_32_kernelILj1024ELj16EfliEEv20rocsparse_direction_T3_S2_21rocsparse_index_base_PKT1_PKT2_PKS2_S2_S3_PS4_PS7_PS2_,"axG",@progbits,_ZN9rocsparseL33bsr2csr_block_per_row_8_32_kernelILj1024ELj16EfliEEv20rocsparse_direction_T3_S2_21rocsparse_index_base_PKT1_PKT2_PKS2_S2_S3_PS4_PS7_PS2_,comdat
	.globl	_ZN9rocsparseL33bsr2csr_block_per_row_8_32_kernelILj1024ELj16EfliEEv20rocsparse_direction_T3_S2_21rocsparse_index_base_PKT1_PKT2_PKS2_S2_S3_PS4_PS7_PS2_ ; -- Begin function _ZN9rocsparseL33bsr2csr_block_per_row_8_32_kernelILj1024ELj16EfliEEv20rocsparse_direction_T3_S2_21rocsparse_index_base_PKT1_PKT2_PKS2_S2_S3_PS4_PS7_PS2_
	.p2align	8
	.type	_ZN9rocsparseL33bsr2csr_block_per_row_8_32_kernelILj1024ELj16EfliEEv20rocsparse_direction_T3_S2_21rocsparse_index_base_PKT1_PKT2_PKS2_S2_S3_PS4_PS7_PS2_,@function
_ZN9rocsparseL33bsr2csr_block_per_row_8_32_kernelILj1024ELj16EfliEEv20rocsparse_direction_T3_S2_21rocsparse_index_base_PKT1_PKT2_PKS2_S2_S3_PS4_PS7_PS2_: ; @_ZN9rocsparseL33bsr2csr_block_per_row_8_32_kernelILj1024ELj16EfliEEv20rocsparse_direction_T3_S2_21rocsparse_index_base_PKT1_PKT2_PKS2_S2_S3_PS4_PS7_PS2_
; %bb.0:
	s_clause 0x2
	s_load_dwordx2 s[0:1], s[4:5], 0x18
	s_load_dwordx2 s[2:3], s[4:5], 0x28
	;; [unrolled: 1-line block ×3, first 2 shown]
	s_ashr_i32 s7, s6, 31
	v_or_b32_e32 v1, s6, v0
	s_lshl_b64 s[10:11], s[6:7], 3
	s_mov_b32 s7, exec_lo
	s_waitcnt lgkmcnt(0)
	s_add_u32 s0, s0, s10
	s_addc_u32 s1, s1, s11
	v_cmpx_eq_u32_e32 0, v1
	s_cbranch_execz .LBB125_2
; %bb.1:
	v_mov_b32_e32 v1, s3
	v_mov_b32_e32 v2, 0
	global_store_dwordx2 v2, v[1:2], s[8:9]
.LBB125_2:
	s_or_b32 exec_lo, exec_lo, s7
	v_and_b32_e32 v6, 15, v0
	v_bfe_u32 v2, v0, 4, 4
	s_mov_b32 s7, exec_lo
	v_max_i32_e32 v1, v2, v6
	v_cmpx_gt_i32_e64 s2, v1
	s_cbranch_execz .LBB125_6
; %bb.3:
	s_load_dwordx4 s[16:19], s[0:1], 0x0
	s_load_dword s14, s[4:5], 0xc
	s_mul_i32 s0, s2, s2
	v_mad_u64_u32 v[7:8], null, s2, s6, v[2:3]
	v_lshrrev_b32_e32 v4, 8, v0
	v_mov_b32_e32 v5, 0
	v_ashrrev_i32_e32 v8, 31, v7
	v_lshlrev_b64 v[7:8], 3, v[7:8]
	s_waitcnt lgkmcnt(0)
	s_sub_u32 s1, s16, s14
	s_subb_u32 s15, s17, 0
	s_mul_hi_u32 s11, s1, s0
	s_mul_i32 s12, s15, s0
	s_sub_u32 s6, s18, s14
	s_subb_u32 s7, s19, 0
	s_add_i32 s11, s11, s12
	s_sub_u32 s13, s6, s1
	s_subb_u32 s12, s7, s15
	s_mul_hi_u32 s16, s13, s2
	s_mul_i32 s17, s12, s2
	s_mul_i32 s18, s13, s2
	s_add_i32 s19, s16, s17
	s_mul_i32 s10, s1, s0
	s_add_u32 s16, s18, s3
	s_addc_u32 s17, s19, 0
	s_add_u32 s16, s16, s10
	s_addc_u32 s17, s17, s11
	v_add_co_u32 v0, s1, s1, v4
	v_mad_u64_u32 v[9:10], null, s18, v2, s[16:17]
	v_add_co_u32 v7, vcc_lo, s8, v7
	v_add_co_ci_u32_e64 v8, null, s9, v8, vcc_lo
	v_mov_b32_e32 v1, v10
	v_mad_u64_u32 v[10:11], null, s19, v2, v[1:2]
	v_add_co_ci_u32_e64 v1, null, s15, 0, s1
	s_mov_b32 s1, 0
	v_cmp_gt_i64_e32 vcc_lo, s[6:7], v[0:1]
	global_store_dwordx2 v[7:8], v[9:10], off offset:8
	s_and_b32 exec_lo, exec_lo, vcc_lo
	s_cbranch_execz .LBB125_6
; %bb.4:
	s_clause 0x3
	s_load_dwordx2 s[16:17], s[4:5], 0x10
	s_load_dwordx2 s[18:19], s[4:5], 0x20
	;; [unrolled: 1-line block ×3, first 2 shown]
	s_load_dword s15, s[4:5], 0x0
	v_mul_lo_u32 v7, s2, v6
	v_mov_b32_e32 v8, v5
	v_mad_u64_u32 v[11:12], null, v0, s0, 0
	v_mov_b32_e32 v10, v5
	v_mad_u64_u32 v[4:5], null, s13, v2, v[4:5]
	v_mul_lo_u32 v9, s2, v2
	v_lshlrev_b64 v[7:8], 2, v[7:8]
	v_lshlrev_b32_e32 v13, 2, v2
	s_mov_b32 s20, s2
	v_add_nc_u32_e32 v3, s3, v6
	s_load_dwordx2 s[4:5], s[4:5], 0x40
	s_mov_b32 s21, s1
	v_lshlrev_b64 v[9:10], 2, v[9:10]
	s_waitcnt lgkmcnt(0)
	v_add_co_u32 v7, vcc_lo, s16, v7
	v_add_co_ci_u32_e64 v8, null, s17, v8, vcc_lo
	s_cmp_eq_u32 s15, 0
	v_add_co_u32 v15, vcc_lo, v7, v13
	v_mov_b32_e32 v7, v12
	v_mad_u64_u32 v[13:14], null, v4, s20, s[10:11]
	v_mov_b32_e32 v4, v5
	v_add_co_ci_u32_e64 v16, null, 0, v8, vcc_lo
	v_mad_u64_u32 v[7:8], null, v1, s0, v[7:8]
	v_mad_u64_u32 v[4:5], null, s12, v2, v[4:5]
	v_add_co_u32 v9, vcc_lo, s16, v9
	v_lshlrev_b32_e32 v12, 2, v6
	v_mov_b32_e32 v2, v14
	v_add_co_ci_u32_e64 v10, null, s17, v10, vcc_lo
	v_add_co_u32 v8, vcc_lo, v9, v12
	v_mov_b32_e32 v12, v7
	v_mad_u64_u32 v[4:5], null, v4, s20, v[2:3]
	v_add_co_ci_u32_e64 v9, null, 0, v10, vcc_lo
	s_cselect_b32 vcc_lo, -1, 0
	s_lshl_b64 s[10:11], s[0:1], 4
	v_cndmask_b32_e32 v5, v15, v8, vcc_lo
	v_lshlrev_b64 v[7:8], 2, v[11:12]
	v_cndmask_b32_e32 v2, v16, v9, vcc_lo
	v_add_co_u32 v9, vcc_lo, v13, v6
	v_lshlrev_b64 v[11:12], 2, v[0:1]
	v_add_co_ci_u32_e64 v10, null, 0, v4, vcc_lo
	v_add_co_u32 v4, vcc_lo, v5, v7
	v_add_co_ci_u32_e64 v5, null, v2, v8, vcc_lo
	v_add_co_u32 v8, vcc_lo, s18, v11
	v_lshlrev_b64 v[6:7], 2, v[9:10]
	v_add_co_ci_u32_e64 v9, null, s19, v12, vcc_lo
	s_lshl_b64 s[12:13], s[20:21], 4
	s_inst_prefetch 0x1
	.p2align	6
.LBB125_5:                              ; =>This Inner Loop Header: Depth=1
	global_load_dword v2, v[8:9], off
	global_load_dword v16, v[4:5], off
	v_add_co_u32 v10, vcc_lo, s4, v6
	v_add_co_ci_u32_e64 v11, null, s5, v7, vcc_lo
	v_add_co_u32 v12, vcc_lo, s8, v6
	v_add_co_ci_u32_e64 v13, null, s9, v7, vcc_lo
	;; [unrolled: 2-line block ×5, first 2 shown]
	v_cmp_le_i64_e32 vcc_lo, s[6:7], v[0:1]
	v_add_co_u32 v8, s0, v8, 16
	v_add_co_ci_u32_e64 v9, null, 0, v9, s0
	s_or_b32 s1, vcc_lo, s1
	s_waitcnt vmcnt(1)
	v_subrev_nc_u32_e32 v2, s14, v2
	v_mad_u64_u32 v[14:15], null, v2, s2, v[3:4]
	s_waitcnt vmcnt(0)
	global_store_dword v[12:13], v16, off
	global_store_dword v[10:11], v14, off
	s_andn2_b32 exec_lo, exec_lo, s1
	s_cbranch_execnz .LBB125_5
.LBB125_6:
	s_inst_prefetch 0x2
	s_endpgm
	.section	.rodata,"a",@progbits
	.p2align	6, 0x0
	.amdhsa_kernel _ZN9rocsparseL33bsr2csr_block_per_row_8_32_kernelILj1024ELj16EfliEEv20rocsparse_direction_T3_S2_21rocsparse_index_base_PKT1_PKT2_PKS2_S2_S3_PS4_PS7_PS2_
		.amdhsa_group_segment_fixed_size 0
		.amdhsa_private_segment_fixed_size 0
		.amdhsa_kernarg_size 72
		.amdhsa_user_sgpr_count 6
		.amdhsa_user_sgpr_private_segment_buffer 1
		.amdhsa_user_sgpr_dispatch_ptr 0
		.amdhsa_user_sgpr_queue_ptr 0
		.amdhsa_user_sgpr_kernarg_segment_ptr 1
		.amdhsa_user_sgpr_dispatch_id 0
		.amdhsa_user_sgpr_flat_scratch_init 0
		.amdhsa_user_sgpr_private_segment_size 0
		.amdhsa_wavefront_size32 1
		.amdhsa_uses_dynamic_stack 0
		.amdhsa_system_sgpr_private_segment_wavefront_offset 0
		.amdhsa_system_sgpr_workgroup_id_x 1
		.amdhsa_system_sgpr_workgroup_id_y 0
		.amdhsa_system_sgpr_workgroup_id_z 0
		.amdhsa_system_sgpr_workgroup_info 0
		.amdhsa_system_vgpr_workitem_id 0
		.amdhsa_next_free_vgpr 17
		.amdhsa_next_free_sgpr 22
		.amdhsa_reserve_vcc 1
		.amdhsa_reserve_flat_scratch 0
		.amdhsa_float_round_mode_32 0
		.amdhsa_float_round_mode_16_64 0
		.amdhsa_float_denorm_mode_32 3
		.amdhsa_float_denorm_mode_16_64 3
		.amdhsa_dx10_clamp 1
		.amdhsa_ieee_mode 1
		.amdhsa_fp16_overflow 0
		.amdhsa_workgroup_processor_mode 1
		.amdhsa_memory_ordered 1
		.amdhsa_forward_progress 1
		.amdhsa_shared_vgpr_count 0
		.amdhsa_exception_fp_ieee_invalid_op 0
		.amdhsa_exception_fp_denorm_src 0
		.amdhsa_exception_fp_ieee_div_zero 0
		.amdhsa_exception_fp_ieee_overflow 0
		.amdhsa_exception_fp_ieee_underflow 0
		.amdhsa_exception_fp_ieee_inexact 0
		.amdhsa_exception_int_div_zero 0
	.end_amdhsa_kernel
	.section	.text._ZN9rocsparseL33bsr2csr_block_per_row_8_32_kernelILj1024ELj16EfliEEv20rocsparse_direction_T3_S2_21rocsparse_index_base_PKT1_PKT2_PKS2_S2_S3_PS4_PS7_PS2_,"axG",@progbits,_ZN9rocsparseL33bsr2csr_block_per_row_8_32_kernelILj1024ELj16EfliEEv20rocsparse_direction_T3_S2_21rocsparse_index_base_PKT1_PKT2_PKS2_S2_S3_PS4_PS7_PS2_,comdat
.Lfunc_end125:
	.size	_ZN9rocsparseL33bsr2csr_block_per_row_8_32_kernelILj1024ELj16EfliEEv20rocsparse_direction_T3_S2_21rocsparse_index_base_PKT1_PKT2_PKS2_S2_S3_PS4_PS7_PS2_, .Lfunc_end125-_ZN9rocsparseL33bsr2csr_block_per_row_8_32_kernelILj1024ELj16EfliEEv20rocsparse_direction_T3_S2_21rocsparse_index_base_PKT1_PKT2_PKS2_S2_S3_PS4_PS7_PS2_
                                        ; -- End function
	.set _ZN9rocsparseL33bsr2csr_block_per_row_8_32_kernelILj1024ELj16EfliEEv20rocsparse_direction_T3_S2_21rocsparse_index_base_PKT1_PKT2_PKS2_S2_S3_PS4_PS7_PS2_.num_vgpr, 17
	.set _ZN9rocsparseL33bsr2csr_block_per_row_8_32_kernelILj1024ELj16EfliEEv20rocsparse_direction_T3_S2_21rocsparse_index_base_PKT1_PKT2_PKS2_S2_S3_PS4_PS7_PS2_.num_agpr, 0
	.set _ZN9rocsparseL33bsr2csr_block_per_row_8_32_kernelILj1024ELj16EfliEEv20rocsparse_direction_T3_S2_21rocsparse_index_base_PKT1_PKT2_PKS2_S2_S3_PS4_PS7_PS2_.numbered_sgpr, 22
	.set _ZN9rocsparseL33bsr2csr_block_per_row_8_32_kernelILj1024ELj16EfliEEv20rocsparse_direction_T3_S2_21rocsparse_index_base_PKT1_PKT2_PKS2_S2_S3_PS4_PS7_PS2_.num_named_barrier, 0
	.set _ZN9rocsparseL33bsr2csr_block_per_row_8_32_kernelILj1024ELj16EfliEEv20rocsparse_direction_T3_S2_21rocsparse_index_base_PKT1_PKT2_PKS2_S2_S3_PS4_PS7_PS2_.private_seg_size, 0
	.set _ZN9rocsparseL33bsr2csr_block_per_row_8_32_kernelILj1024ELj16EfliEEv20rocsparse_direction_T3_S2_21rocsparse_index_base_PKT1_PKT2_PKS2_S2_S3_PS4_PS7_PS2_.uses_vcc, 1
	.set _ZN9rocsparseL33bsr2csr_block_per_row_8_32_kernelILj1024ELj16EfliEEv20rocsparse_direction_T3_S2_21rocsparse_index_base_PKT1_PKT2_PKS2_S2_S3_PS4_PS7_PS2_.uses_flat_scratch, 0
	.set _ZN9rocsparseL33bsr2csr_block_per_row_8_32_kernelILj1024ELj16EfliEEv20rocsparse_direction_T3_S2_21rocsparse_index_base_PKT1_PKT2_PKS2_S2_S3_PS4_PS7_PS2_.has_dyn_sized_stack, 0
	.set _ZN9rocsparseL33bsr2csr_block_per_row_8_32_kernelILj1024ELj16EfliEEv20rocsparse_direction_T3_S2_21rocsparse_index_base_PKT1_PKT2_PKS2_S2_S3_PS4_PS7_PS2_.has_recursion, 0
	.set _ZN9rocsparseL33bsr2csr_block_per_row_8_32_kernelILj1024ELj16EfliEEv20rocsparse_direction_T3_S2_21rocsparse_index_base_PKT1_PKT2_PKS2_S2_S3_PS4_PS7_PS2_.has_indirect_call, 0
	.section	.AMDGPU.csdata,"",@progbits
; Kernel info:
; codeLenInByte = 876
; TotalNumSgprs: 24
; NumVgprs: 17
; ScratchSize: 0
; MemoryBound: 0
; FloatMode: 240
; IeeeMode: 1
; LDSByteSize: 0 bytes/workgroup (compile time only)
; SGPRBlocks: 0
; VGPRBlocks: 2
; NumSGPRsForWavesPerEU: 24
; NumVGPRsForWavesPerEU: 17
; Occupancy: 16
; WaveLimiterHint : 0
; COMPUTE_PGM_RSRC2:SCRATCH_EN: 0
; COMPUTE_PGM_RSRC2:USER_SGPR: 6
; COMPUTE_PGM_RSRC2:TRAP_HANDLER: 0
; COMPUTE_PGM_RSRC2:TGID_X_EN: 1
; COMPUTE_PGM_RSRC2:TGID_Y_EN: 0
; COMPUTE_PGM_RSRC2:TGID_Z_EN: 0
; COMPUTE_PGM_RSRC2:TIDIG_COMP_CNT: 0
	.section	.text._ZN9rocsparseL33bsr2csr_block_per_row_8_32_kernelILj1024ELj32EfliEEv20rocsparse_direction_T3_S2_21rocsparse_index_base_PKT1_PKT2_PKS2_S2_S3_PS4_PS7_PS2_,"axG",@progbits,_ZN9rocsparseL33bsr2csr_block_per_row_8_32_kernelILj1024ELj32EfliEEv20rocsparse_direction_T3_S2_21rocsparse_index_base_PKT1_PKT2_PKS2_S2_S3_PS4_PS7_PS2_,comdat
	.globl	_ZN9rocsparseL33bsr2csr_block_per_row_8_32_kernelILj1024ELj32EfliEEv20rocsparse_direction_T3_S2_21rocsparse_index_base_PKT1_PKT2_PKS2_S2_S3_PS4_PS7_PS2_ ; -- Begin function _ZN9rocsparseL33bsr2csr_block_per_row_8_32_kernelILj1024ELj32EfliEEv20rocsparse_direction_T3_S2_21rocsparse_index_base_PKT1_PKT2_PKS2_S2_S3_PS4_PS7_PS2_
	.p2align	8
	.type	_ZN9rocsparseL33bsr2csr_block_per_row_8_32_kernelILj1024ELj32EfliEEv20rocsparse_direction_T3_S2_21rocsparse_index_base_PKT1_PKT2_PKS2_S2_S3_PS4_PS7_PS2_,@function
_ZN9rocsparseL33bsr2csr_block_per_row_8_32_kernelILj1024ELj32EfliEEv20rocsparse_direction_T3_S2_21rocsparse_index_base_PKT1_PKT2_PKS2_S2_S3_PS4_PS7_PS2_: ; @_ZN9rocsparseL33bsr2csr_block_per_row_8_32_kernelILj1024ELj32EfliEEv20rocsparse_direction_T3_S2_21rocsparse_index_base_PKT1_PKT2_PKS2_S2_S3_PS4_PS7_PS2_
; %bb.0:
	s_clause 0x2
	s_load_dwordx2 s[0:1], s[4:5], 0x18
	s_load_dwordx2 s[8:9], s[4:5], 0x28
	;; [unrolled: 1-line block ×3, first 2 shown]
	s_ashr_i32 s7, s6, 31
	v_or_b32_e32 v1, s6, v0
	s_lshl_b64 s[2:3], s[6:7], 3
	s_waitcnt lgkmcnt(0)
	s_add_u32 s0, s0, s2
	s_addc_u32 s1, s1, s3
	s_mov_b32 s2, exec_lo
	v_cmpx_eq_u32_e32 0, v1
	s_cbranch_execz .LBB126_2
; %bb.1:
	v_mov_b32_e32 v1, s9
	v_mov_b32_e32 v2, 0
	global_store_dwordx2 v2, v[1:2], s[14:15]
.LBB126_2:
	s_or_b32 exec_lo, exec_lo, s2
	v_and_b32_e32 v3, 31, v0
	v_lshrrev_b32_e32 v0, 5, v0
	s_mov_b32 s2, exec_lo
	v_max_i32_e32 v1, v0, v3
	v_cmpx_gt_i32_e64 s8, v1
	s_cbranch_execz .LBB126_6
; %bb.3:
	s_load_dwordx4 s[0:3], s[0:1], 0x0
	s_load_dword s10, s[4:5], 0xc
	v_mad_u64_u32 v[4:5], null, s8, s6, v[0:1]
	s_mul_i32 s16, s8, s8
	v_ashrrev_i32_e32 v5, 31, v4
	v_lshlrev_b64 v[4:5], 3, v[4:5]
	v_add_co_u32 v4, vcc_lo, s14, v4
	s_waitcnt lgkmcnt(0)
	s_sub_u32 s6, s0, s10
	s_subb_u32 s7, s1, 0
	s_mul_hi_u32 s11, s6, s16
	s_mul_i32 s17, s7, s16
	s_sub_u32 s12, s2, s10
	s_subb_u32 s13, s3, 0
	s_add_i32 s19, s11, s17
	s_sub_u32 s11, s12, s6
	s_mul_i32 s18, s6, s16
	s_mul_i32 s17, s11, s8
	s_subb_u32 s20, s13, s7
	v_mad_u64_u32 v[1:2], null, s17, v0, s[18:19]
	s_mul_hi_u32 s11, s11, s8
	s_mul_i32 s20, s20, s8
	v_cmp_ge_i64_e64 s2, s[0:1], s[2:3]
	s_add_i32 s11, s11, s20
	s_add_u32 s3, s17, s9
	v_add_co_ci_u32_e64 v5, null, s15, v5, vcc_lo
	v_mad_u64_u32 v[6:7], null, s11, v0, v[2:3]
	s_addc_u32 s11, s11, 0
	v_add_co_u32 v7, vcc_lo, s3, v1
	v_add_co_ci_u32_e64 v8, null, s11, v6, vcc_lo
	s_mov_b32 s11, 0
	s_and_b32 vcc_lo, exec_lo, s2
	global_store_dwordx2 v[4:5], v[7:8], off offset:8
	s_cbranch_vccnz .LBB126_6
; %bb.4:
	s_clause 0x1
	s_load_dwordx2 s[20:21], s[4:5], 0x10
	s_load_dwordx2 s[2:3], s[4:5], 0x40
	v_mul_lo_u32 v4, s8, v3
	v_mov_b32_e32 v5, 0
	v_mov_b32_e32 v2, v6
	s_clause 0x2
	s_load_dwordx2 s[24:25], s[4:5], 0x20
	s_load_dwordx2 s[14:15], s[4:5], 0x30
	s_load_dword s4, s[4:5], 0x0
	v_lshlrev_b32_e32 v8, 2, v3
	s_mov_b32 s17, s11
	s_mov_b32 s22, s8
	;; [unrolled: 1-line block ×3, first 2 shown]
	v_lshlrev_b64 v[6:7], 2, v[4:5]
	v_mul_lo_u32 v4, s8, v0
	v_lshlrev_b32_e32 v0, 2, v0
	v_lshlrev_b64 v[4:5], 2, v[4:5]
	s_waitcnt lgkmcnt(0)
	v_add_co_u32 v6, vcc_lo, s20, v6
	v_add_co_ci_u32_e64 v7, null, s21, v7, vcc_lo
	v_add_co_u32 v4, vcc_lo, s20, v4
	v_add_co_ci_u32_e64 v5, null, s21, v5, vcc_lo
	;; [unrolled: 2-line block ×4, first 2 shown]
	s_cmp_eq_u32 s4, 0
	v_add_nc_u32_e32 v0, s9, v3
	s_cselect_b32 vcc_lo, -1, 0
	s_lshl_b64 s[4:5], s[18:19], 2
	v_cndmask_b32_e32 v6, v6, v4, vcc_lo
	v_cndmask_b32_e32 v5, v7, v5, vcc_lo
	v_add_co_u32 v3, vcc_lo, v1, v3
	v_add_co_ci_u32_e64 v4, null, 0, v2, vcc_lo
	v_add_co_u32 v1, vcc_lo, v6, s4
	v_add_co_ci_u32_e64 v2, null, s5, v5, vcc_lo
	s_lshl_b64 s[4:5], s[16:17], 2
	s_lshl_b64 s[16:17], s[0:1], 2
	;; [unrolled: 1-line block ×3, first 2 shown]
	v_lshlrev_b64 v[3:4], 2, v[3:4]
	s_lshl_b64 s[0:1], s[22:23], 2
	s_sub_u32 s9, s16, s18
	s_subb_u32 s11, s17, s19
	s_add_u32 s16, s24, s9
	s_addc_u32 s17, s25, s11
	s_inst_prefetch 0x1
	.p2align	6
.LBB126_5:                              ; =>This Inner Loop Header: Depth=1
	global_load_dword v11, v[1:2], off
	s_load_dword s9, s[16:17], 0x0
	v_add_co_u32 v5, vcc_lo, s2, v3
	v_add_co_ci_u32_e64 v6, null, s3, v4, vcc_lo
	v_add_co_u32 v7, vcc_lo, s14, v3
	v_add_co_ci_u32_e64 v8, null, s15, v4, vcc_lo
	;; [unrolled: 2-line block ×4, first 2 shown]
	s_waitcnt lgkmcnt(0)
	s_sub_i32 s9, s9, s10
	s_add_u32 s6, s6, 1
	s_addc_u32 s7, s7, 0
	v_mad_u64_u32 v[9:10], null, s9, s8, v[0:1]
	v_cmp_lt_i64_e64 s11, s[6:7], s[12:13]
	s_add_u32 s16, s16, 4
	s_addc_u32 s17, s17, 0
	s_and_b32 vcc_lo, exec_lo, s11
	global_store_dword v[5:6], v9, off
	s_waitcnt vmcnt(0)
	global_store_dword v[7:8], v11, off
	s_cbranch_vccnz .LBB126_5
.LBB126_6:
	s_inst_prefetch 0x2
	s_endpgm
	.section	.rodata,"a",@progbits
	.p2align	6, 0x0
	.amdhsa_kernel _ZN9rocsparseL33bsr2csr_block_per_row_8_32_kernelILj1024ELj32EfliEEv20rocsparse_direction_T3_S2_21rocsparse_index_base_PKT1_PKT2_PKS2_S2_S3_PS4_PS7_PS2_
		.amdhsa_group_segment_fixed_size 0
		.amdhsa_private_segment_fixed_size 0
		.amdhsa_kernarg_size 72
		.amdhsa_user_sgpr_count 6
		.amdhsa_user_sgpr_private_segment_buffer 1
		.amdhsa_user_sgpr_dispatch_ptr 0
		.amdhsa_user_sgpr_queue_ptr 0
		.amdhsa_user_sgpr_kernarg_segment_ptr 1
		.amdhsa_user_sgpr_dispatch_id 0
		.amdhsa_user_sgpr_flat_scratch_init 0
		.amdhsa_user_sgpr_private_segment_size 0
		.amdhsa_wavefront_size32 1
		.amdhsa_uses_dynamic_stack 0
		.amdhsa_system_sgpr_private_segment_wavefront_offset 0
		.amdhsa_system_sgpr_workgroup_id_x 1
		.amdhsa_system_sgpr_workgroup_id_y 0
		.amdhsa_system_sgpr_workgroup_id_z 0
		.amdhsa_system_sgpr_workgroup_info 0
		.amdhsa_system_vgpr_workitem_id 0
		.amdhsa_next_free_vgpr 12
		.amdhsa_next_free_sgpr 26
		.amdhsa_reserve_vcc 1
		.amdhsa_reserve_flat_scratch 0
		.amdhsa_float_round_mode_32 0
		.amdhsa_float_round_mode_16_64 0
		.amdhsa_float_denorm_mode_32 3
		.amdhsa_float_denorm_mode_16_64 3
		.amdhsa_dx10_clamp 1
		.amdhsa_ieee_mode 1
		.amdhsa_fp16_overflow 0
		.amdhsa_workgroup_processor_mode 1
		.amdhsa_memory_ordered 1
		.amdhsa_forward_progress 1
		.amdhsa_shared_vgpr_count 0
		.amdhsa_exception_fp_ieee_invalid_op 0
		.amdhsa_exception_fp_denorm_src 0
		.amdhsa_exception_fp_ieee_div_zero 0
		.amdhsa_exception_fp_ieee_overflow 0
		.amdhsa_exception_fp_ieee_underflow 0
		.amdhsa_exception_fp_ieee_inexact 0
		.amdhsa_exception_int_div_zero 0
	.end_amdhsa_kernel
	.section	.text._ZN9rocsparseL33bsr2csr_block_per_row_8_32_kernelILj1024ELj32EfliEEv20rocsparse_direction_T3_S2_21rocsparse_index_base_PKT1_PKT2_PKS2_S2_S3_PS4_PS7_PS2_,"axG",@progbits,_ZN9rocsparseL33bsr2csr_block_per_row_8_32_kernelILj1024ELj32EfliEEv20rocsparse_direction_T3_S2_21rocsparse_index_base_PKT1_PKT2_PKS2_S2_S3_PS4_PS7_PS2_,comdat
.Lfunc_end126:
	.size	_ZN9rocsparseL33bsr2csr_block_per_row_8_32_kernelILj1024ELj32EfliEEv20rocsparse_direction_T3_S2_21rocsparse_index_base_PKT1_PKT2_PKS2_S2_S3_PS4_PS7_PS2_, .Lfunc_end126-_ZN9rocsparseL33bsr2csr_block_per_row_8_32_kernelILj1024ELj32EfliEEv20rocsparse_direction_T3_S2_21rocsparse_index_base_PKT1_PKT2_PKS2_S2_S3_PS4_PS7_PS2_
                                        ; -- End function
	.set _ZN9rocsparseL33bsr2csr_block_per_row_8_32_kernelILj1024ELj32EfliEEv20rocsparse_direction_T3_S2_21rocsparse_index_base_PKT1_PKT2_PKS2_S2_S3_PS4_PS7_PS2_.num_vgpr, 12
	.set _ZN9rocsparseL33bsr2csr_block_per_row_8_32_kernelILj1024ELj32EfliEEv20rocsparse_direction_T3_S2_21rocsparse_index_base_PKT1_PKT2_PKS2_S2_S3_PS4_PS7_PS2_.num_agpr, 0
	.set _ZN9rocsparseL33bsr2csr_block_per_row_8_32_kernelILj1024ELj32EfliEEv20rocsparse_direction_T3_S2_21rocsparse_index_base_PKT1_PKT2_PKS2_S2_S3_PS4_PS7_PS2_.numbered_sgpr, 26
	.set _ZN9rocsparseL33bsr2csr_block_per_row_8_32_kernelILj1024ELj32EfliEEv20rocsparse_direction_T3_S2_21rocsparse_index_base_PKT1_PKT2_PKS2_S2_S3_PS4_PS7_PS2_.num_named_barrier, 0
	.set _ZN9rocsparseL33bsr2csr_block_per_row_8_32_kernelILj1024ELj32EfliEEv20rocsparse_direction_T3_S2_21rocsparse_index_base_PKT1_PKT2_PKS2_S2_S3_PS4_PS7_PS2_.private_seg_size, 0
	.set _ZN9rocsparseL33bsr2csr_block_per_row_8_32_kernelILj1024ELj32EfliEEv20rocsparse_direction_T3_S2_21rocsparse_index_base_PKT1_PKT2_PKS2_S2_S3_PS4_PS7_PS2_.uses_vcc, 1
	.set _ZN9rocsparseL33bsr2csr_block_per_row_8_32_kernelILj1024ELj32EfliEEv20rocsparse_direction_T3_S2_21rocsparse_index_base_PKT1_PKT2_PKS2_S2_S3_PS4_PS7_PS2_.uses_flat_scratch, 0
	.set _ZN9rocsparseL33bsr2csr_block_per_row_8_32_kernelILj1024ELj32EfliEEv20rocsparse_direction_T3_S2_21rocsparse_index_base_PKT1_PKT2_PKS2_S2_S3_PS4_PS7_PS2_.has_dyn_sized_stack, 0
	.set _ZN9rocsparseL33bsr2csr_block_per_row_8_32_kernelILj1024ELj32EfliEEv20rocsparse_direction_T3_S2_21rocsparse_index_base_PKT1_PKT2_PKS2_S2_S3_PS4_PS7_PS2_.has_recursion, 0
	.set _ZN9rocsparseL33bsr2csr_block_per_row_8_32_kernelILj1024ELj32EfliEEv20rocsparse_direction_T3_S2_21rocsparse_index_base_PKT1_PKT2_PKS2_S2_S3_PS4_PS7_PS2_.has_indirect_call, 0
	.section	.AMDGPU.csdata,"",@progbits
; Kernel info:
; codeLenInByte = 732
; TotalNumSgprs: 28
; NumVgprs: 12
; ScratchSize: 0
; MemoryBound: 0
; FloatMode: 240
; IeeeMode: 1
; LDSByteSize: 0 bytes/workgroup (compile time only)
; SGPRBlocks: 0
; VGPRBlocks: 1
; NumSGPRsForWavesPerEU: 28
; NumVGPRsForWavesPerEU: 12
; Occupancy: 16
; WaveLimiterHint : 0
; COMPUTE_PGM_RSRC2:SCRATCH_EN: 0
; COMPUTE_PGM_RSRC2:USER_SGPR: 6
; COMPUTE_PGM_RSRC2:TRAP_HANDLER: 0
; COMPUTE_PGM_RSRC2:TGID_X_EN: 1
; COMPUTE_PGM_RSRC2:TGID_Y_EN: 0
; COMPUTE_PGM_RSRC2:TGID_Z_EN: 0
; COMPUTE_PGM_RSRC2:TIDIG_COMP_CNT: 0
	.section	.text._ZN9rocsparseL35bsr2csr_block_per_row_33_256_kernelILj1024ELj64ELj32EfliEEv20rocsparse_direction_T4_S2_21rocsparse_index_base_PKT2_PKT3_PKS2_S2_S3_PS4_PS7_PS2_,"axG",@progbits,_ZN9rocsparseL35bsr2csr_block_per_row_33_256_kernelILj1024ELj64ELj32EfliEEv20rocsparse_direction_T4_S2_21rocsparse_index_base_PKT2_PKT3_PKS2_S2_S3_PS4_PS7_PS2_,comdat
	.globl	_ZN9rocsparseL35bsr2csr_block_per_row_33_256_kernelILj1024ELj64ELj32EfliEEv20rocsparse_direction_T4_S2_21rocsparse_index_base_PKT2_PKT3_PKS2_S2_S3_PS4_PS7_PS2_ ; -- Begin function _ZN9rocsparseL35bsr2csr_block_per_row_33_256_kernelILj1024ELj64ELj32EfliEEv20rocsparse_direction_T4_S2_21rocsparse_index_base_PKT2_PKT3_PKS2_S2_S3_PS4_PS7_PS2_
	.p2align	8
	.type	_ZN9rocsparseL35bsr2csr_block_per_row_33_256_kernelILj1024ELj64ELj32EfliEEv20rocsparse_direction_T4_S2_21rocsparse_index_base_PKT2_PKT3_PKS2_S2_S3_PS4_PS7_PS2_,@function
_ZN9rocsparseL35bsr2csr_block_per_row_33_256_kernelILj1024ELj64ELj32EfliEEv20rocsparse_direction_T4_S2_21rocsparse_index_base_PKT2_PKT3_PKS2_S2_S3_PS4_PS7_PS2_: ; @_ZN9rocsparseL35bsr2csr_block_per_row_33_256_kernelILj1024ELj64ELj32EfliEEv20rocsparse_direction_T4_S2_21rocsparse_index_base_PKT2_PKT3_PKS2_S2_S3_PS4_PS7_PS2_
; %bb.0:
	s_load_dwordx2 s[0:1], s[4:5], 0x18
	s_ashr_i32 s7, s6, 31
	s_clause 0x1
	s_load_dwordx2 s[12:13], s[4:5], 0x28
	s_load_dwordx2 s[24:25], s[4:5], 0x38
	s_lshl_b64 s[2:3], s[6:7], 3
	v_or_b32_e32 v1, s6, v0
	s_mov_b32 s15, 0
	s_waitcnt lgkmcnt(0)
	s_add_u32 s0, s0, s2
	s_addc_u32 s1, s1, s3
	s_load_dwordx4 s[8:11], s[0:1], 0x0
	s_mov_b32 s0, exec_lo
	v_cmpx_eq_u32_e32 0, v1
	s_cbranch_execz .LBB127_2
; %bb.1:
	s_mov_b32 s14, s13
	v_mov_b32_e32 v3, 0
	v_mov_b32_e32 v1, s14
	;; [unrolled: 1-line block ×3, first 2 shown]
	global_store_dwordx2 v3, v[1:2], s[24:25]
.LBB127_2:
	s_or_b32 exec_lo, exec_lo, s0
	s_load_dword s14, s[4:5], 0xc
	s_mul_i32 s20, s12, s12
	v_lshrrev_b32_e32 v6, 5, v0
	v_cmp_gt_i32_e64 s1, s12, v6
	s_waitcnt lgkmcnt(0)
	s_sub_u32 s16, s8, s14
	s_subb_u32 s17, s9, 0
	s_mul_hi_u32 s0, s16, s20
	s_mul_i32 s2, s17, s20
	s_sub_u32 s18, s10, s14
	s_subb_u32 s19, s11, 0
	s_add_i32 s23, s0, s2
	s_sub_u32 s30, s18, s16
	s_subb_u32 s29, s19, s17
	s_mul_hi_u32 s0, s30, s12
	s_mul_i32 s2, s29, s12
	s_mul_i32 s22, s16, s20
	s_add_i32 s0, s0, s2
	s_mul_i32 s7, s30, s12
	s_add_u32 s2, s22, s13
	s_addc_u32 s3, s23, 0
	s_add_u32 s26, s2, s7
	s_addc_u32 s27, s3, s0
	s_mul_i32 s3, s12, s6
	s_and_saveexec_b32 s2, s1
	s_cbranch_execz .LBB127_4
; %bb.3:
	v_add_nc_u32_e32 v3, s3, v6
	v_mad_u64_u32 v[1:2], null, s7, v6, s[26:27]
	v_ashrrev_i32_e32 v4, 31, v3
	v_mad_u64_u32 v[7:8], null, s0, v6, v[2:3]
	v_lshlrev_b64 v[3:4], 3, v[3:4]
	v_add_co_u32 v3, vcc_lo, s24, v3
	v_mov_b32_e32 v2, v7
	v_add_co_ci_u32_e64 v4, null, s25, v4, vcc_lo
	global_store_dwordx2 v[3:4], v[1:2], off offset:8
.LBB127_4:
	s_or_b32 exec_lo, exec_lo, s2
	v_or_b32_e32 v8, 32, v6
	v_cmp_gt_i32_e64 s2, s12, v8
	s_and_saveexec_b32 s6, s2
	s_cbranch_execz .LBB127_6
; %bb.5:
	v_mad_u64_u32 v[1:2], null, s7, v8, s[26:27]
	s_ashr_i32 s7, s3, 31
	v_add_co_u32 v3, s3, v6, s3
	v_add_co_ci_u32_e64 v4, null, 0, s7, s3
	v_mad_u64_u32 v[9:10], null, s0, v8, v[2:3]
	v_lshlrev_b64 v[3:4], 3, v[3:4]
	v_add_co_u32 v3, vcc_lo, s24, v3
	v_mov_b32_e32 v2, v9
	v_add_co_ci_u32_e64 v4, null, s25, v4, vcc_lo
	global_store_dwordx2 v[3:4], v[1:2], off offset:264
.LBB127_6:
	s_or_b32 exec_lo, exec_lo, s6
	v_cmp_lt_i64_e64 s0, s[8:9], s[10:11]
	s_and_b32 vcc_lo, exec_lo, s0
	s_cbranch_vccz .LBB127_17
; %bb.7:
	s_clause 0x4
	s_load_dwordx2 s[6:7], s[4:5], 0x20
	s_load_dwordx2 s[10:11], s[4:5], 0x30
	s_load_dword s0, s[4:5], 0x0
	s_load_dwordx2 s[34:35], s[4:5], 0x10
	s_load_dwordx2 s[4:5], s[4:5], 0x40
	v_mad_u64_u32 v[13:14], null, v6, s30, 0
	s_mov_b32 s24, s12
	v_mul_lo_u32 v2, v6, s12
	v_and_b32_e32 v0, 31, v0
	v_mov_b32_e32 v3, 0
	v_lshlrev_b32_e32 v20, 2, v6
	s_mov_b32 s21, s15
	v_mad_u64_u32 v[15:16], null, v13, s24, 0
	v_mov_b32_e32 v7, v14
	v_mul_lo_u32 v9, v0, s12
	v_mov_b32_e32 v5, v3
	v_mov_b32_e32 v10, v3
	;; [unrolled: 1-line block ×3, first 2 shown]
	v_mad_u64_u32 v[13:14], null, v6, s29, v[7:8]
	s_waitcnt lgkmcnt(0)
	s_cmp_eq_u32 s0, 0
	v_mov_b32_e32 v7, v16
	s_cselect_b32 s0, -1, 0
	s_lshl_b32 s27, s12, 5
	v_mad_u64_u32 v[16:17], null, s30, v8, 0
	v_add_nc_u32_e32 v4, s27, v2
	v_mad_u64_u32 v[13:14], null, v13, s24, v[7:8]
	v_lshlrev_b64 v[2:3], 2, v[2:3]
	v_cmp_gt_i32_e32 vcc_lo, s12, v0
	v_lshlrev_b32_e32 v19, 2, v0
	v_lshlrev_b64 v[4:5], 2, v[4:5]
	v_add_nc_u32_e32 v11, s27, v9
	v_lshlrev_b64 v[9:10], 2, v[9:10]
	v_mov_b32_e32 v14, v17
	v_mad_u64_u32 v[17:18], null, v16, s24, 0
	s_and_b32 s26, s1, vcc_lo
	s_and_b32 s27, s2, vcc_lo
	v_add_co_u32 v2, vcc_lo, v2, v19
	v_mov_b32_e32 v16, v13
	v_add_co_ci_u32_e64 v3, null, 0, v3, vcc_lo
	v_add_co_u32 v4, vcc_lo, v4, v19
	v_add_co_ci_u32_e64 v5, null, 0, v5, vcc_lo
	v_add_co_u32 v6, vcc_lo, v20, v9
	v_mad_u64_u32 v[8:9], null, s29, v8, v[14:15]
	v_add_co_ci_u32_e64 v7, null, 0, v10, vcc_lo
	v_lshlrev_b64 v[9:10], 2, v[11:12]
	v_lshlrev_b64 v[12:13], 2, v[15:16]
	v_mov_b32_e32 v11, v18
	v_or_b32_e32 v1, 32, v0
	s_lshl_b64 s[36:37], s[22:23], 2
	s_mov_b32 s25, s15
	v_mad_u64_u32 v[14:15], null, v8, s24, v[11:12]
	v_add_co_u32 v8, vcc_lo, v20, v9
	v_add_co_ci_u32_e64 v9, null, 0, v10, vcc_lo
	v_add_co_u32 v20, vcc_lo, 0x80, v12
	v_mov_b32_e32 v18, v14
	v_add_co_ci_u32_e64 v21, null, 0, v13, vcc_lo
	v_cmp_gt_i32_e64 s3, s12, v1
	v_add_co_u32 v10, vcc_lo, s4, v20
	v_lshlrev_b64 v[16:17], 2, v[17:18]
	v_add_co_ci_u32_e64 v11, null, s5, v21, vcc_lo
	s_and_b32 s1, s1, s3
	s_and_b32 s28, s2, s3
	s_add_u32 s22, s34, s36
	v_add_co_u32 v14, vcc_lo, s10, v16
	v_add_co_ci_u32_e64 v15, null, s11, v17, vcc_lo
	v_add_co_u32 v16, vcc_lo, s4, v16
	s_addc_u32 s23, s35, s37
	s_lshl_b64 s[2:3], s[20:21], 2
	s_lshl_b64 s[8:9], s[8:9], 2
	;; [unrolled: 1-line block ×3, first 2 shown]
	v_add_co_u32 v12, s15, s36, v19
	v_add_co_ci_u32_e64 v17, null, s5, v17, vcc_lo
	v_add_co_u32 v18, vcc_lo, s10, v20
	s_sub_u32 s8, s8, s20
	v_add_co_ci_u32_e64 v13, null, s37, 0, s15
	v_add_co_ci_u32_e64 v19, null, s11, v21, vcc_lo
	s_subb_u32 s9, s9, s21
	s_add_u32 s4, s6, s8
	s_addc_u32 s5, s7, s9
	s_lshl_b64 s[6:7], s[24:25], 2
	s_branch .LBB127_9
.LBB127_8:                              ;   in Loop: Header=BB127_9 Depth=1
	s_or_b32 exec_lo, exec_lo, s8
	s_add_u32 s16, s16, 1
	s_addc_u32 s17, s17, 0
	v_add_co_u32 v12, vcc_lo, v12, s6
	v_cmp_ge_i64_e64 s8, s[16:17], s[18:19]
	s_add_u32 s22, s22, s2
	v_add_co_ci_u32_e64 v13, null, s7, v13, vcc_lo
	s_addc_u32 s23, s23, s3
	s_add_u32 s4, s4, 4
	s_addc_u32 s5, s5, 0
	s_and_b32 vcc_lo, exec_lo, s8
	s_cbranch_vccnz .LBB127_17
.LBB127_9:                              ; =>This Inner Loop Header: Depth=1
	s_load_dword s8, s[4:5], 0x0
	s_waitcnt lgkmcnt(0)
	s_sub_i32 s8, s8, s14
	s_mul_i32 s8, s8, s12
	s_add_i32 s8, s8, s13
	v_add_nc_u32_e32 v20, s8, v0
	s_and_saveexec_b32 s9, s26
	s_cbranch_execnz .LBB127_13
; %bb.10:                               ;   in Loop: Header=BB127_9 Depth=1
	s_or_b32 exec_lo, exec_lo, s9
	v_add_nc_u32_e32 v21, s8, v1
	s_and_saveexec_b32 s8, s1
	s_cbranch_execnz .LBB127_14
.LBB127_11:                             ;   in Loop: Header=BB127_9 Depth=1
	s_or_b32 exec_lo, exec_lo, s8
	s_and_saveexec_b32 s8, s27
	s_cbranch_execnz .LBB127_15
.LBB127_12:                             ;   in Loop: Header=BB127_9 Depth=1
	s_or_b32 exec_lo, exec_lo, s8
	s_and_saveexec_b32 s8, s28
	s_cbranch_execz .LBB127_8
	s_branch .LBB127_16
.LBB127_13:                             ;   in Loop: Header=BB127_9 Depth=1
	v_add_co_u32 v21, vcc_lo, s22, v2
	v_add_co_ci_u32_e64 v22, null, s23, v3, vcc_lo
	v_add_co_u32 v23, vcc_lo, s22, v6
	v_add_co_ci_u32_e64 v24, null, s23, v7, vcc_lo
	v_cndmask_b32_e64 v21, v23, v21, s0
	v_cndmask_b32_e64 v22, v24, v22, s0
	global_load_dword v25, v[21:22], off
	v_add_co_u32 v21, vcc_lo, v10, v12
	v_add_co_ci_u32_e64 v22, null, v11, v13, vcc_lo
	v_add_co_u32 v23, vcc_lo, v18, v12
	v_add_co_ci_u32_e64 v24, null, v19, v13, vcc_lo
	global_store_dword v[21:22], v20, off offset:-128
	s_waitcnt vmcnt(0)
	global_store_dword v[23:24], v25, off offset:-128
	s_or_b32 exec_lo, exec_lo, s9
	v_add_nc_u32_e32 v21, s8, v1
	s_and_saveexec_b32 s8, s1
	s_cbranch_execz .LBB127_11
.LBB127_14:                             ;   in Loop: Header=BB127_9 Depth=1
	v_add_co_u32 v22, vcc_lo, s22, v2
	v_add_co_ci_u32_e64 v23, null, s23, v3, vcc_lo
	v_add_co_u32 v22, vcc_lo, 0x80, v22
	v_add_co_ci_u32_e64 v23, null, 0, v23, vcc_lo
	v_add_co_u32 v24, vcc_lo, s22, v8
	v_add_co_ci_u32_e64 v25, null, s23, v9, vcc_lo
	v_cndmask_b32_e64 v22, v24, v22, s0
	v_cndmask_b32_e64 v23, v25, v23, s0
	global_load_dword v26, v[22:23], off
	v_add_co_u32 v22, vcc_lo, v10, v12
	v_add_co_ci_u32_e64 v23, null, v11, v13, vcc_lo
	v_add_co_u32 v24, vcc_lo, v18, v12
	v_add_co_ci_u32_e64 v25, null, v19, v13, vcc_lo
	global_store_dword v[22:23], v21, off
	s_waitcnt vmcnt(0)
	global_store_dword v[24:25], v26, off
	s_or_b32 exec_lo, exec_lo, s8
	s_and_saveexec_b32 s8, s27
	s_cbranch_execz .LBB127_12
.LBB127_15:                             ;   in Loop: Header=BB127_9 Depth=1
	v_add_co_u32 v22, vcc_lo, s22, v6
	v_add_co_ci_u32_e64 v23, null, s23, v7, vcc_lo
	v_add_co_u32 v24, vcc_lo, s22, v4
	v_add_co_ci_u32_e64 v25, null, s23, v5, vcc_lo
	;; [unrolled: 2-line block ×3, first 2 shown]
	v_cndmask_b32_e64 v22, v22, v24, s0
	v_cndmask_b32_e64 v23, v23, v25, s0
	global_load_dword v26, v[22:23], off
	v_add_co_u32 v22, vcc_lo, v16, v12
	v_add_co_ci_u32_e64 v23, null, v17, v13, vcc_lo
	v_add_co_u32 v24, vcc_lo, v14, v12
	v_add_co_ci_u32_e64 v25, null, v15, v13, vcc_lo
	global_store_dword v[22:23], v20, off
	s_waitcnt vmcnt(0)
	global_store_dword v[24:25], v26, off
	s_or_b32 exec_lo, exec_lo, s8
	s_and_saveexec_b32 s8, s28
	s_cbranch_execz .LBB127_8
.LBB127_16:                             ;   in Loop: Header=BB127_9 Depth=1
	v_add_co_u32 v20, vcc_lo, s22, v4
	v_add_co_ci_u32_e64 v22, null, s23, v5, vcc_lo
	v_add_co_u32 v24, vcc_lo, s22, v8
	v_add_co_ci_u32_e64 v23, null, s23, v9, vcc_lo
	v_cndmask_b32_e64 v23, v23, v22, s0
	v_cndmask_b32_e64 v22, v24, v20, s0
	global_load_dword v20, v[22:23], off offset:128
	v_add_co_u32 v22, vcc_lo, v16, v12
	v_add_co_ci_u32_e64 v23, null, v17, v13, vcc_lo
	v_add_co_u32 v24, vcc_lo, v14, v12
	v_add_co_ci_u32_e64 v25, null, v15, v13, vcc_lo
	global_store_dword v[22:23], v21, off offset:128
	s_waitcnt vmcnt(0)
	global_store_dword v[24:25], v20, off offset:128
	s_branch .LBB127_8
.LBB127_17:
	s_endpgm
	.section	.rodata,"a",@progbits
	.p2align	6, 0x0
	.amdhsa_kernel _ZN9rocsparseL35bsr2csr_block_per_row_33_256_kernelILj1024ELj64ELj32EfliEEv20rocsparse_direction_T4_S2_21rocsparse_index_base_PKT2_PKT3_PKS2_S2_S3_PS4_PS7_PS2_
		.amdhsa_group_segment_fixed_size 0
		.amdhsa_private_segment_fixed_size 0
		.amdhsa_kernarg_size 72
		.amdhsa_user_sgpr_count 6
		.amdhsa_user_sgpr_private_segment_buffer 1
		.amdhsa_user_sgpr_dispatch_ptr 0
		.amdhsa_user_sgpr_queue_ptr 0
		.amdhsa_user_sgpr_kernarg_segment_ptr 1
		.amdhsa_user_sgpr_dispatch_id 0
		.amdhsa_user_sgpr_flat_scratch_init 0
		.amdhsa_user_sgpr_private_segment_size 0
		.amdhsa_wavefront_size32 1
		.amdhsa_uses_dynamic_stack 0
		.amdhsa_system_sgpr_private_segment_wavefront_offset 0
		.amdhsa_system_sgpr_workgroup_id_x 1
		.amdhsa_system_sgpr_workgroup_id_y 0
		.amdhsa_system_sgpr_workgroup_id_z 0
		.amdhsa_system_sgpr_workgroup_info 0
		.amdhsa_system_vgpr_workitem_id 0
		.amdhsa_next_free_vgpr 27
		.amdhsa_next_free_sgpr 38
		.amdhsa_reserve_vcc 1
		.amdhsa_reserve_flat_scratch 0
		.amdhsa_float_round_mode_32 0
		.amdhsa_float_round_mode_16_64 0
		.amdhsa_float_denorm_mode_32 3
		.amdhsa_float_denorm_mode_16_64 3
		.amdhsa_dx10_clamp 1
		.amdhsa_ieee_mode 1
		.amdhsa_fp16_overflow 0
		.amdhsa_workgroup_processor_mode 1
		.amdhsa_memory_ordered 1
		.amdhsa_forward_progress 1
		.amdhsa_shared_vgpr_count 0
		.amdhsa_exception_fp_ieee_invalid_op 0
		.amdhsa_exception_fp_denorm_src 0
		.amdhsa_exception_fp_ieee_div_zero 0
		.amdhsa_exception_fp_ieee_overflow 0
		.amdhsa_exception_fp_ieee_underflow 0
		.amdhsa_exception_fp_ieee_inexact 0
		.amdhsa_exception_int_div_zero 0
	.end_amdhsa_kernel
	.section	.text._ZN9rocsparseL35bsr2csr_block_per_row_33_256_kernelILj1024ELj64ELj32EfliEEv20rocsparse_direction_T4_S2_21rocsparse_index_base_PKT2_PKT3_PKS2_S2_S3_PS4_PS7_PS2_,"axG",@progbits,_ZN9rocsparseL35bsr2csr_block_per_row_33_256_kernelILj1024ELj64ELj32EfliEEv20rocsparse_direction_T4_S2_21rocsparse_index_base_PKT2_PKT3_PKS2_S2_S3_PS4_PS7_PS2_,comdat
.Lfunc_end127:
	.size	_ZN9rocsparseL35bsr2csr_block_per_row_33_256_kernelILj1024ELj64ELj32EfliEEv20rocsparse_direction_T4_S2_21rocsparse_index_base_PKT2_PKT3_PKS2_S2_S3_PS4_PS7_PS2_, .Lfunc_end127-_ZN9rocsparseL35bsr2csr_block_per_row_33_256_kernelILj1024ELj64ELj32EfliEEv20rocsparse_direction_T4_S2_21rocsparse_index_base_PKT2_PKT3_PKS2_S2_S3_PS4_PS7_PS2_
                                        ; -- End function
	.set _ZN9rocsparseL35bsr2csr_block_per_row_33_256_kernelILj1024ELj64ELj32EfliEEv20rocsparse_direction_T4_S2_21rocsparse_index_base_PKT2_PKT3_PKS2_S2_S3_PS4_PS7_PS2_.num_vgpr, 27
	.set _ZN9rocsparseL35bsr2csr_block_per_row_33_256_kernelILj1024ELj64ELj32EfliEEv20rocsparse_direction_T4_S2_21rocsparse_index_base_PKT2_PKT3_PKS2_S2_S3_PS4_PS7_PS2_.num_agpr, 0
	.set _ZN9rocsparseL35bsr2csr_block_per_row_33_256_kernelILj1024ELj64ELj32EfliEEv20rocsparse_direction_T4_S2_21rocsparse_index_base_PKT2_PKT3_PKS2_S2_S3_PS4_PS7_PS2_.numbered_sgpr, 38
	.set _ZN9rocsparseL35bsr2csr_block_per_row_33_256_kernelILj1024ELj64ELj32EfliEEv20rocsparse_direction_T4_S2_21rocsparse_index_base_PKT2_PKT3_PKS2_S2_S3_PS4_PS7_PS2_.num_named_barrier, 0
	.set _ZN9rocsparseL35bsr2csr_block_per_row_33_256_kernelILj1024ELj64ELj32EfliEEv20rocsparse_direction_T4_S2_21rocsparse_index_base_PKT2_PKT3_PKS2_S2_S3_PS4_PS7_PS2_.private_seg_size, 0
	.set _ZN9rocsparseL35bsr2csr_block_per_row_33_256_kernelILj1024ELj64ELj32EfliEEv20rocsparse_direction_T4_S2_21rocsparse_index_base_PKT2_PKT3_PKS2_S2_S3_PS4_PS7_PS2_.uses_vcc, 1
	.set _ZN9rocsparseL35bsr2csr_block_per_row_33_256_kernelILj1024ELj64ELj32EfliEEv20rocsparse_direction_T4_S2_21rocsparse_index_base_PKT2_PKT3_PKS2_S2_S3_PS4_PS7_PS2_.uses_flat_scratch, 0
	.set _ZN9rocsparseL35bsr2csr_block_per_row_33_256_kernelILj1024ELj64ELj32EfliEEv20rocsparse_direction_T4_S2_21rocsparse_index_base_PKT2_PKT3_PKS2_S2_S3_PS4_PS7_PS2_.has_dyn_sized_stack, 0
	.set _ZN9rocsparseL35bsr2csr_block_per_row_33_256_kernelILj1024ELj64ELj32EfliEEv20rocsparse_direction_T4_S2_21rocsparse_index_base_PKT2_PKT3_PKS2_S2_S3_PS4_PS7_PS2_.has_recursion, 0
	.set _ZN9rocsparseL35bsr2csr_block_per_row_33_256_kernelILj1024ELj64ELj32EfliEEv20rocsparse_direction_T4_S2_21rocsparse_index_base_PKT2_PKT3_PKS2_S2_S3_PS4_PS7_PS2_.has_indirect_call, 0
	.section	.AMDGPU.csdata,"",@progbits
; Kernel info:
; codeLenInByte = 1556
; TotalNumSgprs: 40
; NumVgprs: 27
; ScratchSize: 0
; MemoryBound: 0
; FloatMode: 240
; IeeeMode: 1
; LDSByteSize: 0 bytes/workgroup (compile time only)
; SGPRBlocks: 0
; VGPRBlocks: 3
; NumSGPRsForWavesPerEU: 40
; NumVGPRsForWavesPerEU: 27
; Occupancy: 16
; WaveLimiterHint : 1
; COMPUTE_PGM_RSRC2:SCRATCH_EN: 0
; COMPUTE_PGM_RSRC2:USER_SGPR: 6
; COMPUTE_PGM_RSRC2:TRAP_HANDLER: 0
; COMPUTE_PGM_RSRC2:TGID_X_EN: 1
; COMPUTE_PGM_RSRC2:TGID_Y_EN: 0
; COMPUTE_PGM_RSRC2:TGID_Z_EN: 0
; COMPUTE_PGM_RSRC2:TIDIG_COMP_CNT: 0
	.section	.text._ZN9rocsparseL35bsr2csr_block_per_row_33_256_kernelILj1024ELj128ELj32EfliEEv20rocsparse_direction_T4_S2_21rocsparse_index_base_PKT2_PKT3_PKS2_S2_S3_PS4_PS7_PS2_,"axG",@progbits,_ZN9rocsparseL35bsr2csr_block_per_row_33_256_kernelILj1024ELj128ELj32EfliEEv20rocsparse_direction_T4_S2_21rocsparse_index_base_PKT2_PKT3_PKS2_S2_S3_PS4_PS7_PS2_,comdat
	.globl	_ZN9rocsparseL35bsr2csr_block_per_row_33_256_kernelILj1024ELj128ELj32EfliEEv20rocsparse_direction_T4_S2_21rocsparse_index_base_PKT2_PKT3_PKS2_S2_S3_PS4_PS7_PS2_ ; -- Begin function _ZN9rocsparseL35bsr2csr_block_per_row_33_256_kernelILj1024ELj128ELj32EfliEEv20rocsparse_direction_T4_S2_21rocsparse_index_base_PKT2_PKT3_PKS2_S2_S3_PS4_PS7_PS2_
	.p2align	8
	.type	_ZN9rocsparseL35bsr2csr_block_per_row_33_256_kernelILj1024ELj128ELj32EfliEEv20rocsparse_direction_T4_S2_21rocsparse_index_base_PKT2_PKT3_PKS2_S2_S3_PS4_PS7_PS2_,@function
_ZN9rocsparseL35bsr2csr_block_per_row_33_256_kernelILj1024ELj128ELj32EfliEEv20rocsparse_direction_T4_S2_21rocsparse_index_base_PKT2_PKT3_PKS2_S2_S3_PS4_PS7_PS2_: ; @_ZN9rocsparseL35bsr2csr_block_per_row_33_256_kernelILj1024ELj128ELj32EfliEEv20rocsparse_direction_T4_S2_21rocsparse_index_base_PKT2_PKT3_PKS2_S2_S3_PS4_PS7_PS2_
; %bb.0:
	s_load_dwordx2 s[0:1], s[4:5], 0x18
	s_ashr_i32 s7, s6, 31
	s_clause 0x1
	s_load_dwordx2 s[12:13], s[4:5], 0x28
	s_load_dwordx2 s[24:25], s[4:5], 0x38
	s_lshl_b64 s[2:3], s[6:7], 3
	v_or_b32_e32 v1, s6, v0
	s_mov_b32 s15, 0
	s_waitcnt lgkmcnt(0)
	s_add_u32 s0, s0, s2
	s_addc_u32 s1, s1, s3
	s_load_dwordx4 s[8:11], s[0:1], 0x0
	s_mov_b32 s0, exec_lo
	v_cmpx_eq_u32_e32 0, v1
	s_cbranch_execz .LBB128_2
; %bb.1:
	s_mov_b32 s14, s13
	v_mov_b32_e32 v3, 0
	v_mov_b32_e32 v1, s14
	;; [unrolled: 1-line block ×3, first 2 shown]
	global_store_dwordx2 v3, v[1:2], s[24:25]
.LBB128_2:
	s_or_b32 exec_lo, exec_lo, s0
	s_load_dword s14, s[4:5], 0xc
	s_mul_i32 s22, s12, s12
	v_lshrrev_b32_e32 v18, 5, v0
	s_mul_i32 s7, s12, s6
	v_cmp_gt_i32_e64 s1, s12, v18
	s_waitcnt lgkmcnt(0)
	s_sub_u32 s16, s8, s14
	s_subb_u32 s17, s9, 0
	s_mul_hi_u32 s0, s16, s22
	s_mul_i32 s2, s17, s22
	s_sub_u32 s18, s10, s14
	s_subb_u32 s19, s11, 0
	s_add_i32 s21, s0, s2
	s_sub_u32 s49, s18, s16
	s_subb_u32 s48, s19, s17
	s_mul_hi_u32 s0, s49, s12
	s_mul_i32 s2, s48, s12
	s_mul_i32 s20, s16, s22
	s_add_i32 s0, s0, s2
	s_mul_i32 s23, s49, s12
	s_add_u32 s2, s20, s13
	s_addc_u32 s3, s21, 0
	s_add_u32 s26, s2, s23
	s_addc_u32 s27, s3, s0
	s_and_saveexec_b32 s2, s1
	s_cbranch_execz .LBB128_4
; %bb.3:
	v_add_nc_u32_e32 v3, s7, v18
	v_mad_u64_u32 v[1:2], null, s23, v18, s[26:27]
	v_ashrrev_i32_e32 v4, 31, v3
	v_mad_u64_u32 v[5:6], null, s0, v18, v[2:3]
	v_lshlrev_b64 v[3:4], 3, v[3:4]
	v_add_co_u32 v3, vcc_lo, s24, v3
	v_mov_b32_e32 v2, v5
	v_add_co_ci_u32_e64 v4, null, s25, v4, vcc_lo
	global_store_dwordx2 v[3:4], v[1:2], off offset:8
.LBB128_4:
	s_or_b32 exec_lo, exec_lo, s2
	v_or_b32_e32 v22, 32, v18
	v_cmp_gt_i32_e64 s2, s12, v22
	s_and_saveexec_b32 s3, s2
	s_cbranch_execz .LBB128_6
; %bb.5:
	v_mad_u64_u32 v[1:2], null, s23, v22, s[26:27]
	s_ashr_i32 s6, s7, 31
	v_add_co_u32 v3, s28, v18, s7
	v_add_co_ci_u32_e64 v4, null, 0, s6, s28
	v_mad_u64_u32 v[5:6], null, s0, v22, v[2:3]
	v_lshlrev_b64 v[3:4], 3, v[3:4]
	v_add_co_u32 v3, vcc_lo, s24, v3
	v_mov_b32_e32 v2, v5
	v_add_co_ci_u32_e64 v4, null, s25, v4, vcc_lo
	global_store_dwordx2 v[3:4], v[1:2], off offset:264
.LBB128_6:
	s_or_b32 exec_lo, exec_lo, s3
	v_or_b32_e32 v24, 64, v18
	v_cmp_gt_i32_e64 s3, s12, v24
	s_and_saveexec_b32 s6, s3
	s_cbranch_execz .LBB128_8
; %bb.7:
	v_mad_u64_u32 v[1:2], null, s23, v24, s[26:27]
	s_ashr_i32 s28, s7, 31
	v_add_co_u32 v3, s29, v18, s7
	v_add_co_ci_u32_e64 v4, null, 0, s28, s29
	v_mad_u64_u32 v[5:6], null, s0, v24, v[2:3]
	v_lshlrev_b64 v[3:4], 3, v[3:4]
	v_add_co_u32 v3, vcc_lo, s24, v3
	v_mov_b32_e32 v2, v5
	v_add_co_ci_u32_e64 v4, null, s25, v4, vcc_lo
	global_store_dwordx2 v[3:4], v[1:2], off offset:520
.LBB128_8:
	;; [unrolled: 17-line block ×3, first 2 shown]
	s_or_b32 exec_lo, exec_lo, s28
	v_cmp_lt_i64_e64 s0, s[8:9], s[10:11]
	s_and_b32 vcc_lo, exec_lo, s0
	s_cbranch_vccz .LBB128_45
; %bb.11:
	s_clause 0x4
	s_load_dwordx2 s[10:11], s[4:5], 0x20
	s_load_dwordx2 s[24:25], s[4:5], 0x30
	s_load_dword s0, s[4:5], 0x0
	s_load_dwordx2 s[46:47], s[4:5], 0x10
	s_load_dwordx2 s[28:29], s[4:5], 0x40
	v_and_b32_e32 v0, 31, v0
	v_mul_lo_u32 v4, v18, s12
	v_mov_b32_e32 v5, 0
	v_lshlrev_b32_e32 v21, 2, v18
	v_mad_u64_u32 v[29:30], null, v18, s49, 0
	v_mul_lo_u32 v10, v0, s12
	v_mov_b32_e32 v7, v5
	v_mov_b32_e32 v9, v5
	;; [unrolled: 1-line block ×7, first 2 shown]
	v_cmp_gt_i32_e32 vcc_lo, s12, v0
	v_lshlrev_b32_e32 v19, 2, v0
	v_lshlrev_b64 v[27:28], 2, v[10:11]
	s_waitcnt lgkmcnt(0)
	s_cmp_eq_u32 s0, 0
	s_mov_b32 s26, s12
	s_cselect_b32 s0, -1, 0
	s_lshl_b32 s42, s12, 5
	s_and_b32 s30, s1, vcc_lo
	v_add_nc_u32_e32 v6, s42, v4
	v_add_nc_u32_e32 v12, s42, v10
	v_lshlrev_b64 v[4:5], 2, v[4:5]
	s_and_b32 s34, s2, vcc_lo
	s_and_b32 s38, s3, vcc_lo
	v_add_nc_u32_e32 v8, s42, v6
	v_add_nc_u32_e32 v14, s42, v12
	v_lshlrev_b64 v[6:7], 2, v[6:7]
	v_or_b32_e32 v1, 32, v0
	v_or_b32_e32 v2, 64, v0
	v_add_nc_u32_e32 v16, s42, v8
	v_lshlrev_b64 v[8:9], 2, v[8:9]
	v_add_nc_u32_e32 v25, s42, v14
	s_and_b32 s42, s6, vcc_lo
	v_add_co_u32 v4, vcc_lo, v4, v19
	v_lshlrev_b64 v[16:17], 2, v[16:17]
	v_add_co_ci_u32_e64 v5, null, 0, v5, vcc_lo
	v_add_co_u32 v6, vcc_lo, v6, v19
	v_add_co_ci_u32_e64 v7, null, 0, v7, vcc_lo
	v_add_co_u32 v8, vcc_lo, v8, v19
	;; [unrolled: 2-line block ×3, first 2 shown]
	v_add_co_ci_u32_e64 v11, null, 0, v17, vcc_lo
	v_lshlrev_b64 v[16:17], 2, v[12:13]
	v_add_co_u32 v12, vcc_lo, v21, v27
	v_add_co_ci_u32_e64 v13, null, 0, v28, vcc_lo
	v_lshlrev_b64 v[27:28], 2, v[14:15]
	v_add_co_u32 v14, vcc_lo, v21, v16
	v_add_co_ci_u32_e64 v15, null, 0, v17, vcc_lo
	v_mov_b32_e32 v19, v30
	v_add_co_u32 v16, vcc_lo, v21, v27
	v_add_co_ci_u32_e64 v17, null, 0, v28, vcc_lo
	v_mad_u64_u32 v[27:28], null, v29, s26, s[20:21]
	v_lshlrev_b64 v[25:26], 2, v[25:26]
	v_mad_u64_u32 v[29:30], null, v18, s48, v[19:20]
	v_mad_u64_u32 v[30:31], null, s49, v20, 0
	v_or_b32_e32 v3, 0x60, v0
	v_add_co_u32 v18, vcc_lo, v21, v25
	v_mov_b32_e32 v21, v28
	v_add_co_ci_u32_e64 v19, null, 0, v26, vcc_lo
	v_mov_b32_e32 v23, v31
	v_cmp_gt_i32_e64 s4, s12, v1
	v_mad_u64_u32 v[25:26], null, v29, s26, v[21:22]
	v_mad_u64_u32 v[28:29], null, v30, s26, s[20:21]
	;; [unrolled: 1-line block ×3, first 2 shown]
	v_add_co_u32 v26, vcc_lo, v27, v0
	v_add_co_ci_u32_e64 v27, null, 0, v25, vcc_lo
	v_mov_b32_e32 v21, v29
	v_cmp_gt_i32_e64 s5, s12, v2
	v_cmp_gt_i32_e64 s7, s12, v3
	v_lshlrev_b64 v[25:26], 2, v[26:27]
	s_and_b32 s35, s2, s4
	v_mad_u64_u32 v[29:30], null, v20, s26, v[21:22]
	v_mad_u64_u32 v[30:31], null, s49, v22, 0
	v_add_co_u32 v20, vcc_lo, s28, v25
	v_add_co_ci_u32_e64 v21, null, s29, v26, vcc_lo
	v_add_co_u32 v27, vcc_lo, v28, v0
	v_add_co_ci_u32_e64 v28, null, 0, v29, vcc_lo
	v_mov_b32_e32 v23, v31
	v_mad_u64_u32 v[29:30], null, v30, s26, s[20:21]
	v_mad_u64_u32 v[31:32], null, s49, v24, 0
	;; [unrolled: 1-line block ×3, first 2 shown]
	v_add_co_u32 v22, vcc_lo, s24, v25
	v_add_co_ci_u32_e64 v23, null, s25, v26, vcc_lo
	v_lshlrev_b64 v[26:27], 2, v[27:28]
	v_mov_b32_e32 v25, v30
	v_mov_b32_e32 v28, v32
	v_mad_u64_u32 v[30:31], null, v31, s26, s[20:21]
	s_and_b32 s36, s2, s5
	v_mad_u64_u32 v[32:33], null, v33, s26, v[25:26]
	v_mad_u64_u32 v[33:34], null, s48, v24, v[28:29]
	v_add_co_u32 v24, vcc_lo, s24, v26
	v_mov_b32_e32 v28, v31
	v_add_co_ci_u32_e64 v25, null, s25, v27, vcc_lo
	v_add_co_u32 v31, vcc_lo, v29, v0
	v_mad_u64_u32 v[28:29], null, v33, s26, v[28:29]
	v_add_co_ci_u32_e64 v32, null, 0, v32, vcc_lo
	v_add_co_u32 v26, vcc_lo, s28, v26
	v_add_co_ci_u32_e64 v27, null, s29, v27, vcc_lo
	v_add_co_u32 v33, vcc_lo, v30, v0
	v_add_co_ci_u32_e64 v34, null, 0, v28, vcc_lo
	v_lshlrev_b64 v[31:32], 2, v[31:32]
	s_and_b32 s37, s2, s7
	s_and_b32 s39, s3, s4
	v_lshlrev_b64 v[34:35], 2, v[33:34]
	s_and_b32 s40, s3, s5
	s_and_b32 s41, s3, s7
	v_add_co_u32 v28, vcc_lo, s28, v31
	v_add_co_ci_u32_e64 v29, null, s29, v32, vcc_lo
	v_add_co_u32 v30, vcc_lo, s24, v31
	s_lshl_b64 s[2:3], s[20:21], 2
	s_and_b32 s31, s1, s4
	s_and_b32 s33, s1, s5
	;; [unrolled: 1-line block ×6, first 2 shown]
	v_add_co_ci_u32_e64 v31, null, s25, v32, vcc_lo
	v_add_co_u32 v32, vcc_lo, s24, v34
	s_mov_b32 s23, s15
	s_add_u32 s46, s46, s2
	s_addc_u32 s47, s47, s3
	s_lshl_b64 s[4:5], s[8:9], 2
	s_lshl_b64 s[6:7], s[14:15], 2
	v_add_co_ci_u32_e64 v33, null, s25, v35, vcc_lo
	v_add_co_u32 v34, vcc_lo, s28, v34
	s_lshl_b64 s[2:3], s[22:23], 2
	s_sub_u32 s4, s4, s6
	v_add_co_ci_u32_e64 v35, null, s29, v35, vcc_lo
	s_mov_b32 s27, s15
	s_subb_u32 s5, s5, s7
	s_add_u32 s4, s10, s4
	s_addc_u32 s5, s11, s5
	s_lshl_b64 s[6:7], s[26:27], 2
	s_mov_b64 s[8:9], 0
	s_branch .LBB128_13
.LBB128_12:                             ;   in Loop: Header=BB128_13 Depth=1
	s_or_b32 exec_lo, exec_lo, s10
	s_add_u32 s16, s16, 1
	s_addc_u32 s17, s17, 0
	s_add_u32 s46, s46, s2
	v_cmp_ge_i64_e64 s10, s[16:17], s[18:19]
	s_addc_u32 s47, s47, s3
	s_add_u32 s4, s4, 4
	s_addc_u32 s5, s5, 0
	s_add_u32 s8, s8, s6
	s_addc_u32 s9, s9, s7
	s_and_b32 vcc_lo, exec_lo, s10
	s_cbranch_vccnz .LBB128_45
.LBB128_13:                             ; =>This Inner Loop Header: Depth=1
	s_load_dword s10, s[4:5], 0x0
	s_waitcnt lgkmcnt(0)
	s_sub_i32 s10, s10, s14
	s_mul_i32 s10, s10, s12
	s_add_i32 s10, s10, s13
	v_add_nc_u32_e32 v39, s10, v0
	s_and_saveexec_b32 s11, s30
	s_cbranch_execnz .LBB128_29
; %bb.14:                               ;   in Loop: Header=BB128_13 Depth=1
	s_or_b32 exec_lo, exec_lo, s11
	v_add_nc_u32_e32 v38, s10, v1
	s_and_saveexec_b32 s11, s31
	s_cbranch_execnz .LBB128_30
.LBB128_15:                             ;   in Loop: Header=BB128_13 Depth=1
	s_or_b32 exec_lo, exec_lo, s11
	v_add_nc_u32_e32 v36, s10, v2
	s_and_saveexec_b32 s11, s33
	s_cbranch_execnz .LBB128_31
.LBB128_16:                             ;   in Loop: Header=BB128_13 Depth=1
	s_or_b32 exec_lo, exec_lo, s11
	v_add_nc_u32_e32 v37, s10, v3
	s_and_saveexec_b32 s10, s1
	s_cbranch_execnz .LBB128_32
.LBB128_17:                             ;   in Loop: Header=BB128_13 Depth=1
	s_or_b32 exec_lo, exec_lo, s10
	s_and_saveexec_b32 s10, s34
	s_cbranch_execnz .LBB128_33
.LBB128_18:                             ;   in Loop: Header=BB128_13 Depth=1
	s_or_b32 exec_lo, exec_lo, s10
	s_and_saveexec_b32 s10, s35
	s_cbranch_execnz .LBB128_34
.LBB128_19:                             ;   in Loop: Header=BB128_13 Depth=1
	s_or_b32 exec_lo, exec_lo, s10
	s_and_saveexec_b32 s10, s36
	s_cbranch_execnz .LBB128_35
.LBB128_20:                             ;   in Loop: Header=BB128_13 Depth=1
	s_or_b32 exec_lo, exec_lo, s10
	s_and_saveexec_b32 s10, s37
	s_cbranch_execnz .LBB128_36
.LBB128_21:                             ;   in Loop: Header=BB128_13 Depth=1
	s_or_b32 exec_lo, exec_lo, s10
	s_and_saveexec_b32 s10, s38
	s_cbranch_execnz .LBB128_37
.LBB128_22:                             ;   in Loop: Header=BB128_13 Depth=1
	s_or_b32 exec_lo, exec_lo, s10
	s_and_saveexec_b32 s10, s39
	s_cbranch_execnz .LBB128_38
.LBB128_23:                             ;   in Loop: Header=BB128_13 Depth=1
	s_or_b32 exec_lo, exec_lo, s10
	s_and_saveexec_b32 s10, s40
	s_cbranch_execnz .LBB128_39
.LBB128_24:                             ;   in Loop: Header=BB128_13 Depth=1
	s_or_b32 exec_lo, exec_lo, s10
	s_and_saveexec_b32 s10, s41
	s_cbranch_execnz .LBB128_40
.LBB128_25:                             ;   in Loop: Header=BB128_13 Depth=1
	s_or_b32 exec_lo, exec_lo, s10
	s_and_saveexec_b32 s10, s42
	s_cbranch_execnz .LBB128_41
.LBB128_26:                             ;   in Loop: Header=BB128_13 Depth=1
	s_or_b32 exec_lo, exec_lo, s10
	s_and_saveexec_b32 s10, s43
	s_cbranch_execnz .LBB128_42
.LBB128_27:                             ;   in Loop: Header=BB128_13 Depth=1
	s_or_b32 exec_lo, exec_lo, s10
	s_and_saveexec_b32 s10, s44
	s_cbranch_execnz .LBB128_43
.LBB128_28:                             ;   in Loop: Header=BB128_13 Depth=1
	s_or_b32 exec_lo, exec_lo, s10
	s_and_saveexec_b32 s10, s45
	s_cbranch_execz .LBB128_12
	s_branch .LBB128_44
.LBB128_29:                             ;   in Loop: Header=BB128_13 Depth=1
	v_add_co_u32 v36, vcc_lo, s46, v4
	v_add_co_ci_u32_e64 v37, null, s47, v5, vcc_lo
	v_add_co_u32 v38, vcc_lo, s46, v12
	v_add_co_ci_u32_e64 v40, null, s47, v13, vcc_lo
	v_cndmask_b32_e64 v36, v38, v36, s0
	v_cndmask_b32_e64 v37, v40, v37, s0
	global_load_dword v38, v[36:37], off
	v_add_co_u32 v36, vcc_lo, v20, s8
	v_add_co_ci_u32_e64 v37, null, s9, v21, vcc_lo
	v_add_co_u32 v40, vcc_lo, v22, s8
	v_add_co_ci_u32_e64 v41, null, s9, v23, vcc_lo
	global_store_dword v[36:37], v39, off
	s_waitcnt vmcnt(0)
	global_store_dword v[40:41], v38, off
	s_or_b32 exec_lo, exec_lo, s11
	v_add_nc_u32_e32 v38, s10, v1
	s_and_saveexec_b32 s11, s31
	s_cbranch_execz .LBB128_15
.LBB128_30:                             ;   in Loop: Header=BB128_13 Depth=1
	v_add_co_u32 v36, vcc_lo, s46, v4
	v_add_co_ci_u32_e64 v37, null, s47, v5, vcc_lo
	v_add_co_u32 v36, vcc_lo, 0x80, v36
	v_add_co_ci_u32_e64 v37, null, 0, v37, vcc_lo
	;; [unrolled: 2-line block ×3, first 2 shown]
	v_cndmask_b32_e64 v36, v40, v36, s0
	v_cndmask_b32_e64 v37, v41, v37, s0
	global_load_dword v42, v[36:37], off
	v_add_co_u32 v36, vcc_lo, v20, s8
	v_add_co_ci_u32_e64 v37, null, s9, v21, vcc_lo
	v_add_co_u32 v40, vcc_lo, v22, s8
	v_add_co_ci_u32_e64 v41, null, s9, v23, vcc_lo
	global_store_dword v[36:37], v38, off offset:128
	s_waitcnt vmcnt(0)
	global_store_dword v[40:41], v42, off offset:128
	s_or_b32 exec_lo, exec_lo, s11
	v_add_nc_u32_e32 v36, s10, v2
	s_and_saveexec_b32 s11, s33
	s_cbranch_execz .LBB128_16
.LBB128_31:                             ;   in Loop: Header=BB128_13 Depth=1
	v_add_co_u32 v37, vcc_lo, s46, v4
	v_add_co_ci_u32_e64 v40, null, s47, v5, vcc_lo
	v_add_co_u32 v37, vcc_lo, 0x100, v37
	v_add_co_ci_u32_e64 v40, null, 0, v40, vcc_lo
	;; [unrolled: 2-line block ×3, first 2 shown]
	v_cndmask_b32_e64 v41, v41, v40, s0
	v_cndmask_b32_e64 v40, v42, v37, s0
	global_load_dword v37, v[40:41], off
	v_add_co_u32 v40, vcc_lo, v20, s8
	v_add_co_ci_u32_e64 v41, null, s9, v21, vcc_lo
	v_add_co_u32 v42, vcc_lo, v22, s8
	v_add_co_ci_u32_e64 v43, null, s9, v23, vcc_lo
	global_store_dword v[40:41], v36, off offset:256
	s_waitcnt vmcnt(0)
	global_store_dword v[42:43], v37, off offset:256
	s_or_b32 exec_lo, exec_lo, s11
	v_add_nc_u32_e32 v37, s10, v3
	s_and_saveexec_b32 s10, s1
	s_cbranch_execz .LBB128_17
.LBB128_32:                             ;   in Loop: Header=BB128_13 Depth=1
	v_add_co_u32 v40, vcc_lo, s46, v4
	v_add_co_ci_u32_e64 v41, null, s47, v5, vcc_lo
	v_add_co_u32 v40, vcc_lo, 0x180, v40
	v_add_co_ci_u32_e64 v41, null, 0, v41, vcc_lo
	;; [unrolled: 2-line block ×3, first 2 shown]
	v_cndmask_b32_e64 v40, v42, v40, s0
	v_cndmask_b32_e64 v41, v43, v41, s0
	global_load_dword v44, v[40:41], off
	v_add_co_u32 v40, vcc_lo, v20, s8
	v_add_co_ci_u32_e64 v41, null, s9, v21, vcc_lo
	v_add_co_u32 v42, vcc_lo, v22, s8
	v_add_co_ci_u32_e64 v43, null, s9, v23, vcc_lo
	global_store_dword v[40:41], v37, off offset:384
	s_waitcnt vmcnt(0)
	global_store_dword v[42:43], v44, off offset:384
	s_or_b32 exec_lo, exec_lo, s10
	s_and_saveexec_b32 s10, s34
	s_cbranch_execz .LBB128_18
.LBB128_33:                             ;   in Loop: Header=BB128_13 Depth=1
	v_add_co_u32 v40, vcc_lo, s46, v12
	v_add_co_ci_u32_e64 v41, null, s47, v13, vcc_lo
	v_add_co_u32 v42, vcc_lo, s46, v6
	v_add_co_ci_u32_e64 v43, null, s47, v7, vcc_lo
	;; [unrolled: 2-line block ×3, first 2 shown]
	v_cndmask_b32_e64 v40, v40, v42, s0
	v_cndmask_b32_e64 v41, v41, v43, s0
	global_load_dword v44, v[40:41], off
	v_add_co_u32 v40, vcc_lo, v28, s8
	v_add_co_ci_u32_e64 v41, null, s9, v29, vcc_lo
	v_add_co_u32 v42, vcc_lo, v30, s8
	v_add_co_ci_u32_e64 v43, null, s9, v31, vcc_lo
	global_store_dword v[40:41], v39, off
	s_waitcnt vmcnt(0)
	global_store_dword v[42:43], v44, off
	s_or_b32 exec_lo, exec_lo, s10
	s_and_saveexec_b32 s10, s35
	s_cbranch_execz .LBB128_19
.LBB128_34:                             ;   in Loop: Header=BB128_13 Depth=1
	v_add_co_u32 v40, vcc_lo, s46, v6
	v_add_co_ci_u32_e64 v41, null, s47, v7, vcc_lo
	v_add_co_u32 v42, vcc_lo, s46, v14
	v_add_co_ci_u32_e64 v43, null, s47, v15, vcc_lo
	v_cndmask_b32_e64 v40, v42, v40, s0
	v_cndmask_b32_e64 v41, v43, v41, s0
	global_load_dword v44, v[40:41], off offset:128
	v_add_co_u32 v40, vcc_lo, v28, s8
	v_add_co_ci_u32_e64 v41, null, s9, v29, vcc_lo
	v_add_co_u32 v42, vcc_lo, v30, s8
	v_add_co_ci_u32_e64 v43, null, s9, v31, vcc_lo
	global_store_dword v[40:41], v38, off offset:128
	s_waitcnt vmcnt(0)
	global_store_dword v[42:43], v44, off offset:128
	s_or_b32 exec_lo, exec_lo, s10
	s_and_saveexec_b32 s10, s36
	s_cbranch_execz .LBB128_20
.LBB128_35:                             ;   in Loop: Header=BB128_13 Depth=1
	v_add_co_u32 v40, vcc_lo, s46, v6
	v_add_co_ci_u32_e64 v41, null, s47, v7, vcc_lo
	v_add_co_u32 v42, vcc_lo, s46, v16
	v_add_co_ci_u32_e64 v43, null, s47, v17, vcc_lo
	;; [unrolled: 2-line block ×4, first 2 shown]
	v_cndmask_b32_e64 v40, v42, v40, s0
	v_cndmask_b32_e64 v41, v43, v41, s0
	global_load_dword v44, v[40:41], off
	v_add_co_u32 v40, vcc_lo, v28, s8
	v_add_co_ci_u32_e64 v41, null, s9, v29, vcc_lo
	v_add_co_u32 v42, vcc_lo, v30, s8
	v_add_co_ci_u32_e64 v43, null, s9, v31, vcc_lo
	global_store_dword v[40:41], v36, off offset:256
	s_waitcnt vmcnt(0)
	global_store_dword v[42:43], v44, off offset:256
	s_or_b32 exec_lo, exec_lo, s10
	s_and_saveexec_b32 s10, s37
	s_cbranch_execz .LBB128_21
.LBB128_36:                             ;   in Loop: Header=BB128_13 Depth=1
	v_add_co_u32 v40, vcc_lo, s46, v6
	v_add_co_ci_u32_e64 v41, null, s47, v7, vcc_lo
	v_add_co_u32 v42, vcc_lo, s46, v18
	v_add_co_ci_u32_e64 v43, null, s47, v19, vcc_lo
	;; [unrolled: 2-line block ×4, first 2 shown]
	v_cndmask_b32_e64 v40, v42, v40, s0
	v_cndmask_b32_e64 v41, v43, v41, s0
	global_load_dword v44, v[40:41], off
	v_add_co_u32 v40, vcc_lo, v28, s8
	v_add_co_ci_u32_e64 v41, null, s9, v29, vcc_lo
	v_add_co_u32 v42, vcc_lo, v30, s8
	v_add_co_ci_u32_e64 v43, null, s9, v31, vcc_lo
	global_store_dword v[40:41], v37, off offset:384
	s_waitcnt vmcnt(0)
	global_store_dword v[42:43], v44, off offset:384
	s_or_b32 exec_lo, exec_lo, s10
	s_and_saveexec_b32 s10, s38
	s_cbranch_execz .LBB128_22
.LBB128_37:                             ;   in Loop: Header=BB128_13 Depth=1
	v_add_co_u32 v40, vcc_lo, s46, v12
	v_add_co_ci_u32_e64 v41, null, s47, v13, vcc_lo
	v_add_co_u32 v42, vcc_lo, s46, v8
	v_add_co_ci_u32_e64 v43, null, s47, v9, vcc_lo
	;; [unrolled: 2-line block ×3, first 2 shown]
	v_cndmask_b32_e64 v40, v40, v42, s0
	v_cndmask_b32_e64 v41, v41, v43, s0
	global_load_dword v44, v[40:41], off
	v_add_co_u32 v40, vcc_lo, v34, s8
	v_add_co_ci_u32_e64 v41, null, s9, v35, vcc_lo
	v_add_co_u32 v42, vcc_lo, v32, s8
	v_add_co_ci_u32_e64 v43, null, s9, v33, vcc_lo
	global_store_dword v[40:41], v39, off
	s_waitcnt vmcnt(0)
	global_store_dword v[42:43], v44, off
	s_or_b32 exec_lo, exec_lo, s10
	s_and_saveexec_b32 s10, s39
	s_cbranch_execz .LBB128_23
.LBB128_38:                             ;   in Loop: Header=BB128_13 Depth=1
	v_add_co_u32 v40, vcc_lo, s46, v8
	v_add_co_ci_u32_e64 v41, null, s47, v9, vcc_lo
	v_add_co_u32 v42, vcc_lo, s46, v14
	v_add_co_ci_u32_e64 v43, null, s47, v15, vcc_lo
	;; [unrolled: 2-line block ×4, first 2 shown]
	v_cndmask_b32_e64 v40, v42, v40, s0
	v_cndmask_b32_e64 v41, v43, v41, s0
	global_load_dword v44, v[40:41], off
	v_add_co_u32 v40, vcc_lo, v34, s8
	v_add_co_ci_u32_e64 v41, null, s9, v35, vcc_lo
	v_add_co_u32 v42, vcc_lo, v32, s8
	v_add_co_ci_u32_e64 v43, null, s9, v33, vcc_lo
	global_store_dword v[40:41], v38, off offset:128
	s_waitcnt vmcnt(0)
	global_store_dword v[42:43], v44, off offset:128
	s_or_b32 exec_lo, exec_lo, s10
	s_and_saveexec_b32 s10, s40
	s_cbranch_execz .LBB128_24
.LBB128_39:                             ;   in Loop: Header=BB128_13 Depth=1
	v_add_co_u32 v40, vcc_lo, s46, v8
	v_add_co_ci_u32_e64 v41, null, s47, v9, vcc_lo
	v_add_co_u32 v42, vcc_lo, s46, v16
	v_add_co_ci_u32_e64 v43, null, s47, v17, vcc_lo
	v_cndmask_b32_e64 v40, v42, v40, s0
	v_cndmask_b32_e64 v41, v43, v41, s0
	global_load_dword v44, v[40:41], off offset:256
	v_add_co_u32 v40, vcc_lo, v34, s8
	v_add_co_ci_u32_e64 v41, null, s9, v35, vcc_lo
	v_add_co_u32 v42, vcc_lo, v32, s8
	v_add_co_ci_u32_e64 v43, null, s9, v33, vcc_lo
	global_store_dword v[40:41], v36, off offset:256
	s_waitcnt vmcnt(0)
	global_store_dword v[42:43], v44, off offset:256
	s_or_b32 exec_lo, exec_lo, s10
	s_and_saveexec_b32 s10, s41
	s_cbranch_execz .LBB128_25
.LBB128_40:                             ;   in Loop: Header=BB128_13 Depth=1
	v_add_co_u32 v40, vcc_lo, s46, v8
	v_add_co_ci_u32_e64 v41, null, s47, v9, vcc_lo
	v_add_co_u32 v42, vcc_lo, s46, v18
	v_add_co_ci_u32_e64 v43, null, s47, v19, vcc_lo
	;; [unrolled: 2-line block ×4, first 2 shown]
	v_cndmask_b32_e64 v40, v42, v40, s0
	v_cndmask_b32_e64 v41, v43, v41, s0
	global_load_dword v44, v[40:41], off
	v_add_co_u32 v40, vcc_lo, v34, s8
	v_add_co_ci_u32_e64 v41, null, s9, v35, vcc_lo
	v_add_co_u32 v42, vcc_lo, v32, s8
	v_add_co_ci_u32_e64 v43, null, s9, v33, vcc_lo
	global_store_dword v[40:41], v37, off offset:384
	s_waitcnt vmcnt(0)
	global_store_dword v[42:43], v44, off offset:384
	s_or_b32 exec_lo, exec_lo, s10
	s_and_saveexec_b32 s10, s42
	s_cbranch_execz .LBB128_26
.LBB128_41:                             ;   in Loop: Header=BB128_13 Depth=1
	v_add_co_u32 v40, vcc_lo, s46, v12
	v_add_co_ci_u32_e64 v41, null, s47, v13, vcc_lo
	v_add_co_u32 v42, vcc_lo, s46, v10
	v_add_co_ci_u32_e64 v43, null, s47, v11, vcc_lo
	;; [unrolled: 2-line block ×3, first 2 shown]
	v_cndmask_b32_e64 v40, v40, v42, s0
	v_cndmask_b32_e64 v41, v41, v43, s0
	global_load_dword v44, v[40:41], off
	v_add_co_u32 v40, vcc_lo, v26, s8
	v_add_co_ci_u32_e64 v41, null, s9, v27, vcc_lo
	v_add_co_u32 v42, vcc_lo, v24, s8
	v_add_co_ci_u32_e64 v43, null, s9, v25, vcc_lo
	global_store_dword v[40:41], v39, off
	s_waitcnt vmcnt(0)
	global_store_dword v[42:43], v44, off
	s_or_b32 exec_lo, exec_lo, s10
	s_and_saveexec_b32 s10, s43
	s_cbranch_execz .LBB128_27
.LBB128_42:                             ;   in Loop: Header=BB128_13 Depth=1
	v_add_co_u32 v39, vcc_lo, s46, v10
	v_add_co_ci_u32_e64 v40, null, s47, v11, vcc_lo
	v_add_co_u32 v41, vcc_lo, s46, v14
	v_add_co_ci_u32_e64 v42, null, s47, v15, vcc_lo
	;; [unrolled: 2-line block ×4, first 2 shown]
	v_cndmask_b32_e64 v39, v41, v39, s0
	v_cndmask_b32_e64 v40, v42, v40, s0
	global_load_dword v43, v[39:40], off
	v_add_co_u32 v39, vcc_lo, v26, s8
	v_add_co_ci_u32_e64 v40, null, s9, v27, vcc_lo
	v_add_co_u32 v41, vcc_lo, v24, s8
	v_add_co_ci_u32_e64 v42, null, s9, v25, vcc_lo
	global_store_dword v[39:40], v38, off offset:128
	s_waitcnt vmcnt(0)
	global_store_dword v[41:42], v43, off offset:128
	s_or_b32 exec_lo, exec_lo, s10
	s_and_saveexec_b32 s10, s44
	s_cbranch_execz .LBB128_28
.LBB128_43:                             ;   in Loop: Header=BB128_13 Depth=1
	v_add_co_u32 v38, vcc_lo, s46, v10
	v_add_co_ci_u32_e64 v39, null, s47, v11, vcc_lo
	v_add_co_u32 v40, vcc_lo, s46, v16
	v_add_co_ci_u32_e64 v41, null, s47, v17, vcc_lo
	v_add_co_u32 v38, vcc_lo, 0x100, v38
	v_add_co_ci_u32_e64 v39, null, 0, v39, vcc_lo
	v_add_co_u32 v40, vcc_lo, 0x180, v40
	v_add_co_ci_u32_e64 v41, null, 0, v41, vcc_lo
	v_cndmask_b32_e64 v38, v40, v38, s0
	v_cndmask_b32_e64 v39, v41, v39, s0
	global_load_dword v42, v[38:39], off
	v_add_co_u32 v38, vcc_lo, v26, s8
	v_add_co_ci_u32_e64 v39, null, s9, v27, vcc_lo
	v_add_co_u32 v40, vcc_lo, v24, s8
	v_add_co_ci_u32_e64 v41, null, s9, v25, vcc_lo
	global_store_dword v[38:39], v36, off offset:256
	s_waitcnt vmcnt(0)
	global_store_dword v[40:41], v42, off offset:256
	s_or_b32 exec_lo, exec_lo, s10
	s_and_saveexec_b32 s10, s45
	s_cbranch_execz .LBB128_12
.LBB128_44:                             ;   in Loop: Header=BB128_13 Depth=1
	v_add_co_u32 v36, vcc_lo, s46, v10
	v_add_co_ci_u32_e64 v38, null, s47, v11, vcc_lo
	v_add_co_u32 v40, vcc_lo, s46, v18
	v_add_co_ci_u32_e64 v39, null, s47, v19, vcc_lo
	v_cndmask_b32_e64 v39, v39, v38, s0
	v_cndmask_b32_e64 v38, v40, v36, s0
	global_load_dword v36, v[38:39], off offset:384
	v_add_co_u32 v38, vcc_lo, v26, s8
	v_add_co_ci_u32_e64 v39, null, s9, v27, vcc_lo
	v_add_co_u32 v40, vcc_lo, v24, s8
	v_add_co_ci_u32_e64 v41, null, s9, v25, vcc_lo
	global_store_dword v[38:39], v37, off offset:384
	s_waitcnt vmcnt(0)
	global_store_dword v[40:41], v36, off offset:384
	s_branch .LBB128_12
.LBB128_45:
	s_endpgm
	.section	.rodata,"a",@progbits
	.p2align	6, 0x0
	.amdhsa_kernel _ZN9rocsparseL35bsr2csr_block_per_row_33_256_kernelILj1024ELj128ELj32EfliEEv20rocsparse_direction_T4_S2_21rocsparse_index_base_PKT2_PKT3_PKS2_S2_S3_PS4_PS7_PS2_
		.amdhsa_group_segment_fixed_size 0
		.amdhsa_private_segment_fixed_size 0
		.amdhsa_kernarg_size 72
		.amdhsa_user_sgpr_count 6
		.amdhsa_user_sgpr_private_segment_buffer 1
		.amdhsa_user_sgpr_dispatch_ptr 0
		.amdhsa_user_sgpr_queue_ptr 0
		.amdhsa_user_sgpr_kernarg_segment_ptr 1
		.amdhsa_user_sgpr_dispatch_id 0
		.amdhsa_user_sgpr_flat_scratch_init 0
		.amdhsa_user_sgpr_private_segment_size 0
		.amdhsa_wavefront_size32 1
		.amdhsa_uses_dynamic_stack 0
		.amdhsa_system_sgpr_private_segment_wavefront_offset 0
		.amdhsa_system_sgpr_workgroup_id_x 1
		.amdhsa_system_sgpr_workgroup_id_y 0
		.amdhsa_system_sgpr_workgroup_id_z 0
		.amdhsa_system_sgpr_workgroup_info 0
		.amdhsa_system_vgpr_workitem_id 0
		.amdhsa_next_free_vgpr 45
		.amdhsa_next_free_sgpr 50
		.amdhsa_reserve_vcc 1
		.amdhsa_reserve_flat_scratch 0
		.amdhsa_float_round_mode_32 0
		.amdhsa_float_round_mode_16_64 0
		.amdhsa_float_denorm_mode_32 3
		.amdhsa_float_denorm_mode_16_64 3
		.amdhsa_dx10_clamp 1
		.amdhsa_ieee_mode 1
		.amdhsa_fp16_overflow 0
		.amdhsa_workgroup_processor_mode 1
		.amdhsa_memory_ordered 1
		.amdhsa_forward_progress 1
		.amdhsa_shared_vgpr_count 0
		.amdhsa_exception_fp_ieee_invalid_op 0
		.amdhsa_exception_fp_denorm_src 0
		.amdhsa_exception_fp_ieee_div_zero 0
		.amdhsa_exception_fp_ieee_overflow 0
		.amdhsa_exception_fp_ieee_underflow 0
		.amdhsa_exception_fp_ieee_inexact 0
		.amdhsa_exception_int_div_zero 0
	.end_amdhsa_kernel
	.section	.text._ZN9rocsparseL35bsr2csr_block_per_row_33_256_kernelILj1024ELj128ELj32EfliEEv20rocsparse_direction_T4_S2_21rocsparse_index_base_PKT2_PKT3_PKS2_S2_S3_PS4_PS7_PS2_,"axG",@progbits,_ZN9rocsparseL35bsr2csr_block_per_row_33_256_kernelILj1024ELj128ELj32EfliEEv20rocsparse_direction_T4_S2_21rocsparse_index_base_PKT2_PKT3_PKS2_S2_S3_PS4_PS7_PS2_,comdat
.Lfunc_end128:
	.size	_ZN9rocsparseL35bsr2csr_block_per_row_33_256_kernelILj1024ELj128ELj32EfliEEv20rocsparse_direction_T4_S2_21rocsparse_index_base_PKT2_PKT3_PKS2_S2_S3_PS4_PS7_PS2_, .Lfunc_end128-_ZN9rocsparseL35bsr2csr_block_per_row_33_256_kernelILj1024ELj128ELj32EfliEEv20rocsparse_direction_T4_S2_21rocsparse_index_base_PKT2_PKT3_PKS2_S2_S3_PS4_PS7_PS2_
                                        ; -- End function
	.set _ZN9rocsparseL35bsr2csr_block_per_row_33_256_kernelILj1024ELj128ELj32EfliEEv20rocsparse_direction_T4_S2_21rocsparse_index_base_PKT2_PKT3_PKS2_S2_S3_PS4_PS7_PS2_.num_vgpr, 45
	.set _ZN9rocsparseL35bsr2csr_block_per_row_33_256_kernelILj1024ELj128ELj32EfliEEv20rocsparse_direction_T4_S2_21rocsparse_index_base_PKT2_PKT3_PKS2_S2_S3_PS4_PS7_PS2_.num_agpr, 0
	.set _ZN9rocsparseL35bsr2csr_block_per_row_33_256_kernelILj1024ELj128ELj32EfliEEv20rocsparse_direction_T4_S2_21rocsparse_index_base_PKT2_PKT3_PKS2_S2_S3_PS4_PS7_PS2_.numbered_sgpr, 50
	.set _ZN9rocsparseL35bsr2csr_block_per_row_33_256_kernelILj1024ELj128ELj32EfliEEv20rocsparse_direction_T4_S2_21rocsparse_index_base_PKT2_PKT3_PKS2_S2_S3_PS4_PS7_PS2_.num_named_barrier, 0
	.set _ZN9rocsparseL35bsr2csr_block_per_row_33_256_kernelILj1024ELj128ELj32EfliEEv20rocsparse_direction_T4_S2_21rocsparse_index_base_PKT2_PKT3_PKS2_S2_S3_PS4_PS7_PS2_.private_seg_size, 0
	.set _ZN9rocsparseL35bsr2csr_block_per_row_33_256_kernelILj1024ELj128ELj32EfliEEv20rocsparse_direction_T4_S2_21rocsparse_index_base_PKT2_PKT3_PKS2_S2_S3_PS4_PS7_PS2_.uses_vcc, 1
	.set _ZN9rocsparseL35bsr2csr_block_per_row_33_256_kernelILj1024ELj128ELj32EfliEEv20rocsparse_direction_T4_S2_21rocsparse_index_base_PKT2_PKT3_PKS2_S2_S3_PS4_PS7_PS2_.uses_flat_scratch, 0
	.set _ZN9rocsparseL35bsr2csr_block_per_row_33_256_kernelILj1024ELj128ELj32EfliEEv20rocsparse_direction_T4_S2_21rocsparse_index_base_PKT2_PKT3_PKS2_S2_S3_PS4_PS7_PS2_.has_dyn_sized_stack, 0
	.set _ZN9rocsparseL35bsr2csr_block_per_row_33_256_kernelILj1024ELj128ELj32EfliEEv20rocsparse_direction_T4_S2_21rocsparse_index_base_PKT2_PKT3_PKS2_S2_S3_PS4_PS7_PS2_.has_recursion, 0
	.set _ZN9rocsparseL35bsr2csr_block_per_row_33_256_kernelILj1024ELj128ELj32EfliEEv20rocsparse_direction_T4_S2_21rocsparse_index_base_PKT2_PKT3_PKS2_S2_S3_PS4_PS7_PS2_.has_indirect_call, 0
	.section	.AMDGPU.csdata,"",@progbits
; Kernel info:
; codeLenInByte = 4052
; TotalNumSgprs: 52
; NumVgprs: 45
; ScratchSize: 0
; MemoryBound: 0
; FloatMode: 240
; IeeeMode: 1
; LDSByteSize: 0 bytes/workgroup (compile time only)
; SGPRBlocks: 0
; VGPRBlocks: 5
; NumSGPRsForWavesPerEU: 52
; NumVGPRsForWavesPerEU: 45
; Occupancy: 16
; WaveLimiterHint : 1
; COMPUTE_PGM_RSRC2:SCRATCH_EN: 0
; COMPUTE_PGM_RSRC2:USER_SGPR: 6
; COMPUTE_PGM_RSRC2:TRAP_HANDLER: 0
; COMPUTE_PGM_RSRC2:TGID_X_EN: 1
; COMPUTE_PGM_RSRC2:TGID_Y_EN: 0
; COMPUTE_PGM_RSRC2:TGID_Z_EN: 0
; COMPUTE_PGM_RSRC2:TIDIG_COMP_CNT: 0
	.section	.text._ZN9rocsparseL35bsr2csr_block_per_row_33_256_kernelILj1024ELj256ELj32EfliEEv20rocsparse_direction_T4_S2_21rocsparse_index_base_PKT2_PKT3_PKS2_S2_S3_PS4_PS7_PS2_,"axG",@progbits,_ZN9rocsparseL35bsr2csr_block_per_row_33_256_kernelILj1024ELj256ELj32EfliEEv20rocsparse_direction_T4_S2_21rocsparse_index_base_PKT2_PKT3_PKS2_S2_S3_PS4_PS7_PS2_,comdat
	.globl	_ZN9rocsparseL35bsr2csr_block_per_row_33_256_kernelILj1024ELj256ELj32EfliEEv20rocsparse_direction_T4_S2_21rocsparse_index_base_PKT2_PKT3_PKS2_S2_S3_PS4_PS7_PS2_ ; -- Begin function _ZN9rocsparseL35bsr2csr_block_per_row_33_256_kernelILj1024ELj256ELj32EfliEEv20rocsparse_direction_T4_S2_21rocsparse_index_base_PKT2_PKT3_PKS2_S2_S3_PS4_PS7_PS2_
	.p2align	8
	.type	_ZN9rocsparseL35bsr2csr_block_per_row_33_256_kernelILj1024ELj256ELj32EfliEEv20rocsparse_direction_T4_S2_21rocsparse_index_base_PKT2_PKT3_PKS2_S2_S3_PS4_PS7_PS2_,@function
_ZN9rocsparseL35bsr2csr_block_per_row_33_256_kernelILj1024ELj256ELj32EfliEEv20rocsparse_direction_T4_S2_21rocsparse_index_base_PKT2_PKT3_PKS2_S2_S3_PS4_PS7_PS2_: ; @_ZN9rocsparseL35bsr2csr_block_per_row_33_256_kernelILj1024ELj256ELj32EfliEEv20rocsparse_direction_T4_S2_21rocsparse_index_base_PKT2_PKT3_PKS2_S2_S3_PS4_PS7_PS2_
; %bb.0:
	s_load_dwordx2 s[0:1], s[4:5], 0x18
	s_ashr_i32 s7, s6, 31
	s_clause 0x1
	s_load_dwordx2 s[16:17], s[4:5], 0x28
	s_load_dwordx2 s[24:25], s[4:5], 0x38
	s_lshl_b64 s[2:3], s[6:7], 3
	v_or_b32_e32 v1, s6, v0
	s_waitcnt lgkmcnt(0)
	s_add_u32 s0, s0, s2
	s_addc_u32 s1, s1, s3
	s_mov_b32 s2, exec_lo
	s_load_dwordx4 s[12:15], s[0:1], 0x0
	s_mov_b32 s1, 0
	v_cmpx_eq_u32_e32 0, v1
	s_cbranch_execz .LBB129_2
; %bb.1:
	s_mov_b32 s0, s17
	v_mov_b32_e32 v2, s1
	v_mov_b32_e32 v3, 0
	;; [unrolled: 1-line block ×3, first 2 shown]
	global_store_dwordx2 v3, v[1:2], s[24:25]
.LBB129_2:
	s_or_b32 exec_lo, exec_lo, s2
	s_load_dword s33, s[4:5], 0xc
	s_mul_i32 s34, s16, s16
	v_lshrrev_b32_e32 v43, 5, v0
	s_mul_i32 s11, s16, s6
	v_cmp_gt_i32_e64 s2, s16, v43
	s_waitcnt lgkmcnt(0)
	s_sub_u32 s18, s12, s33
	s_subb_u32 s19, s13, 0
	s_mul_hi_u32 s0, s18, s34
	s_mul_i32 s1, s19, s34
	s_sub_u32 s20, s14, s33
	s_subb_u32 s21, s15, 0
	s_add_i32 s23, s0, s1
	s_sub_u32 s58, s20, s18
	s_subb_u32 s64, s21, s19
	s_mul_hi_u32 s0, s58, s16
	s_mul_i32 s1, s64, s16
	s_mul_i32 s22, s18, s34
	s_add_i32 s0, s0, s1
	s_mul_i32 s28, s58, s16
	s_add_u32 s1, s22, s17
	s_addc_u32 s3, s23, 0
	s_add_u32 s26, s1, s28
	s_addc_u32 s27, s3, s0
	s_and_saveexec_b32 s1, s2
	s_cbranch_execz .LBB129_4
; %bb.3:
	v_add_nc_u32_e32 v3, s11, v43
	v_mad_u64_u32 v[1:2], null, s28, v43, s[26:27]
	v_ashrrev_i32_e32 v4, 31, v3
	v_mad_u64_u32 v[5:6], null, s0, v43, v[2:3]
	v_lshlrev_b64 v[3:4], 3, v[3:4]
	v_add_co_u32 v3, vcc_lo, s24, v3
	v_mov_b32_e32 v2, v5
	v_add_co_ci_u32_e64 v4, null, s25, v4, vcc_lo
	global_store_dwordx2 v[3:4], v[1:2], off offset:8
.LBB129_4:
	s_or_b32 exec_lo, exec_lo, s1
	v_or_b32_e32 v4, 32, v43
	v_cmp_gt_i32_e64 s8, s16, v4
	s_and_saveexec_b32 s1, s8
	s_cbranch_execz .LBB129_6
; %bb.5:
	s_ashr_i32 s3, s11, 31
	v_add_co_u32 v5, s6, v43, s11
	v_add_co_ci_u32_e64 v6, null, 0, s3, s6
	v_mad_u64_u32 v[1:2], null, s28, v4, s[26:27]
	v_lshlrev_b64 v[5:6], 3, v[5:6]
	v_mad_u64_u32 v[2:3], null, s0, v4, v[2:3]
	v_add_co_u32 v5, vcc_lo, s24, v5
	v_add_co_ci_u32_e64 v6, null, s25, v6, vcc_lo
	global_store_dwordx2 v[5:6], v[1:2], off offset:264
.LBB129_6:
	s_or_b32 exec_lo, exec_lo, s1
	v_or_b32_e32 v5, 64, v43
	v_cmp_gt_i32_e64 s6, s16, v5
	s_and_saveexec_b32 s1, s6
	s_cbranch_execz .LBB129_8
; %bb.7:
	s_ashr_i32 s3, s11, 31
	v_add_co_u32 v6, s7, v43, s11
	v_add_co_ci_u32_e64 v7, null, 0, s3, s7
	v_mad_u64_u32 v[1:2], null, s28, v5, s[26:27]
	v_lshlrev_b64 v[6:7], 3, v[6:7]
	v_mad_u64_u32 v[2:3], null, s0, v5, v[2:3]
	v_add_co_u32 v6, vcc_lo, s24, v6
	v_add_co_ci_u32_e64 v7, null, s25, v7, vcc_lo
	global_store_dwordx2 v[6:7], v[1:2], off offset:520
.LBB129_8:
	;; [unrolled: 16-line block ×6, first 2 shown]
	s_or_b32 exec_lo, exec_lo, s9
	v_or_b32_e32 v14, 0xe0, v43
	v_cmp_gt_i32_e64 s9, s16, v14
	s_and_saveexec_b32 s29, s9
	s_cbranch_execz .LBB129_18
; %bb.17:
	v_mad_u64_u32 v[1:2], null, s28, v14, s[26:27]
	s_ashr_i32 s26, s11, 31
	v_add_co_u32 v7, s11, v43, s11
	v_add_co_ci_u32_e64 v8, null, 0, s26, s11
	v_mad_u64_u32 v[2:3], null, s0, v14, v[2:3]
	v_lshlrev_b64 v[7:8], 3, v[7:8]
	v_add_co_u32 v7, vcc_lo, s24, v7
	v_add_co_ci_u32_e64 v8, null, s25, v8, vcc_lo
	global_store_dwordx2 v[7:8], v[1:2], off offset:1800
.LBB129_18:
	s_or_b32 exec_lo, exec_lo, s29
	v_cmp_lt_i64_e64 s0, s[12:13], s[14:15]
	s_and_b32 vcc_lo, exec_lo, s0
	s_cbranch_vccz .LBB129_149
; %bb.19:
	v_and_b32_e32 v46, 31, v0
	v_mad_u64_u32 v[0:1], null, s58, v43, 0
	v_mad_u64_u32 v[2:3], null, s58, v4, 0
	s_clause 0x4
	s_load_dword s0, s[4:5], 0x0
	s_load_dwordx2 s[24:25], s[4:5], 0x20
	s_load_dwordx2 s[26:27], s[4:5], 0x30
	;; [unrolled: 1-line block ×4, first 2 shown]
	v_mul_lo_u32 v15, v43, s16
	v_mul_lo_u32 v27, v46, s16
	v_mad_u64_u32 v[9:10], null, s58, v13, 0
	v_mov_b32_e32 v28, 0
	v_mad_u64_u32 v[7:8], null, s64, v43, v[1:2]
	v_or_b32_e32 v47, 32, v46
	v_or_b32_e32 v48, 64, v46
	;; [unrolled: 1-line block ×6, first 2 shown]
	v_mov_b32_e32 v1, v7
	v_mad_u64_u32 v[7:8], null, s64, v4, v[3:4]
	v_mad_u64_u32 v[3:4], null, s58, v5, 0
	s_waitcnt lgkmcnt(0)
	s_cmp_eq_u32 s0, 0
	v_or_b32_e32 v53, 0xe0, v46
	s_cselect_b32 s0, -1, 0
	s_lshl_b32 s86, s16, 5
	v_mov_b32_e32 v54, v7
	v_add_nc_u32_e32 v29, s86, v27
	v_mad_u64_u32 v[7:8], null, s64, v5, v[4:5]
	v_mad_u64_u32 v[4:5], null, s58, v6, 0
	v_add_nc_u32_e32 v17, s86, v15
	v_add_nc_u32_e32 v31, s86, v29
	v_mov_b32_e32 v30, v28
	v_mov_b32_e32 v32, v28
	v_mov_b32_e32 v55, v7
	v_mad_u64_u32 v[7:8], null, s58, v12, 0
	v_mad_u64_u32 v[21:22], null, s64, v6, v[5:6]
	;; [unrolled: 1-line block ×3, first 2 shown]
	v_add_nc_u32_e32 v19, s86, v17
	v_add_nc_u32_e32 v33, s86, v31
	v_mov_b32_e32 v34, v28
	v_mov_b32_e32 v36, v28
	;; [unrolled: 1-line block ×3, first 2 shown]
	v_add_nc_u32_e32 v21, s86, v19
	v_mad_u64_u32 v[23:24], null, s64, v11, v[6:7]
	v_mov_b32_e32 v6, v10
	v_add_nc_u32_e32 v35, s86, v33
	v_mad_u64_u32 v[24:25], null, s64, v12, v[8:9]
	v_mad_u64_u32 v[10:11], null, s58, v14, 0
	;; [unrolled: 1-line block ×3, first 2 shown]
	v_mov_b32_e32 v6, v23
	v_add_nc_u32_e32 v23, s86, v21
	v_add_nc_u32_e32 v37, s86, v35
	v_mov_b32_e32 v38, v28
	v_mov_b32_e32 v40, v28
	;; [unrolled: 1-line block ×3, first 2 shown]
	v_add_nc_u32_e32 v25, s86, v23
	v_add_nc_u32_e32 v39, s86, v37
	v_mov_b32_e32 v57, v12
	v_mad_u64_u32 v[11:12], null, s64, v14, v[11:12]
	v_add_nc_u32_e32 v44, s86, v25
	v_mov_b32_e32 v16, v28
	v_add_nc_u32_e32 v41, s86, v39
	v_mov_b32_e32 v18, v28
	v_mov_b32_e32 v20, v28
	;; [unrolled: 1-line block ×7, first 2 shown]
	v_add_nc_u32_e32 v59, s86, v44
	v_mov_b32_e32 v60, v28
	v_cmp_gt_i32_e32 vcc_lo, s16, v46
	v_cmp_gt_i32_e64 s11, s16, v47
	v_cmp_gt_i32_e64 s12, s16, v48
	;; [unrolled: 1-line block ×7, first 2 shown]
	v_mov_b32_e32 v58, v11
	v_lshlrev_b64 v[11:12], 2, v[15:16]
	v_lshlrev_b64 v[13:14], 2, v[17:18]
	;; [unrolled: 1-line block ×16, first 2 shown]
	v_lshlrev_b32_e32 v59, 2, v43
	s_and_b32 s35, s2, vcc_lo
	s_and_b32 s36, s2, s11
	s_and_b32 s37, s2, s12
	s_and_b32 s38, s2, s13
	s_and_b32 s39, s2, s14
	s_and_b32 s40, s2, s15
	s_and_b32 s41, s2, s4
	s_and_b32 s42, s2, s5
	s_and_b32 s43, s8, vcc_lo
	s_and_b32 s44, s8, s11
	s_and_b32 s45, s8, s12
	s_and_b32 s46, s8, s13
	s_and_b32 s47, s8, s14
	s_and_b32 s48, s8, s15
	s_and_b32 s49, s8, s4
	s_and_b32 s8, s8, s5
	;; [unrolled: 8-line block ×8, first 2 shown]
	s_mov_b64 s[2:3], s[18:19]
	s_branch .LBB129_21
.LBB129_20:                             ;   in Loop: Header=BB129_21 Depth=1
	s_or_b32 exec_lo, exec_lo, s9
	s_add_u32 s2, s2, 1
	s_addc_u32 s3, s3, 0
	v_cmp_ge_i64_e64 s9, s[2:3], s[20:21]
	s_and_b32 vcc_lo, exec_lo, s9
	s_cbranch_vccnz .LBB129_149
.LBB129_21:                             ; =>This Inner Loop Header: Depth=1
	s_lshl_b64 s[88:89], s[2:3], 2
	s_mul_hi_u32 s90, s2, s34
	s_add_u32 s88, s24, s88
	s_addc_u32 s89, s25, s89
	v_lshlrev_b32_e32 v62, 2, v46
	s_load_dword s9, s[88:89], 0x0
	s_mul_i32 s89, s3, s34
	s_mul_i32 s88, s2, s34
	s_waitcnt lgkmcnt(0)
	s_sub_i32 s91, s9, s33
	s_sub_u32 s9, s2, s18
	s_subb_u32 s87, s3, s19
	v_add_co_u32 v43, vcc_lo, v0, s9
	s_add_i32 s89, s90, s89
	v_add_co_ci_u32_e64 v45, null, s87, v1, vcc_lo
	v_mad_u64_u32 v[43:44], null, v43, s16, s[22:23]
	s_mul_i32 s90, s91, s16
	s_lshl_b64 s[88:89], s[88:89], 2
	s_add_i32 s90, s90, s17
	s_add_u32 s88, s28, s88
	s_addc_u32 s89, s29, s89
	v_add_co_u32 v60, s91, s88, v59
	v_mad_u64_u32 v[44:45], null, v45, s16, v[44:45]
	v_add_co_u32 v45, vcc_lo, s88, v11
	v_add_nc_u32_e32 v68, s90, v46
	v_add_co_ci_u32_e64 v61, null, s89, 0, s91
	v_add_co_ci_u32_e64 v71, null, s89, v12, vcc_lo
	s_and_saveexec_b32 s91, s35
	s_cbranch_execnz .LBB129_92
; %bb.22:                               ;   in Loop: Header=BB129_21 Depth=1
	s_or_b32 exec_lo, exec_lo, s91
	v_add_nc_u32_e32 v70, s90, v47
	s_and_saveexec_b32 s91, s36
	s_cbranch_execnz .LBB129_93
.LBB129_23:                             ;   in Loop: Header=BB129_21 Depth=1
	s_or_b32 exec_lo, exec_lo, s91
	v_add_nc_u32_e32 v69, s90, v48
	s_and_saveexec_b32 s91, s37
	s_cbranch_execnz .LBB129_94
.LBB129_24:                             ;   in Loop: Header=BB129_21 Depth=1
	s_or_b32 exec_lo, exec_lo, s91
	v_add_nc_u32_e32 v67, s90, v49
	s_and_saveexec_b32 s91, s38
	s_cbranch_execnz .LBB129_95
.LBB129_25:                             ;   in Loop: Header=BB129_21 Depth=1
	s_or_b32 exec_lo, exec_lo, s91
	v_add_nc_u32_e32 v66, s90, v50
	s_and_saveexec_b32 s91, s39
	s_cbranch_execnz .LBB129_96
.LBB129_26:                             ;   in Loop: Header=BB129_21 Depth=1
	s_or_b32 exec_lo, exec_lo, s91
	v_add_nc_u32_e32 v64, s90, v51
	s_and_saveexec_b32 s91, s40
	s_cbranch_execnz .LBB129_97
.LBB129_27:                             ;   in Loop: Header=BB129_21 Depth=1
	s_or_b32 exec_lo, exec_lo, s91
	v_add_nc_u32_e32 v63, s90, v52
	s_and_saveexec_b32 s91, s41
	s_cbranch_execnz .LBB129_98
.LBB129_28:                             ;   in Loop: Header=BB129_21 Depth=1
	s_or_b32 exec_lo, exec_lo, s91
	v_add_nc_u32_e32 v65, s90, v53
	s_and_saveexec_b32 s90, s42
	s_cbranch_execz .LBB129_30
.LBB129_29:                             ;   in Loop: Header=BB129_21 Depth=1
	v_add_co_u32 v45, vcc_lo, v45, v62
	v_add_co_ci_u32_e64 v71, null, 0, v71, vcc_lo
	v_add_co_u32 v45, vcc_lo, 0x380, v45
	v_add_co_ci_u32_e64 v71, null, 0, v71, vcc_lo
	;; [unrolled: 2-line block ×4, first 2 shown]
	v_cndmask_b32_e64 v72, v72, v71, s0
	v_cndmask_b32_e64 v71, v73, v45, s0
	v_lshlrev_b64 v[43:44], 2, v[43:44]
	global_load_dword v45, v[71:72], off
	v_add_co_u32 v71, vcc_lo, s30, v43
	v_add_co_ci_u32_e64 v72, null, s31, v44, vcc_lo
	v_add_co_u32 v43, vcc_lo, s26, v43
	v_add_co_ci_u32_e64 v44, null, s27, v44, vcc_lo
	global_store_dword v[71:72], v65, off offset:896
	s_waitcnt vmcnt(0)
	global_store_dword v[43:44], v45, off offset:896
.LBB129_30:                             ;   in Loop: Header=BB129_21 Depth=1
	s_or_b32 exec_lo, exec_lo, s90
	v_add_co_u32 v43, vcc_lo, v2, s9
	v_add_co_ci_u32_e64 v45, null, s87, v54, vcc_lo
	v_mad_u64_u32 v[43:44], null, v43, s16, s[22:23]
	v_mad_u64_u32 v[44:45], null, v45, s16, v[44:45]
	v_add_co_u32 v45, vcc_lo, s88, v13
	v_add_co_ci_u32_e64 v71, null, s89, v14, vcc_lo
	s_and_saveexec_b32 s90, s43
	s_cbranch_execnz .LBB129_99
; %bb.31:                               ;   in Loop: Header=BB129_21 Depth=1
	s_or_b32 exec_lo, exec_lo, s90
	s_and_saveexec_b32 s90, s44
	s_cbranch_execnz .LBB129_100
.LBB129_32:                             ;   in Loop: Header=BB129_21 Depth=1
	s_or_b32 exec_lo, exec_lo, s90
	s_and_saveexec_b32 s90, s45
	s_cbranch_execnz .LBB129_101
.LBB129_33:                             ;   in Loop: Header=BB129_21 Depth=1
	s_or_b32 exec_lo, exec_lo, s90
	s_and_saveexec_b32 s90, s46
	s_cbranch_execnz .LBB129_102
.LBB129_34:                             ;   in Loop: Header=BB129_21 Depth=1
	s_or_b32 exec_lo, exec_lo, s90
	s_and_saveexec_b32 s90, s47
	s_cbranch_execnz .LBB129_103
.LBB129_35:                             ;   in Loop: Header=BB129_21 Depth=1
	s_or_b32 exec_lo, exec_lo, s90
	s_and_saveexec_b32 s90, s48
	s_cbranch_execnz .LBB129_104
.LBB129_36:                             ;   in Loop: Header=BB129_21 Depth=1
	s_or_b32 exec_lo, exec_lo, s90
	s_and_saveexec_b32 s90, s49
	s_cbranch_execnz .LBB129_105
.LBB129_37:                             ;   in Loop: Header=BB129_21 Depth=1
	s_or_b32 exec_lo, exec_lo, s90
	s_and_saveexec_b32 s90, s8
	s_cbranch_execz .LBB129_39
.LBB129_38:                             ;   in Loop: Header=BB129_21 Depth=1
	v_add_co_u32 v45, vcc_lo, v45, v62
	v_add_co_ci_u32_e64 v71, null, 0, v71, vcc_lo
	v_add_co_u32 v72, vcc_lo, v60, v41
	v_add_co_ci_u32_e64 v73, null, v61, v42, vcc_lo
	;; [unrolled: 2-line block ×5, first 2 shown]
	v_cndmask_b32_e64 v72, v72, v71, s0
	v_cndmask_b32_e64 v71, v74, v45, s0
	v_lshlrev_b64 v[43:44], 2, v[43:44]
	global_load_dword v45, v[71:72], off
	v_add_co_u32 v71, vcc_lo, s30, v43
	v_add_co_ci_u32_e64 v72, null, s31, v44, vcc_lo
	v_add_co_u32 v43, vcc_lo, s26, v43
	v_add_co_ci_u32_e64 v44, null, s27, v44, vcc_lo
	global_store_dword v[71:72], v65, off offset:896
	s_waitcnt vmcnt(0)
	global_store_dword v[43:44], v45, off offset:896
.LBB129_39:                             ;   in Loop: Header=BB129_21 Depth=1
	s_or_b32 exec_lo, exec_lo, s90
	v_add_co_u32 v43, vcc_lo, v3, s9
	v_add_co_ci_u32_e64 v45, null, s87, v55, vcc_lo
	v_mad_u64_u32 v[43:44], null, v43, s16, s[22:23]
	v_mad_u64_u32 v[44:45], null, v45, s16, v[44:45]
	v_add_co_u32 v45, vcc_lo, s88, v15
	v_add_co_ci_u32_e64 v71, null, s89, v16, vcc_lo
	s_and_saveexec_b32 s90, s50
	s_cbranch_execnz .LBB129_106
; %bb.40:                               ;   in Loop: Header=BB129_21 Depth=1
	s_or_b32 exec_lo, exec_lo, s90
	s_and_saveexec_b32 s90, s51
	s_cbranch_execnz .LBB129_107
.LBB129_41:                             ;   in Loop: Header=BB129_21 Depth=1
	s_or_b32 exec_lo, exec_lo, s90
	s_and_saveexec_b32 s90, s52
	s_cbranch_execnz .LBB129_108
.LBB129_42:                             ;   in Loop: Header=BB129_21 Depth=1
	s_or_b32 exec_lo, exec_lo, s90
	s_and_saveexec_b32 s90, s53
	s_cbranch_execnz .LBB129_109
.LBB129_43:                             ;   in Loop: Header=BB129_21 Depth=1
	s_or_b32 exec_lo, exec_lo, s90
	s_and_saveexec_b32 s90, s54
	s_cbranch_execnz .LBB129_110
.LBB129_44:                             ;   in Loop: Header=BB129_21 Depth=1
	s_or_b32 exec_lo, exec_lo, s90
	s_and_saveexec_b32 s90, s55
	s_cbranch_execnz .LBB129_111
.LBB129_45:                             ;   in Loop: Header=BB129_21 Depth=1
	s_or_b32 exec_lo, exec_lo, s90
	s_and_saveexec_b32 s90, s56
	s_cbranch_execnz .LBB129_112
.LBB129_46:                             ;   in Loop: Header=BB129_21 Depth=1
	s_or_b32 exec_lo, exec_lo, s90
	s_and_saveexec_b32 s90, s6
	s_cbranch_execz .LBB129_48
.LBB129_47:                             ;   in Loop: Header=BB129_21 Depth=1
	v_add_co_u32 v45, vcc_lo, v45, v62
	v_add_co_ci_u32_e64 v71, null, 0, v71, vcc_lo
	v_add_co_u32 v72, vcc_lo, v60, v41
	v_add_co_ci_u32_e64 v73, null, v61, v42, vcc_lo
	;; [unrolled: 2-line block ×5, first 2 shown]
	v_cndmask_b32_e64 v72, v72, v71, s0
	v_cndmask_b32_e64 v71, v74, v45, s0
	v_lshlrev_b64 v[43:44], 2, v[43:44]
	global_load_dword v45, v[71:72], off
	v_add_co_u32 v71, vcc_lo, s30, v43
	v_add_co_ci_u32_e64 v72, null, s31, v44, vcc_lo
	v_add_co_u32 v43, vcc_lo, s26, v43
	v_add_co_ci_u32_e64 v44, null, s27, v44, vcc_lo
	global_store_dword v[71:72], v65, off offset:896
	s_waitcnt vmcnt(0)
	global_store_dword v[43:44], v45, off offset:896
.LBB129_48:                             ;   in Loop: Header=BB129_21 Depth=1
	s_or_b32 exec_lo, exec_lo, s90
	v_add_co_u32 v43, vcc_lo, v4, s9
	v_add_co_ci_u32_e64 v45, null, s87, v56, vcc_lo
	v_mad_u64_u32 v[43:44], null, v43, s16, s[22:23]
	v_mad_u64_u32 v[44:45], null, v45, s16, v[44:45]
	v_add_co_u32 v45, vcc_lo, s88, v17
	v_add_co_ci_u32_e64 v71, null, s89, v18, vcc_lo
	s_and_saveexec_b32 s90, s57
	s_cbranch_execnz .LBB129_113
; %bb.49:                               ;   in Loop: Header=BB129_21 Depth=1
	s_or_b32 exec_lo, exec_lo, s90
	s_and_saveexec_b32 s90, s58
	s_cbranch_execnz .LBB129_114
.LBB129_50:                             ;   in Loop: Header=BB129_21 Depth=1
	s_or_b32 exec_lo, exec_lo, s90
	s_and_saveexec_b32 s90, s59
	s_cbranch_execnz .LBB129_115
.LBB129_51:                             ;   in Loop: Header=BB129_21 Depth=1
	s_or_b32 exec_lo, exec_lo, s90
	s_and_saveexec_b32 s90, s60
	s_cbranch_execnz .LBB129_116
.LBB129_52:                             ;   in Loop: Header=BB129_21 Depth=1
	s_or_b32 exec_lo, exec_lo, s90
	s_and_saveexec_b32 s90, s61
	s_cbranch_execnz .LBB129_117
.LBB129_53:                             ;   in Loop: Header=BB129_21 Depth=1
	s_or_b32 exec_lo, exec_lo, s90
	s_and_saveexec_b32 s90, s62
	s_cbranch_execnz .LBB129_118
.LBB129_54:                             ;   in Loop: Header=BB129_21 Depth=1
	s_or_b32 exec_lo, exec_lo, s90
	s_and_saveexec_b32 s90, s63
	s_cbranch_execnz .LBB129_119
.LBB129_55:                             ;   in Loop: Header=BB129_21 Depth=1
	s_or_b32 exec_lo, exec_lo, s90
	s_and_saveexec_b32 s90, s1
	s_cbranch_execz .LBB129_57
.LBB129_56:                             ;   in Loop: Header=BB129_21 Depth=1
	v_add_co_u32 v45, vcc_lo, v45, v62
	v_add_co_ci_u32_e64 v71, null, 0, v71, vcc_lo
	v_add_co_u32 v72, vcc_lo, v60, v41
	v_add_co_ci_u32_e64 v73, null, v61, v42, vcc_lo
	;; [unrolled: 2-line block ×5, first 2 shown]
	v_cndmask_b32_e64 v72, v72, v71, s0
	v_cndmask_b32_e64 v71, v74, v45, s0
	v_lshlrev_b64 v[43:44], 2, v[43:44]
	global_load_dword v45, v[71:72], off
	v_add_co_u32 v71, vcc_lo, s30, v43
	v_add_co_ci_u32_e64 v72, null, s31, v44, vcc_lo
	v_add_co_u32 v43, vcc_lo, s26, v43
	v_add_co_ci_u32_e64 v44, null, s27, v44, vcc_lo
	global_store_dword v[71:72], v65, off offset:896
	s_waitcnt vmcnt(0)
	global_store_dword v[43:44], v45, off offset:896
.LBB129_57:                             ;   in Loop: Header=BB129_21 Depth=1
	s_or_b32 exec_lo, exec_lo, s90
	v_add_co_u32 v43, vcc_lo, v5, s9
	v_add_co_ci_u32_e64 v45, null, s87, v6, vcc_lo
	v_mad_u64_u32 v[43:44], null, v43, s16, s[22:23]
	v_mad_u64_u32 v[44:45], null, v45, s16, v[44:45]
	v_add_co_u32 v45, vcc_lo, s88, v19
	v_add_co_ci_u32_e64 v71, null, s89, v20, vcc_lo
	s_and_saveexec_b32 s90, s64
	s_cbranch_execnz .LBB129_120
; %bb.58:                               ;   in Loop: Header=BB129_21 Depth=1
	s_or_b32 exec_lo, exec_lo, s90
	s_and_saveexec_b32 s90, s65
	s_cbranch_execnz .LBB129_121
.LBB129_59:                             ;   in Loop: Header=BB129_21 Depth=1
	s_or_b32 exec_lo, exec_lo, s90
	s_and_saveexec_b32 s90, s66
	s_cbranch_execnz .LBB129_122
.LBB129_60:                             ;   in Loop: Header=BB129_21 Depth=1
	s_or_b32 exec_lo, exec_lo, s90
	s_and_saveexec_b32 s90, s67
	s_cbranch_execnz .LBB129_123
.LBB129_61:                             ;   in Loop: Header=BB129_21 Depth=1
	s_or_b32 exec_lo, exec_lo, s90
	s_and_saveexec_b32 s90, s68
	s_cbranch_execnz .LBB129_124
.LBB129_62:                             ;   in Loop: Header=BB129_21 Depth=1
	s_or_b32 exec_lo, exec_lo, s90
	s_and_saveexec_b32 s90, s69
	s_cbranch_execnz .LBB129_125
.LBB129_63:                             ;   in Loop: Header=BB129_21 Depth=1
	s_or_b32 exec_lo, exec_lo, s90
	s_and_saveexec_b32 s90, s70
	s_cbranch_execnz .LBB129_126
.LBB129_64:                             ;   in Loop: Header=BB129_21 Depth=1
	s_or_b32 exec_lo, exec_lo, s90
	s_and_saveexec_b32 s90, s71
	s_cbranch_execz .LBB129_66
.LBB129_65:                             ;   in Loop: Header=BB129_21 Depth=1
	v_add_co_u32 v45, vcc_lo, v45, v62
	v_add_co_ci_u32_e64 v71, null, 0, v71, vcc_lo
	v_add_co_u32 v72, vcc_lo, v60, v41
	v_add_co_ci_u32_e64 v73, null, v61, v42, vcc_lo
	;; [unrolled: 2-line block ×5, first 2 shown]
	v_cndmask_b32_e64 v72, v72, v71, s0
	v_cndmask_b32_e64 v71, v74, v45, s0
	v_lshlrev_b64 v[43:44], 2, v[43:44]
	global_load_dword v45, v[71:72], off
	v_add_co_u32 v71, vcc_lo, s30, v43
	v_add_co_ci_u32_e64 v72, null, s31, v44, vcc_lo
	v_add_co_u32 v43, vcc_lo, s26, v43
	v_add_co_ci_u32_e64 v44, null, s27, v44, vcc_lo
	global_store_dword v[71:72], v65, off offset:896
	s_waitcnt vmcnt(0)
	global_store_dword v[43:44], v45, off offset:896
.LBB129_66:                             ;   in Loop: Header=BB129_21 Depth=1
	s_or_b32 exec_lo, exec_lo, s90
	v_add_co_u32 v43, vcc_lo, v7, s9
	v_add_co_ci_u32_e64 v45, null, s87, v8, vcc_lo
	v_mad_u64_u32 v[43:44], null, v43, s16, s[22:23]
	v_mad_u64_u32 v[44:45], null, v45, s16, v[44:45]
	v_add_co_u32 v45, vcc_lo, s88, v21
	v_add_co_ci_u32_e64 v71, null, s89, v22, vcc_lo
	s_and_saveexec_b32 s90, s72
	s_cbranch_execnz .LBB129_127
; %bb.67:                               ;   in Loop: Header=BB129_21 Depth=1
	s_or_b32 exec_lo, exec_lo, s90
	s_and_saveexec_b32 s90, s73
	s_cbranch_execnz .LBB129_128
.LBB129_68:                             ;   in Loop: Header=BB129_21 Depth=1
	s_or_b32 exec_lo, exec_lo, s90
	s_and_saveexec_b32 s90, s74
	s_cbranch_execnz .LBB129_129
.LBB129_69:                             ;   in Loop: Header=BB129_21 Depth=1
	s_or_b32 exec_lo, exec_lo, s90
	s_and_saveexec_b32 s90, s75
	s_cbranch_execnz .LBB129_130
.LBB129_70:                             ;   in Loop: Header=BB129_21 Depth=1
	s_or_b32 exec_lo, exec_lo, s90
	s_and_saveexec_b32 s90, s76
	s_cbranch_execnz .LBB129_131
.LBB129_71:                             ;   in Loop: Header=BB129_21 Depth=1
	s_or_b32 exec_lo, exec_lo, s90
	s_and_saveexec_b32 s90, s77
	s_cbranch_execnz .LBB129_132
.LBB129_72:                             ;   in Loop: Header=BB129_21 Depth=1
	s_or_b32 exec_lo, exec_lo, s90
	s_and_saveexec_b32 s90, s78
	s_cbranch_execnz .LBB129_133
.LBB129_73:                             ;   in Loop: Header=BB129_21 Depth=1
	s_or_b32 exec_lo, exec_lo, s90
	s_and_saveexec_b32 s90, s7
	s_cbranch_execz .LBB129_75
.LBB129_74:                             ;   in Loop: Header=BB129_21 Depth=1
	v_add_co_u32 v45, vcc_lo, v45, v62
	v_add_co_ci_u32_e64 v71, null, 0, v71, vcc_lo
	v_add_co_u32 v72, vcc_lo, v60, v41
	v_add_co_ci_u32_e64 v73, null, v61, v42, vcc_lo
	;; [unrolled: 2-line block ×5, first 2 shown]
	v_cndmask_b32_e64 v72, v72, v71, s0
	v_cndmask_b32_e64 v71, v74, v45, s0
	v_lshlrev_b64 v[43:44], 2, v[43:44]
	global_load_dword v45, v[71:72], off
	v_add_co_u32 v71, vcc_lo, s30, v43
	v_add_co_ci_u32_e64 v72, null, s31, v44, vcc_lo
	v_add_co_u32 v43, vcc_lo, s26, v43
	v_add_co_ci_u32_e64 v44, null, s27, v44, vcc_lo
	global_store_dword v[71:72], v65, off offset:896
	s_waitcnt vmcnt(0)
	global_store_dword v[43:44], v45, off offset:896
.LBB129_75:                             ;   in Loop: Header=BB129_21 Depth=1
	s_or_b32 exec_lo, exec_lo, s90
	v_add_co_u32 v43, vcc_lo, v9, s9
	v_add_co_ci_u32_e64 v45, null, s87, v57, vcc_lo
	v_mad_u64_u32 v[43:44], null, v43, s16, s[22:23]
	v_mad_u64_u32 v[44:45], null, v45, s16, v[44:45]
	v_add_co_u32 v45, vcc_lo, s88, v23
	v_add_co_ci_u32_e64 v71, null, s89, v24, vcc_lo
	s_and_saveexec_b32 s90, s79
	s_cbranch_execnz .LBB129_134
; %bb.76:                               ;   in Loop: Header=BB129_21 Depth=1
	s_or_b32 exec_lo, exec_lo, s90
	s_and_saveexec_b32 s90, s80
	s_cbranch_execnz .LBB129_135
.LBB129_77:                             ;   in Loop: Header=BB129_21 Depth=1
	s_or_b32 exec_lo, exec_lo, s90
	s_and_saveexec_b32 s90, s81
	s_cbranch_execnz .LBB129_136
.LBB129_78:                             ;   in Loop: Header=BB129_21 Depth=1
	s_or_b32 exec_lo, exec_lo, s90
	s_and_saveexec_b32 s90, s82
	s_cbranch_execnz .LBB129_137
.LBB129_79:                             ;   in Loop: Header=BB129_21 Depth=1
	s_or_b32 exec_lo, exec_lo, s90
	s_and_saveexec_b32 s90, s83
	s_cbranch_execnz .LBB129_138
.LBB129_80:                             ;   in Loop: Header=BB129_21 Depth=1
	s_or_b32 exec_lo, exec_lo, s90
	s_and_saveexec_b32 s90, s84
	s_cbranch_execnz .LBB129_139
.LBB129_81:                             ;   in Loop: Header=BB129_21 Depth=1
	s_or_b32 exec_lo, exec_lo, s90
	s_and_saveexec_b32 s90, s85
	s_cbranch_execnz .LBB129_140
.LBB129_82:                             ;   in Loop: Header=BB129_21 Depth=1
	s_or_b32 exec_lo, exec_lo, s90
	s_and_saveexec_b32 s90, s10
	s_cbranch_execz .LBB129_84
.LBB129_83:                             ;   in Loop: Header=BB129_21 Depth=1
	v_add_co_u32 v45, vcc_lo, v45, v62
	v_add_co_ci_u32_e64 v71, null, 0, v71, vcc_lo
	v_add_co_u32 v72, vcc_lo, v60, v41
	v_add_co_ci_u32_e64 v73, null, v61, v42, vcc_lo
	;; [unrolled: 2-line block ×5, first 2 shown]
	v_cndmask_b32_e64 v72, v72, v71, s0
	v_cndmask_b32_e64 v71, v74, v45, s0
	v_lshlrev_b64 v[43:44], 2, v[43:44]
	global_load_dword v45, v[71:72], off
	v_add_co_u32 v71, vcc_lo, s30, v43
	v_add_co_ci_u32_e64 v72, null, s31, v44, vcc_lo
	v_add_co_u32 v43, vcc_lo, s26, v43
	v_add_co_ci_u32_e64 v44, null, s27, v44, vcc_lo
	global_store_dword v[71:72], v65, off offset:896
	s_waitcnt vmcnt(0)
	global_store_dword v[43:44], v45, off offset:896
.LBB129_84:                             ;   in Loop: Header=BB129_21 Depth=1
	s_or_b32 exec_lo, exec_lo, s90
	v_add_co_u32 v43, vcc_lo, v10, s9
	v_add_co_ci_u32_e64 v45, null, s87, v58, vcc_lo
	v_mad_u64_u32 v[43:44], null, v43, s16, s[22:23]
	v_mad_u64_u32 v[44:45], null, v45, s16, v[44:45]
	v_add_co_u32 v45, vcc_lo, s88, v25
	v_add_co_ci_u32_e64 v71, null, s89, v26, vcc_lo
	s_and_saveexec_b32 s9, s86
	s_cbranch_execnz .LBB129_141
; %bb.85:                               ;   in Loop: Header=BB129_21 Depth=1
	s_or_b32 exec_lo, exec_lo, s9
	s_and_saveexec_b32 s9, s11
	s_cbranch_execnz .LBB129_142
.LBB129_86:                             ;   in Loop: Header=BB129_21 Depth=1
	s_or_b32 exec_lo, exec_lo, s9
	s_and_saveexec_b32 s9, s12
	s_cbranch_execnz .LBB129_143
.LBB129_87:                             ;   in Loop: Header=BB129_21 Depth=1
	s_or_b32 exec_lo, exec_lo, s9
	s_and_saveexec_b32 s9, s13
	s_cbranch_execnz .LBB129_144
.LBB129_88:                             ;   in Loop: Header=BB129_21 Depth=1
	s_or_b32 exec_lo, exec_lo, s9
	s_and_saveexec_b32 s9, s14
	s_cbranch_execnz .LBB129_145
.LBB129_89:                             ;   in Loop: Header=BB129_21 Depth=1
	s_or_b32 exec_lo, exec_lo, s9
	s_and_saveexec_b32 s9, s15
	s_cbranch_execnz .LBB129_146
.LBB129_90:                             ;   in Loop: Header=BB129_21 Depth=1
	s_or_b32 exec_lo, exec_lo, s9
	s_and_saveexec_b32 s9, s4
	s_cbranch_execnz .LBB129_147
.LBB129_91:                             ;   in Loop: Header=BB129_21 Depth=1
	s_or_b32 exec_lo, exec_lo, s9
	s_and_saveexec_b32 s9, s5
	s_cbranch_execz .LBB129_20
	s_branch .LBB129_148
.LBB129_92:                             ;   in Loop: Header=BB129_21 Depth=1
	v_add_co_u32 v63, vcc_lo, v45, v62
	v_add_co_ci_u32_e64 v64, null, 0, v71, vcc_lo
	v_add_co_u32 v65, vcc_lo, v60, v27
	v_add_co_ci_u32_e64 v66, null, v61, v28, vcc_lo
	v_cndmask_b32_e64 v63, v65, v63, s0
	v_cndmask_b32_e64 v64, v66, v64, s0
	global_load_dword v67, v[63:64], off
	v_add_co_u32 v63, vcc_lo, v43, v46
	v_add_co_ci_u32_e64 v64, null, 0, v44, vcc_lo
	v_lshlrev_b64 v[63:64], 2, v[63:64]
	v_add_co_u32 v65, vcc_lo, s30, v63
	v_add_co_ci_u32_e64 v66, null, s31, v64, vcc_lo
	v_add_co_u32 v63, vcc_lo, s26, v63
	v_add_co_ci_u32_e64 v64, null, s27, v64, vcc_lo
	global_store_dword v[65:66], v68, off
	s_waitcnt vmcnt(0)
	global_store_dword v[63:64], v67, off
	s_or_b32 exec_lo, exec_lo, s91
	v_add_nc_u32_e32 v70, s90, v47
	s_and_saveexec_b32 s91, s36
	s_cbranch_execz .LBB129_23
.LBB129_93:                             ;   in Loop: Header=BB129_21 Depth=1
	v_add_co_u32 v63, vcc_lo, v45, v62
	v_add_co_ci_u32_e64 v64, null, 0, v71, vcc_lo
	v_add_co_u32 v63, vcc_lo, 0x80, v63
	v_add_co_ci_u32_e64 v64, null, 0, v64, vcc_lo
	v_add_co_u32 v65, vcc_lo, v60, v29
	v_add_co_ci_u32_e64 v66, null, v61, v30, vcc_lo
	v_cndmask_b32_e64 v63, v65, v63, s0
	v_cndmask_b32_e64 v64, v66, v64, s0
	global_load_dword v67, v[63:64], off
	v_add_co_u32 v63, vcc_lo, v43, v46
	v_add_co_ci_u32_e64 v64, null, 0, v44, vcc_lo
	v_lshlrev_b64 v[63:64], 2, v[63:64]
	v_add_co_u32 v65, vcc_lo, s30, v63
	v_add_co_ci_u32_e64 v66, null, s31, v64, vcc_lo
	v_add_co_u32 v63, vcc_lo, s26, v63
	v_add_co_ci_u32_e64 v64, null, s27, v64, vcc_lo
	global_store_dword v[65:66], v70, off offset:128
	s_waitcnt vmcnt(0)
	global_store_dword v[63:64], v67, off offset:128
	s_or_b32 exec_lo, exec_lo, s91
	v_add_nc_u32_e32 v69, s90, v48
	s_and_saveexec_b32 s91, s37
	s_cbranch_execz .LBB129_24
.LBB129_94:                             ;   in Loop: Header=BB129_21 Depth=1
	v_add_co_u32 v63, vcc_lo, v45, v62
	v_add_co_ci_u32_e64 v64, null, 0, v71, vcc_lo
	v_add_co_u32 v63, vcc_lo, 0x100, v63
	v_add_co_ci_u32_e64 v64, null, 0, v64, vcc_lo
	;; [unrolled: 2-line block ×3, first 2 shown]
	v_cndmask_b32_e64 v63, v65, v63, s0
	v_cndmask_b32_e64 v64, v66, v64, s0
	global_load_dword v67, v[63:64], off
	v_add_co_u32 v63, vcc_lo, v43, v46
	v_add_co_ci_u32_e64 v64, null, 0, v44, vcc_lo
	v_lshlrev_b64 v[63:64], 2, v[63:64]
	v_add_co_u32 v65, vcc_lo, s30, v63
	v_add_co_ci_u32_e64 v66, null, s31, v64, vcc_lo
	v_add_co_u32 v63, vcc_lo, s26, v63
	v_add_co_ci_u32_e64 v64, null, s27, v64, vcc_lo
	global_store_dword v[65:66], v69, off offset:256
	s_waitcnt vmcnt(0)
	global_store_dword v[63:64], v67, off offset:256
	s_or_b32 exec_lo, exec_lo, s91
	v_add_nc_u32_e32 v67, s90, v49
	s_and_saveexec_b32 s91, s38
	s_cbranch_execz .LBB129_25
.LBB129_95:                             ;   in Loop: Header=BB129_21 Depth=1
	v_add_co_u32 v63, vcc_lo, v45, v62
	v_add_co_ci_u32_e64 v64, null, 0, v71, vcc_lo
	v_add_co_u32 v63, vcc_lo, 0x180, v63
	v_add_co_ci_u32_e64 v64, null, 0, v64, vcc_lo
	;; [unrolled: 2-line block ×3, first 2 shown]
	v_cndmask_b32_e64 v63, v65, v63, s0
	v_cndmask_b32_e64 v64, v66, v64, s0
	global_load_dword v72, v[63:64], off
	v_add_co_u32 v63, vcc_lo, v43, v46
	v_add_co_ci_u32_e64 v64, null, 0, v44, vcc_lo
	v_lshlrev_b64 v[63:64], 2, v[63:64]
	v_add_co_u32 v65, vcc_lo, s30, v63
	v_add_co_ci_u32_e64 v66, null, s31, v64, vcc_lo
	v_add_co_u32 v63, vcc_lo, s26, v63
	v_add_co_ci_u32_e64 v64, null, s27, v64, vcc_lo
	global_store_dword v[65:66], v67, off offset:384
	s_waitcnt vmcnt(0)
	global_store_dword v[63:64], v72, off offset:384
	s_or_b32 exec_lo, exec_lo, s91
	v_add_nc_u32_e32 v66, s90, v50
	s_and_saveexec_b32 s91, s39
	s_cbranch_execz .LBB129_26
.LBB129_96:                             ;   in Loop: Header=BB129_21 Depth=1
	v_add_co_u32 v63, vcc_lo, v45, v62
	v_add_co_ci_u32_e64 v64, null, 0, v71, vcc_lo
	v_add_co_u32 v63, vcc_lo, 0x200, v63
	v_add_co_ci_u32_e64 v64, null, 0, v64, vcc_lo
	v_add_co_u32 v65, vcc_lo, v60, v35
	v_add_co_ci_u32_e64 v72, null, v61, v36, vcc_lo
	v_cndmask_b32_e64 v63, v65, v63, s0
	v_cndmask_b32_e64 v64, v72, v64, s0
	global_load_dword v65, v[63:64], off
	v_add_co_u32 v63, vcc_lo, v43, v46
	v_add_co_ci_u32_e64 v64, null, 0, v44, vcc_lo
	v_lshlrev_b64 v[63:64], 2, v[63:64]
	v_add_co_u32 v72, vcc_lo, s30, v63
	v_add_co_ci_u32_e64 v73, null, s31, v64, vcc_lo
	v_add_co_u32 v63, vcc_lo, s26, v63
	v_add_co_ci_u32_e64 v64, null, s27, v64, vcc_lo
	global_store_dword v[72:73], v66, off offset:512
	s_waitcnt vmcnt(0)
	global_store_dword v[63:64], v65, off offset:512
	s_or_b32 exec_lo, exec_lo, s91
	v_add_nc_u32_e32 v64, s90, v51
	s_and_saveexec_b32 s91, s40
	s_cbranch_execz .LBB129_27
.LBB129_97:                             ;   in Loop: Header=BB129_21 Depth=1
	v_add_co_u32 v63, vcc_lo, v45, v62
	v_add_co_ci_u32_e64 v65, null, 0, v71, vcc_lo
	v_add_co_u32 v63, vcc_lo, 0x280, v63
	v_add_co_ci_u32_e64 v65, null, 0, v65, vcc_lo
	;; [unrolled: 2-line block ×3, first 2 shown]
	v_cndmask_b32_e64 v72, v72, v63, s0
	v_cndmask_b32_e64 v73, v73, v65, s0
	global_load_dword v63, v[72:73], off
	v_add_co_u32 v72, vcc_lo, v43, v46
	v_add_co_ci_u32_e64 v73, null, 0, v44, vcc_lo
	v_lshlrev_b64 v[72:73], 2, v[72:73]
	v_add_co_u32 v74, vcc_lo, s30, v72
	v_add_co_ci_u32_e64 v75, null, s31, v73, vcc_lo
	v_add_co_u32 v72, vcc_lo, s26, v72
	v_add_co_ci_u32_e64 v73, null, s27, v73, vcc_lo
	global_store_dword v[74:75], v64, off offset:640
	s_waitcnt vmcnt(0)
	global_store_dword v[72:73], v63, off offset:640
	s_or_b32 exec_lo, exec_lo, s91
	v_add_nc_u32_e32 v63, s90, v52
	s_and_saveexec_b32 s91, s41
	s_cbranch_execz .LBB129_28
.LBB129_98:                             ;   in Loop: Header=BB129_21 Depth=1
	v_add_co_u32 v65, vcc_lo, v45, v62
	v_add_co_ci_u32_e64 v72, null, 0, v71, vcc_lo
	v_add_co_u32 v65, vcc_lo, 0x300, v65
	v_add_co_ci_u32_e64 v72, null, 0, v72, vcc_lo
	;; [unrolled: 2-line block ×3, first 2 shown]
	v_cndmask_b32_e64 v73, v73, v72, s0
	v_cndmask_b32_e64 v72, v74, v65, s0
	global_load_dword v65, v[72:73], off
	v_add_co_u32 v72, vcc_lo, v43, v46
	v_add_co_ci_u32_e64 v73, null, 0, v44, vcc_lo
	v_lshlrev_b64 v[72:73], 2, v[72:73]
	v_add_co_u32 v74, vcc_lo, s30, v72
	v_add_co_ci_u32_e64 v75, null, s31, v73, vcc_lo
	v_add_co_u32 v72, vcc_lo, s26, v72
	v_add_co_ci_u32_e64 v73, null, s27, v73, vcc_lo
	global_store_dword v[74:75], v63, off offset:768
	s_waitcnt vmcnt(0)
	global_store_dword v[72:73], v65, off offset:768
	s_or_b32 exec_lo, exec_lo, s91
	v_add_nc_u32_e32 v65, s90, v53
	s_and_saveexec_b32 s90, s42
	s_cbranch_execnz .LBB129_29
	s_branch .LBB129_30
.LBB129_99:                             ;   in Loop: Header=BB129_21 Depth=1
	v_add_co_u32 v72, vcc_lo, v60, v27
	v_add_co_ci_u32_e64 v73, null, v61, v28, vcc_lo
	v_add_co_u32 v74, vcc_lo, v45, v62
	v_add_co_ci_u32_e64 v75, null, 0, v71, vcc_lo
	;; [unrolled: 2-line block ×3, first 2 shown]
	v_cndmask_b32_e64 v72, v72, v74, s0
	v_cndmask_b32_e64 v73, v73, v75, s0
	global_load_dword v76, v[72:73], off
	v_add_co_u32 v72, vcc_lo, v43, v46
	v_add_co_ci_u32_e64 v73, null, 0, v44, vcc_lo
	v_lshlrev_b64 v[72:73], 2, v[72:73]
	v_add_co_u32 v74, vcc_lo, s30, v72
	v_add_co_ci_u32_e64 v75, null, s31, v73, vcc_lo
	v_add_co_u32 v72, vcc_lo, s26, v72
	v_add_co_ci_u32_e64 v73, null, s27, v73, vcc_lo
	global_store_dword v[74:75], v68, off
	s_waitcnt vmcnt(0)
	global_store_dword v[72:73], v76, off
	s_or_b32 exec_lo, exec_lo, s90
	s_and_saveexec_b32 s90, s44
	s_cbranch_execz .LBB129_32
.LBB129_100:                            ;   in Loop: Header=BB129_21 Depth=1
	v_add_co_u32 v72, vcc_lo, v45, v62
	v_add_co_ci_u32_e64 v73, null, 0, v71, vcc_lo
	v_add_co_u32 v74, vcc_lo, v60, v29
	v_add_co_ci_u32_e64 v75, null, v61, v30, vcc_lo
	v_cndmask_b32_e64 v72, v74, v72, s0
	v_cndmask_b32_e64 v73, v75, v73, s0
	global_load_dword v76, v[72:73], off offset:128
	v_add_co_u32 v72, vcc_lo, v43, v46
	v_add_co_ci_u32_e64 v73, null, 0, v44, vcc_lo
	v_lshlrev_b64 v[72:73], 2, v[72:73]
	v_add_co_u32 v74, vcc_lo, s30, v72
	v_add_co_ci_u32_e64 v75, null, s31, v73, vcc_lo
	v_add_co_u32 v72, vcc_lo, s26, v72
	v_add_co_ci_u32_e64 v73, null, s27, v73, vcc_lo
	global_store_dword v[74:75], v70, off offset:128
	s_waitcnt vmcnt(0)
	global_store_dword v[72:73], v76, off offset:128
	s_or_b32 exec_lo, exec_lo, s90
	s_and_saveexec_b32 s90, s45
	s_cbranch_execz .LBB129_33
.LBB129_101:                            ;   in Loop: Header=BB129_21 Depth=1
	v_add_co_u32 v72, vcc_lo, v45, v62
	v_add_co_ci_u32_e64 v73, null, 0, v71, vcc_lo
	v_add_co_u32 v74, vcc_lo, v60, v31
	v_add_co_ci_u32_e64 v75, null, v61, v32, vcc_lo
	;; [unrolled: 2-line block ×4, first 2 shown]
	v_cndmask_b32_e64 v72, v74, v72, s0
	v_cndmask_b32_e64 v73, v75, v73, s0
	global_load_dword v76, v[72:73], off
	v_add_co_u32 v72, vcc_lo, v43, v46
	v_add_co_ci_u32_e64 v73, null, 0, v44, vcc_lo
	v_lshlrev_b64 v[72:73], 2, v[72:73]
	v_add_co_u32 v74, vcc_lo, s30, v72
	v_add_co_ci_u32_e64 v75, null, s31, v73, vcc_lo
	v_add_co_u32 v72, vcc_lo, s26, v72
	v_add_co_ci_u32_e64 v73, null, s27, v73, vcc_lo
	global_store_dword v[74:75], v69, off offset:256
	s_waitcnt vmcnt(0)
	global_store_dword v[72:73], v76, off offset:256
	s_or_b32 exec_lo, exec_lo, s90
	s_and_saveexec_b32 s90, s46
	s_cbranch_execz .LBB129_34
.LBB129_102:                            ;   in Loop: Header=BB129_21 Depth=1
	v_add_co_u32 v72, vcc_lo, v45, v62
	v_add_co_ci_u32_e64 v73, null, 0, v71, vcc_lo
	v_add_co_u32 v74, vcc_lo, v60, v33
	v_add_co_ci_u32_e64 v75, null, v61, v34, vcc_lo
	;; [unrolled: 2-line block ×4, first 2 shown]
	v_cndmask_b32_e64 v72, v74, v72, s0
	v_cndmask_b32_e64 v73, v75, v73, s0
	global_load_dword v76, v[72:73], off
	v_add_co_u32 v72, vcc_lo, v43, v46
	v_add_co_ci_u32_e64 v73, null, 0, v44, vcc_lo
	v_lshlrev_b64 v[72:73], 2, v[72:73]
	v_add_co_u32 v74, vcc_lo, s30, v72
	v_add_co_ci_u32_e64 v75, null, s31, v73, vcc_lo
	v_add_co_u32 v72, vcc_lo, s26, v72
	v_add_co_ci_u32_e64 v73, null, s27, v73, vcc_lo
	global_store_dword v[74:75], v67, off offset:384
	s_waitcnt vmcnt(0)
	global_store_dword v[72:73], v76, off offset:384
	s_or_b32 exec_lo, exec_lo, s90
	s_and_saveexec_b32 s90, s47
	s_cbranch_execz .LBB129_35
.LBB129_103:                            ;   in Loop: Header=BB129_21 Depth=1
	v_add_co_u32 v72, vcc_lo, v45, v62
	v_add_co_ci_u32_e64 v73, null, 0, v71, vcc_lo
	v_add_co_u32 v74, vcc_lo, v60, v35
	v_add_co_ci_u32_e64 v75, null, v61, v36, vcc_lo
	;; [unrolled: 2-line block ×4, first 2 shown]
	v_cndmask_b32_e64 v72, v74, v72, s0
	v_cndmask_b32_e64 v73, v75, v73, s0
	global_load_dword v76, v[72:73], off
	v_add_co_u32 v72, vcc_lo, v43, v46
	v_add_co_ci_u32_e64 v73, null, 0, v44, vcc_lo
	v_lshlrev_b64 v[72:73], 2, v[72:73]
	v_add_co_u32 v74, vcc_lo, s30, v72
	v_add_co_ci_u32_e64 v75, null, s31, v73, vcc_lo
	v_add_co_u32 v72, vcc_lo, s26, v72
	v_add_co_ci_u32_e64 v73, null, s27, v73, vcc_lo
	global_store_dword v[74:75], v66, off offset:512
	s_waitcnt vmcnt(0)
	global_store_dword v[72:73], v76, off offset:512
	s_or_b32 exec_lo, exec_lo, s90
	s_and_saveexec_b32 s90, s48
	s_cbranch_execz .LBB129_36
.LBB129_104:                            ;   in Loop: Header=BB129_21 Depth=1
	v_add_co_u32 v72, vcc_lo, v45, v62
	v_add_co_ci_u32_e64 v73, null, 0, v71, vcc_lo
	v_add_co_u32 v74, vcc_lo, v60, v37
	v_add_co_ci_u32_e64 v75, null, v61, v38, vcc_lo
	v_add_co_u32 v72, vcc_lo, 0x280, v72
	v_add_co_ci_u32_e64 v73, null, 0, v73, vcc_lo
	v_add_co_u32 v74, vcc_lo, 0x80, v74
	v_add_co_ci_u32_e64 v75, null, 0, v75, vcc_lo
	v_cndmask_b32_e64 v72, v74, v72, s0
	v_cndmask_b32_e64 v73, v75, v73, s0
	global_load_dword v76, v[72:73], off
	v_add_co_u32 v72, vcc_lo, v43, v46
	v_add_co_ci_u32_e64 v73, null, 0, v44, vcc_lo
	v_lshlrev_b64 v[72:73], 2, v[72:73]
	v_add_co_u32 v74, vcc_lo, s30, v72
	v_add_co_ci_u32_e64 v75, null, s31, v73, vcc_lo
	v_add_co_u32 v72, vcc_lo, s26, v72
	v_add_co_ci_u32_e64 v73, null, s27, v73, vcc_lo
	global_store_dword v[74:75], v64, off offset:640
	s_waitcnt vmcnt(0)
	global_store_dword v[72:73], v76, off offset:640
	s_or_b32 exec_lo, exec_lo, s90
	s_and_saveexec_b32 s90, s49
	s_cbranch_execz .LBB129_37
.LBB129_105:                            ;   in Loop: Header=BB129_21 Depth=1
	v_add_co_u32 v72, vcc_lo, v45, v62
	v_add_co_ci_u32_e64 v73, null, 0, v71, vcc_lo
	v_add_co_u32 v74, vcc_lo, v60, v39
	v_add_co_ci_u32_e64 v75, null, v61, v40, vcc_lo
	;; [unrolled: 2-line block ×4, first 2 shown]
	v_cndmask_b32_e64 v72, v74, v72, s0
	v_cndmask_b32_e64 v73, v75, v73, s0
	global_load_dword v76, v[72:73], off
	v_add_co_u32 v72, vcc_lo, v43, v46
	v_add_co_ci_u32_e64 v73, null, 0, v44, vcc_lo
	v_lshlrev_b64 v[72:73], 2, v[72:73]
	v_add_co_u32 v74, vcc_lo, s30, v72
	v_add_co_ci_u32_e64 v75, null, s31, v73, vcc_lo
	v_add_co_u32 v72, vcc_lo, s26, v72
	v_add_co_ci_u32_e64 v73, null, s27, v73, vcc_lo
	global_store_dword v[74:75], v63, off offset:768
	s_waitcnt vmcnt(0)
	global_store_dword v[72:73], v76, off offset:768
	s_or_b32 exec_lo, exec_lo, s90
	s_and_saveexec_b32 s90, s8
	s_cbranch_execnz .LBB129_38
	s_branch .LBB129_39
.LBB129_106:                            ;   in Loop: Header=BB129_21 Depth=1
	v_add_co_u32 v72, vcc_lo, v60, v27
	v_add_co_ci_u32_e64 v73, null, v61, v28, vcc_lo
	v_add_co_u32 v74, vcc_lo, v45, v62
	v_add_co_ci_u32_e64 v75, null, 0, v71, vcc_lo
	;; [unrolled: 2-line block ×3, first 2 shown]
	v_cndmask_b32_e64 v72, v72, v74, s0
	v_cndmask_b32_e64 v73, v73, v75, s0
	global_load_dword v76, v[72:73], off
	v_add_co_u32 v72, vcc_lo, v43, v46
	v_add_co_ci_u32_e64 v73, null, 0, v44, vcc_lo
	v_lshlrev_b64 v[72:73], 2, v[72:73]
	v_add_co_u32 v74, vcc_lo, s30, v72
	v_add_co_ci_u32_e64 v75, null, s31, v73, vcc_lo
	v_add_co_u32 v72, vcc_lo, s26, v72
	v_add_co_ci_u32_e64 v73, null, s27, v73, vcc_lo
	global_store_dword v[74:75], v68, off
	s_waitcnt vmcnt(0)
	global_store_dword v[72:73], v76, off
	s_or_b32 exec_lo, exec_lo, s90
	s_and_saveexec_b32 s90, s51
	s_cbranch_execz .LBB129_41
.LBB129_107:                            ;   in Loop: Header=BB129_21 Depth=1
	v_add_co_u32 v72, vcc_lo, v45, v62
	v_add_co_ci_u32_e64 v73, null, 0, v71, vcc_lo
	v_add_co_u32 v74, vcc_lo, v60, v29
	v_add_co_ci_u32_e64 v75, null, v61, v30, vcc_lo
	v_add_co_u32 v72, vcc_lo, 0x80, v72
	v_add_co_ci_u32_e64 v73, null, 0, v73, vcc_lo
	v_add_co_u32 v74, vcc_lo, 0x100, v74
	v_add_co_ci_u32_e64 v75, null, 0, v75, vcc_lo
	v_cndmask_b32_e64 v72, v74, v72, s0
	v_cndmask_b32_e64 v73, v75, v73, s0
	global_load_dword v76, v[72:73], off
	v_add_co_u32 v72, vcc_lo, v43, v46
	v_add_co_ci_u32_e64 v73, null, 0, v44, vcc_lo
	v_lshlrev_b64 v[72:73], 2, v[72:73]
	v_add_co_u32 v74, vcc_lo, s30, v72
	v_add_co_ci_u32_e64 v75, null, s31, v73, vcc_lo
	v_add_co_u32 v72, vcc_lo, s26, v72
	v_add_co_ci_u32_e64 v73, null, s27, v73, vcc_lo
	global_store_dword v[74:75], v70, off offset:128
	s_waitcnt vmcnt(0)
	global_store_dword v[72:73], v76, off offset:128
	s_or_b32 exec_lo, exec_lo, s90
	s_and_saveexec_b32 s90, s52
	s_cbranch_execz .LBB129_42
.LBB129_108:                            ;   in Loop: Header=BB129_21 Depth=1
	v_add_co_u32 v72, vcc_lo, v45, v62
	v_add_co_ci_u32_e64 v73, null, 0, v71, vcc_lo
	v_add_co_u32 v74, vcc_lo, v60, v31
	v_add_co_ci_u32_e64 v75, null, v61, v32, vcc_lo
	v_cndmask_b32_e64 v72, v74, v72, s0
	v_cndmask_b32_e64 v73, v75, v73, s0
	global_load_dword v76, v[72:73], off offset:256
	v_add_co_u32 v72, vcc_lo, v43, v46
	v_add_co_ci_u32_e64 v73, null, 0, v44, vcc_lo
	v_lshlrev_b64 v[72:73], 2, v[72:73]
	v_add_co_u32 v74, vcc_lo, s30, v72
	v_add_co_ci_u32_e64 v75, null, s31, v73, vcc_lo
	v_add_co_u32 v72, vcc_lo, s26, v72
	v_add_co_ci_u32_e64 v73, null, s27, v73, vcc_lo
	global_store_dword v[74:75], v69, off offset:256
	s_waitcnt vmcnt(0)
	global_store_dword v[72:73], v76, off offset:256
	s_or_b32 exec_lo, exec_lo, s90
	s_and_saveexec_b32 s90, s53
	s_cbranch_execz .LBB129_43
.LBB129_109:                            ;   in Loop: Header=BB129_21 Depth=1
	v_add_co_u32 v72, vcc_lo, v45, v62
	v_add_co_ci_u32_e64 v73, null, 0, v71, vcc_lo
	v_add_co_u32 v74, vcc_lo, v60, v33
	v_add_co_ci_u32_e64 v75, null, v61, v34, vcc_lo
	;; [unrolled: 2-line block ×4, first 2 shown]
	v_cndmask_b32_e64 v72, v74, v72, s0
	v_cndmask_b32_e64 v73, v75, v73, s0
	global_load_dword v76, v[72:73], off
	v_add_co_u32 v72, vcc_lo, v43, v46
	v_add_co_ci_u32_e64 v73, null, 0, v44, vcc_lo
	v_lshlrev_b64 v[72:73], 2, v[72:73]
	v_add_co_u32 v74, vcc_lo, s30, v72
	v_add_co_ci_u32_e64 v75, null, s31, v73, vcc_lo
	v_add_co_u32 v72, vcc_lo, s26, v72
	v_add_co_ci_u32_e64 v73, null, s27, v73, vcc_lo
	global_store_dword v[74:75], v67, off offset:384
	s_waitcnt vmcnt(0)
	global_store_dword v[72:73], v76, off offset:384
	s_or_b32 exec_lo, exec_lo, s90
	s_and_saveexec_b32 s90, s54
	s_cbranch_execz .LBB129_44
.LBB129_110:                            ;   in Loop: Header=BB129_21 Depth=1
	v_add_co_u32 v72, vcc_lo, v45, v62
	v_add_co_ci_u32_e64 v73, null, 0, v71, vcc_lo
	v_add_co_u32 v74, vcc_lo, v60, v35
	v_add_co_ci_u32_e64 v75, null, v61, v36, vcc_lo
	;; [unrolled: 2-line block ×4, first 2 shown]
	v_cndmask_b32_e64 v72, v74, v72, s0
	v_cndmask_b32_e64 v73, v75, v73, s0
	global_load_dword v76, v[72:73], off
	v_add_co_u32 v72, vcc_lo, v43, v46
	v_add_co_ci_u32_e64 v73, null, 0, v44, vcc_lo
	v_lshlrev_b64 v[72:73], 2, v[72:73]
	v_add_co_u32 v74, vcc_lo, s30, v72
	v_add_co_ci_u32_e64 v75, null, s31, v73, vcc_lo
	v_add_co_u32 v72, vcc_lo, s26, v72
	v_add_co_ci_u32_e64 v73, null, s27, v73, vcc_lo
	global_store_dword v[74:75], v66, off offset:512
	s_waitcnt vmcnt(0)
	global_store_dword v[72:73], v76, off offset:512
	s_or_b32 exec_lo, exec_lo, s90
	s_and_saveexec_b32 s90, s55
	s_cbranch_execz .LBB129_45
.LBB129_111:                            ;   in Loop: Header=BB129_21 Depth=1
	v_add_co_u32 v72, vcc_lo, v45, v62
	v_add_co_ci_u32_e64 v73, null, 0, v71, vcc_lo
	v_add_co_u32 v74, vcc_lo, v60, v37
	v_add_co_ci_u32_e64 v75, null, v61, v38, vcc_lo
	;; [unrolled: 2-line block ×4, first 2 shown]
	v_cndmask_b32_e64 v72, v74, v72, s0
	v_cndmask_b32_e64 v73, v75, v73, s0
	global_load_dword v76, v[72:73], off
	v_add_co_u32 v72, vcc_lo, v43, v46
	v_add_co_ci_u32_e64 v73, null, 0, v44, vcc_lo
	v_lshlrev_b64 v[72:73], 2, v[72:73]
	v_add_co_u32 v74, vcc_lo, s30, v72
	v_add_co_ci_u32_e64 v75, null, s31, v73, vcc_lo
	v_add_co_u32 v72, vcc_lo, s26, v72
	v_add_co_ci_u32_e64 v73, null, s27, v73, vcc_lo
	global_store_dword v[74:75], v64, off offset:640
	s_waitcnt vmcnt(0)
	global_store_dword v[72:73], v76, off offset:640
	s_or_b32 exec_lo, exec_lo, s90
	s_and_saveexec_b32 s90, s56
	s_cbranch_execz .LBB129_46
.LBB129_112:                            ;   in Loop: Header=BB129_21 Depth=1
	v_add_co_u32 v72, vcc_lo, v45, v62
	v_add_co_ci_u32_e64 v73, null, 0, v71, vcc_lo
	v_add_co_u32 v74, vcc_lo, v60, v39
	v_add_co_ci_u32_e64 v75, null, v61, v40, vcc_lo
	;; [unrolled: 2-line block ×4, first 2 shown]
	v_cndmask_b32_e64 v72, v74, v72, s0
	v_cndmask_b32_e64 v73, v75, v73, s0
	global_load_dword v76, v[72:73], off
	v_add_co_u32 v72, vcc_lo, v43, v46
	v_add_co_ci_u32_e64 v73, null, 0, v44, vcc_lo
	v_lshlrev_b64 v[72:73], 2, v[72:73]
	v_add_co_u32 v74, vcc_lo, s30, v72
	v_add_co_ci_u32_e64 v75, null, s31, v73, vcc_lo
	v_add_co_u32 v72, vcc_lo, s26, v72
	v_add_co_ci_u32_e64 v73, null, s27, v73, vcc_lo
	global_store_dword v[74:75], v63, off offset:768
	s_waitcnt vmcnt(0)
	global_store_dword v[72:73], v76, off offset:768
	s_or_b32 exec_lo, exec_lo, s90
	s_and_saveexec_b32 s90, s6
	s_cbranch_execnz .LBB129_47
	s_branch .LBB129_48
.LBB129_113:                            ;   in Loop: Header=BB129_21 Depth=1
	v_add_co_u32 v72, vcc_lo, v60, v27
	v_add_co_ci_u32_e64 v73, null, v61, v28, vcc_lo
	v_add_co_u32 v74, vcc_lo, v45, v62
	v_add_co_ci_u32_e64 v75, null, 0, v71, vcc_lo
	;; [unrolled: 2-line block ×3, first 2 shown]
	v_cndmask_b32_e64 v72, v72, v74, s0
	v_cndmask_b32_e64 v73, v73, v75, s0
	global_load_dword v76, v[72:73], off
	v_add_co_u32 v72, vcc_lo, v43, v46
	v_add_co_ci_u32_e64 v73, null, 0, v44, vcc_lo
	v_lshlrev_b64 v[72:73], 2, v[72:73]
	v_add_co_u32 v74, vcc_lo, s30, v72
	v_add_co_ci_u32_e64 v75, null, s31, v73, vcc_lo
	v_add_co_u32 v72, vcc_lo, s26, v72
	v_add_co_ci_u32_e64 v73, null, s27, v73, vcc_lo
	global_store_dword v[74:75], v68, off
	s_waitcnt vmcnt(0)
	global_store_dword v[72:73], v76, off
	s_or_b32 exec_lo, exec_lo, s90
	s_and_saveexec_b32 s90, s58
	s_cbranch_execz .LBB129_50
.LBB129_114:                            ;   in Loop: Header=BB129_21 Depth=1
	v_add_co_u32 v72, vcc_lo, v45, v62
	v_add_co_ci_u32_e64 v73, null, 0, v71, vcc_lo
	v_add_co_u32 v74, vcc_lo, v60, v29
	v_add_co_ci_u32_e64 v75, null, v61, v30, vcc_lo
	;; [unrolled: 2-line block ×4, first 2 shown]
	v_cndmask_b32_e64 v72, v74, v72, s0
	v_cndmask_b32_e64 v73, v75, v73, s0
	global_load_dword v76, v[72:73], off
	v_add_co_u32 v72, vcc_lo, v43, v46
	v_add_co_ci_u32_e64 v73, null, 0, v44, vcc_lo
	v_lshlrev_b64 v[72:73], 2, v[72:73]
	v_add_co_u32 v74, vcc_lo, s30, v72
	v_add_co_ci_u32_e64 v75, null, s31, v73, vcc_lo
	v_add_co_u32 v72, vcc_lo, s26, v72
	v_add_co_ci_u32_e64 v73, null, s27, v73, vcc_lo
	global_store_dword v[74:75], v70, off offset:128
	s_waitcnt vmcnt(0)
	global_store_dword v[72:73], v76, off offset:128
	s_or_b32 exec_lo, exec_lo, s90
	s_and_saveexec_b32 s90, s59
	s_cbranch_execz .LBB129_51
.LBB129_115:                            ;   in Loop: Header=BB129_21 Depth=1
	v_add_co_u32 v72, vcc_lo, v45, v62
	v_add_co_ci_u32_e64 v73, null, 0, v71, vcc_lo
	v_add_co_u32 v74, vcc_lo, v60, v31
	v_add_co_ci_u32_e64 v75, null, v61, v32, vcc_lo
	;; [unrolled: 2-line block ×4, first 2 shown]
	v_cndmask_b32_e64 v72, v74, v72, s0
	v_cndmask_b32_e64 v73, v75, v73, s0
	global_load_dword v76, v[72:73], off
	v_add_co_u32 v72, vcc_lo, v43, v46
	v_add_co_ci_u32_e64 v73, null, 0, v44, vcc_lo
	v_lshlrev_b64 v[72:73], 2, v[72:73]
	v_add_co_u32 v74, vcc_lo, s30, v72
	v_add_co_ci_u32_e64 v75, null, s31, v73, vcc_lo
	v_add_co_u32 v72, vcc_lo, s26, v72
	v_add_co_ci_u32_e64 v73, null, s27, v73, vcc_lo
	global_store_dword v[74:75], v69, off offset:256
	s_waitcnt vmcnt(0)
	global_store_dword v[72:73], v76, off offset:256
	s_or_b32 exec_lo, exec_lo, s90
	s_and_saveexec_b32 s90, s60
	s_cbranch_execz .LBB129_52
.LBB129_116:                            ;   in Loop: Header=BB129_21 Depth=1
	v_add_co_u32 v72, vcc_lo, v45, v62
	v_add_co_ci_u32_e64 v73, null, 0, v71, vcc_lo
	v_add_co_u32 v74, vcc_lo, v60, v33
	v_add_co_ci_u32_e64 v75, null, v61, v34, vcc_lo
	v_cndmask_b32_e64 v72, v74, v72, s0
	v_cndmask_b32_e64 v73, v75, v73, s0
	global_load_dword v76, v[72:73], off offset:384
	v_add_co_u32 v72, vcc_lo, v43, v46
	v_add_co_ci_u32_e64 v73, null, 0, v44, vcc_lo
	v_lshlrev_b64 v[72:73], 2, v[72:73]
	v_add_co_u32 v74, vcc_lo, s30, v72
	v_add_co_ci_u32_e64 v75, null, s31, v73, vcc_lo
	v_add_co_u32 v72, vcc_lo, s26, v72
	v_add_co_ci_u32_e64 v73, null, s27, v73, vcc_lo
	global_store_dword v[74:75], v67, off offset:384
	s_waitcnt vmcnt(0)
	global_store_dword v[72:73], v76, off offset:384
	s_or_b32 exec_lo, exec_lo, s90
	s_and_saveexec_b32 s90, s61
	s_cbranch_execz .LBB129_53
.LBB129_117:                            ;   in Loop: Header=BB129_21 Depth=1
	v_add_co_u32 v72, vcc_lo, v45, v62
	v_add_co_ci_u32_e64 v73, null, 0, v71, vcc_lo
	v_add_co_u32 v74, vcc_lo, v60, v35
	v_add_co_ci_u32_e64 v75, null, v61, v36, vcc_lo
	;; [unrolled: 2-line block ×4, first 2 shown]
	v_cndmask_b32_e64 v72, v74, v72, s0
	v_cndmask_b32_e64 v73, v75, v73, s0
	global_load_dword v76, v[72:73], off
	v_add_co_u32 v72, vcc_lo, v43, v46
	v_add_co_ci_u32_e64 v73, null, 0, v44, vcc_lo
	v_lshlrev_b64 v[72:73], 2, v[72:73]
	v_add_co_u32 v74, vcc_lo, s30, v72
	v_add_co_ci_u32_e64 v75, null, s31, v73, vcc_lo
	v_add_co_u32 v72, vcc_lo, s26, v72
	v_add_co_ci_u32_e64 v73, null, s27, v73, vcc_lo
	global_store_dword v[74:75], v66, off offset:512
	s_waitcnt vmcnt(0)
	global_store_dword v[72:73], v76, off offset:512
	s_or_b32 exec_lo, exec_lo, s90
	s_and_saveexec_b32 s90, s62
	s_cbranch_execz .LBB129_54
.LBB129_118:                            ;   in Loop: Header=BB129_21 Depth=1
	v_add_co_u32 v72, vcc_lo, v45, v62
	v_add_co_ci_u32_e64 v73, null, 0, v71, vcc_lo
	v_add_co_u32 v74, vcc_lo, v60, v37
	v_add_co_ci_u32_e64 v75, null, v61, v38, vcc_lo
	;; [unrolled: 2-line block ×4, first 2 shown]
	v_cndmask_b32_e64 v72, v74, v72, s0
	v_cndmask_b32_e64 v73, v75, v73, s0
	global_load_dword v76, v[72:73], off
	v_add_co_u32 v72, vcc_lo, v43, v46
	v_add_co_ci_u32_e64 v73, null, 0, v44, vcc_lo
	v_lshlrev_b64 v[72:73], 2, v[72:73]
	v_add_co_u32 v74, vcc_lo, s30, v72
	v_add_co_ci_u32_e64 v75, null, s31, v73, vcc_lo
	v_add_co_u32 v72, vcc_lo, s26, v72
	v_add_co_ci_u32_e64 v73, null, s27, v73, vcc_lo
	global_store_dword v[74:75], v64, off offset:640
	s_waitcnt vmcnt(0)
	global_store_dword v[72:73], v76, off offset:640
	s_or_b32 exec_lo, exec_lo, s90
	s_and_saveexec_b32 s90, s63
	s_cbranch_execz .LBB129_55
.LBB129_119:                            ;   in Loop: Header=BB129_21 Depth=1
	v_add_co_u32 v72, vcc_lo, v45, v62
	v_add_co_ci_u32_e64 v73, null, 0, v71, vcc_lo
	v_add_co_u32 v74, vcc_lo, v60, v39
	v_add_co_ci_u32_e64 v75, null, v61, v40, vcc_lo
	;; [unrolled: 2-line block ×4, first 2 shown]
	v_cndmask_b32_e64 v72, v74, v72, s0
	v_cndmask_b32_e64 v73, v75, v73, s0
	global_load_dword v76, v[72:73], off
	v_add_co_u32 v72, vcc_lo, v43, v46
	v_add_co_ci_u32_e64 v73, null, 0, v44, vcc_lo
	v_lshlrev_b64 v[72:73], 2, v[72:73]
	v_add_co_u32 v74, vcc_lo, s30, v72
	v_add_co_ci_u32_e64 v75, null, s31, v73, vcc_lo
	v_add_co_u32 v72, vcc_lo, s26, v72
	v_add_co_ci_u32_e64 v73, null, s27, v73, vcc_lo
	global_store_dword v[74:75], v63, off offset:768
	s_waitcnt vmcnt(0)
	global_store_dword v[72:73], v76, off offset:768
	s_or_b32 exec_lo, exec_lo, s90
	s_and_saveexec_b32 s90, s1
	s_cbranch_execnz .LBB129_56
	s_branch .LBB129_57
.LBB129_120:                            ;   in Loop: Header=BB129_21 Depth=1
	v_add_co_u32 v72, vcc_lo, v60, v27
	v_add_co_ci_u32_e64 v73, null, v61, v28, vcc_lo
	v_add_co_u32 v74, vcc_lo, v45, v62
	v_add_co_ci_u32_e64 v75, null, 0, v71, vcc_lo
	;; [unrolled: 2-line block ×3, first 2 shown]
	v_cndmask_b32_e64 v72, v72, v74, s0
	v_cndmask_b32_e64 v73, v73, v75, s0
	global_load_dword v76, v[72:73], off
	v_add_co_u32 v72, vcc_lo, v43, v46
	v_add_co_ci_u32_e64 v73, null, 0, v44, vcc_lo
	v_lshlrev_b64 v[72:73], 2, v[72:73]
	v_add_co_u32 v74, vcc_lo, s30, v72
	v_add_co_ci_u32_e64 v75, null, s31, v73, vcc_lo
	v_add_co_u32 v72, vcc_lo, s26, v72
	v_add_co_ci_u32_e64 v73, null, s27, v73, vcc_lo
	global_store_dword v[74:75], v68, off
	s_waitcnt vmcnt(0)
	global_store_dword v[72:73], v76, off
	s_or_b32 exec_lo, exec_lo, s90
	s_and_saveexec_b32 s90, s65
	s_cbranch_execz .LBB129_59
.LBB129_121:                            ;   in Loop: Header=BB129_21 Depth=1
	v_add_co_u32 v72, vcc_lo, v45, v62
	v_add_co_ci_u32_e64 v73, null, 0, v71, vcc_lo
	v_add_co_u32 v74, vcc_lo, v60, v29
	v_add_co_ci_u32_e64 v75, null, v61, v30, vcc_lo
	;; [unrolled: 2-line block ×4, first 2 shown]
	v_cndmask_b32_e64 v72, v74, v72, s0
	v_cndmask_b32_e64 v73, v75, v73, s0
	global_load_dword v76, v[72:73], off
	v_add_co_u32 v72, vcc_lo, v43, v46
	v_add_co_ci_u32_e64 v73, null, 0, v44, vcc_lo
	v_lshlrev_b64 v[72:73], 2, v[72:73]
	v_add_co_u32 v74, vcc_lo, s30, v72
	v_add_co_ci_u32_e64 v75, null, s31, v73, vcc_lo
	v_add_co_u32 v72, vcc_lo, s26, v72
	v_add_co_ci_u32_e64 v73, null, s27, v73, vcc_lo
	global_store_dword v[74:75], v70, off offset:128
	s_waitcnt vmcnt(0)
	global_store_dword v[72:73], v76, off offset:128
	s_or_b32 exec_lo, exec_lo, s90
	s_and_saveexec_b32 s90, s66
	s_cbranch_execz .LBB129_60
.LBB129_122:                            ;   in Loop: Header=BB129_21 Depth=1
	v_add_co_u32 v72, vcc_lo, v45, v62
	v_add_co_ci_u32_e64 v73, null, 0, v71, vcc_lo
	v_add_co_u32 v74, vcc_lo, v60, v31
	v_add_co_ci_u32_e64 v75, null, v61, v32, vcc_lo
	;; [unrolled: 2-line block ×4, first 2 shown]
	v_cndmask_b32_e64 v72, v74, v72, s0
	v_cndmask_b32_e64 v73, v75, v73, s0
	global_load_dword v76, v[72:73], off
	v_add_co_u32 v72, vcc_lo, v43, v46
	v_add_co_ci_u32_e64 v73, null, 0, v44, vcc_lo
	v_lshlrev_b64 v[72:73], 2, v[72:73]
	v_add_co_u32 v74, vcc_lo, s30, v72
	v_add_co_ci_u32_e64 v75, null, s31, v73, vcc_lo
	v_add_co_u32 v72, vcc_lo, s26, v72
	v_add_co_ci_u32_e64 v73, null, s27, v73, vcc_lo
	global_store_dword v[74:75], v69, off offset:256
	s_waitcnt vmcnt(0)
	global_store_dword v[72:73], v76, off offset:256
	s_or_b32 exec_lo, exec_lo, s90
	s_and_saveexec_b32 s90, s67
	s_cbranch_execz .LBB129_61
.LBB129_123:                            ;   in Loop: Header=BB129_21 Depth=1
	v_add_co_u32 v72, vcc_lo, v45, v62
	v_add_co_ci_u32_e64 v73, null, 0, v71, vcc_lo
	v_add_co_u32 v74, vcc_lo, v60, v33
	v_add_co_ci_u32_e64 v75, null, v61, v34, vcc_lo
	;; [unrolled: 2-line block ×4, first 2 shown]
	v_cndmask_b32_e64 v72, v74, v72, s0
	v_cndmask_b32_e64 v73, v75, v73, s0
	global_load_dword v76, v[72:73], off
	v_add_co_u32 v72, vcc_lo, v43, v46
	v_add_co_ci_u32_e64 v73, null, 0, v44, vcc_lo
	v_lshlrev_b64 v[72:73], 2, v[72:73]
	v_add_co_u32 v74, vcc_lo, s30, v72
	v_add_co_ci_u32_e64 v75, null, s31, v73, vcc_lo
	v_add_co_u32 v72, vcc_lo, s26, v72
	v_add_co_ci_u32_e64 v73, null, s27, v73, vcc_lo
	global_store_dword v[74:75], v67, off offset:384
	s_waitcnt vmcnt(0)
	global_store_dword v[72:73], v76, off offset:384
	s_or_b32 exec_lo, exec_lo, s90
	s_and_saveexec_b32 s90, s68
	s_cbranch_execz .LBB129_62
.LBB129_124:                            ;   in Loop: Header=BB129_21 Depth=1
	v_add_co_u32 v72, vcc_lo, v45, v62
	v_add_co_ci_u32_e64 v73, null, 0, v71, vcc_lo
	v_add_co_u32 v74, vcc_lo, v60, v35
	v_add_co_ci_u32_e64 v75, null, v61, v36, vcc_lo
	v_cndmask_b32_e64 v72, v74, v72, s0
	v_cndmask_b32_e64 v73, v75, v73, s0
	global_load_dword v76, v[72:73], off offset:512
	v_add_co_u32 v72, vcc_lo, v43, v46
	v_add_co_ci_u32_e64 v73, null, 0, v44, vcc_lo
	v_lshlrev_b64 v[72:73], 2, v[72:73]
	v_add_co_u32 v74, vcc_lo, s30, v72
	v_add_co_ci_u32_e64 v75, null, s31, v73, vcc_lo
	v_add_co_u32 v72, vcc_lo, s26, v72
	v_add_co_ci_u32_e64 v73, null, s27, v73, vcc_lo
	global_store_dword v[74:75], v66, off offset:512
	s_waitcnt vmcnt(0)
	global_store_dword v[72:73], v76, off offset:512
	s_or_b32 exec_lo, exec_lo, s90
	s_and_saveexec_b32 s90, s69
	s_cbranch_execz .LBB129_63
.LBB129_125:                            ;   in Loop: Header=BB129_21 Depth=1
	v_add_co_u32 v72, vcc_lo, v45, v62
	v_add_co_ci_u32_e64 v73, null, 0, v71, vcc_lo
	v_add_co_u32 v74, vcc_lo, v60, v37
	v_add_co_ci_u32_e64 v75, null, v61, v38, vcc_lo
	;; [unrolled: 2-line block ×4, first 2 shown]
	v_cndmask_b32_e64 v72, v74, v72, s0
	v_cndmask_b32_e64 v73, v75, v73, s0
	global_load_dword v76, v[72:73], off
	v_add_co_u32 v72, vcc_lo, v43, v46
	v_add_co_ci_u32_e64 v73, null, 0, v44, vcc_lo
	v_lshlrev_b64 v[72:73], 2, v[72:73]
	v_add_co_u32 v74, vcc_lo, s30, v72
	v_add_co_ci_u32_e64 v75, null, s31, v73, vcc_lo
	v_add_co_u32 v72, vcc_lo, s26, v72
	v_add_co_ci_u32_e64 v73, null, s27, v73, vcc_lo
	global_store_dword v[74:75], v64, off offset:640
	s_waitcnt vmcnt(0)
	global_store_dword v[72:73], v76, off offset:640
	s_or_b32 exec_lo, exec_lo, s90
	s_and_saveexec_b32 s90, s70
	s_cbranch_execz .LBB129_64
.LBB129_126:                            ;   in Loop: Header=BB129_21 Depth=1
	v_add_co_u32 v72, vcc_lo, v45, v62
	v_add_co_ci_u32_e64 v73, null, 0, v71, vcc_lo
	v_add_co_u32 v74, vcc_lo, v60, v39
	v_add_co_ci_u32_e64 v75, null, v61, v40, vcc_lo
	;; [unrolled: 2-line block ×4, first 2 shown]
	v_cndmask_b32_e64 v72, v74, v72, s0
	v_cndmask_b32_e64 v73, v75, v73, s0
	global_load_dword v76, v[72:73], off
	v_add_co_u32 v72, vcc_lo, v43, v46
	v_add_co_ci_u32_e64 v73, null, 0, v44, vcc_lo
	v_lshlrev_b64 v[72:73], 2, v[72:73]
	v_add_co_u32 v74, vcc_lo, s30, v72
	v_add_co_ci_u32_e64 v75, null, s31, v73, vcc_lo
	v_add_co_u32 v72, vcc_lo, s26, v72
	v_add_co_ci_u32_e64 v73, null, s27, v73, vcc_lo
	global_store_dword v[74:75], v63, off offset:768
	s_waitcnt vmcnt(0)
	global_store_dword v[72:73], v76, off offset:768
	s_or_b32 exec_lo, exec_lo, s90
	s_and_saveexec_b32 s90, s71
	s_cbranch_execnz .LBB129_65
	s_branch .LBB129_66
.LBB129_127:                            ;   in Loop: Header=BB129_21 Depth=1
	v_add_co_u32 v72, vcc_lo, v60, v27
	v_add_co_ci_u32_e64 v73, null, v61, v28, vcc_lo
	v_add_co_u32 v74, vcc_lo, v45, v62
	v_add_co_ci_u32_e64 v75, null, 0, v71, vcc_lo
	;; [unrolled: 2-line block ×3, first 2 shown]
	v_cndmask_b32_e64 v72, v72, v74, s0
	v_cndmask_b32_e64 v73, v73, v75, s0
	global_load_dword v76, v[72:73], off
	v_add_co_u32 v72, vcc_lo, v43, v46
	v_add_co_ci_u32_e64 v73, null, 0, v44, vcc_lo
	v_lshlrev_b64 v[72:73], 2, v[72:73]
	v_add_co_u32 v74, vcc_lo, s30, v72
	v_add_co_ci_u32_e64 v75, null, s31, v73, vcc_lo
	v_add_co_u32 v72, vcc_lo, s26, v72
	v_add_co_ci_u32_e64 v73, null, s27, v73, vcc_lo
	global_store_dword v[74:75], v68, off
	s_waitcnt vmcnt(0)
	global_store_dword v[72:73], v76, off
	s_or_b32 exec_lo, exec_lo, s90
	s_and_saveexec_b32 s90, s73
	s_cbranch_execz .LBB129_68
.LBB129_128:                            ;   in Loop: Header=BB129_21 Depth=1
	v_add_co_u32 v72, vcc_lo, v45, v62
	v_add_co_ci_u32_e64 v73, null, 0, v71, vcc_lo
	v_add_co_u32 v74, vcc_lo, v60, v29
	v_add_co_ci_u32_e64 v75, null, v61, v30, vcc_lo
	;; [unrolled: 2-line block ×4, first 2 shown]
	v_cndmask_b32_e64 v72, v74, v72, s0
	v_cndmask_b32_e64 v73, v75, v73, s0
	global_load_dword v76, v[72:73], off
	v_add_co_u32 v72, vcc_lo, v43, v46
	v_add_co_ci_u32_e64 v73, null, 0, v44, vcc_lo
	v_lshlrev_b64 v[72:73], 2, v[72:73]
	v_add_co_u32 v74, vcc_lo, s30, v72
	v_add_co_ci_u32_e64 v75, null, s31, v73, vcc_lo
	v_add_co_u32 v72, vcc_lo, s26, v72
	v_add_co_ci_u32_e64 v73, null, s27, v73, vcc_lo
	global_store_dword v[74:75], v70, off offset:128
	s_waitcnt vmcnt(0)
	global_store_dword v[72:73], v76, off offset:128
	s_or_b32 exec_lo, exec_lo, s90
	s_and_saveexec_b32 s90, s74
	s_cbranch_execz .LBB129_69
.LBB129_129:                            ;   in Loop: Header=BB129_21 Depth=1
	v_add_co_u32 v72, vcc_lo, v45, v62
	v_add_co_ci_u32_e64 v73, null, 0, v71, vcc_lo
	v_add_co_u32 v74, vcc_lo, v60, v31
	v_add_co_ci_u32_e64 v75, null, v61, v32, vcc_lo
	;; [unrolled: 2-line block ×4, first 2 shown]
	v_cndmask_b32_e64 v72, v74, v72, s0
	v_cndmask_b32_e64 v73, v75, v73, s0
	global_load_dword v76, v[72:73], off
	v_add_co_u32 v72, vcc_lo, v43, v46
	v_add_co_ci_u32_e64 v73, null, 0, v44, vcc_lo
	v_lshlrev_b64 v[72:73], 2, v[72:73]
	v_add_co_u32 v74, vcc_lo, s30, v72
	v_add_co_ci_u32_e64 v75, null, s31, v73, vcc_lo
	v_add_co_u32 v72, vcc_lo, s26, v72
	v_add_co_ci_u32_e64 v73, null, s27, v73, vcc_lo
	global_store_dword v[74:75], v69, off offset:256
	s_waitcnt vmcnt(0)
	global_store_dword v[72:73], v76, off offset:256
	s_or_b32 exec_lo, exec_lo, s90
	s_and_saveexec_b32 s90, s75
	s_cbranch_execz .LBB129_70
.LBB129_130:                            ;   in Loop: Header=BB129_21 Depth=1
	v_add_co_u32 v72, vcc_lo, v45, v62
	v_add_co_ci_u32_e64 v73, null, 0, v71, vcc_lo
	v_add_co_u32 v74, vcc_lo, v60, v33
	v_add_co_ci_u32_e64 v75, null, v61, v34, vcc_lo
	;; [unrolled: 2-line block ×4, first 2 shown]
	v_cndmask_b32_e64 v72, v74, v72, s0
	v_cndmask_b32_e64 v73, v75, v73, s0
	global_load_dword v76, v[72:73], off
	v_add_co_u32 v72, vcc_lo, v43, v46
	v_add_co_ci_u32_e64 v73, null, 0, v44, vcc_lo
	v_lshlrev_b64 v[72:73], 2, v[72:73]
	v_add_co_u32 v74, vcc_lo, s30, v72
	v_add_co_ci_u32_e64 v75, null, s31, v73, vcc_lo
	v_add_co_u32 v72, vcc_lo, s26, v72
	v_add_co_ci_u32_e64 v73, null, s27, v73, vcc_lo
	global_store_dword v[74:75], v67, off offset:384
	s_waitcnt vmcnt(0)
	global_store_dword v[72:73], v76, off offset:384
	s_or_b32 exec_lo, exec_lo, s90
	s_and_saveexec_b32 s90, s76
	s_cbranch_execz .LBB129_71
.LBB129_131:                            ;   in Loop: Header=BB129_21 Depth=1
	v_add_co_u32 v72, vcc_lo, v45, v62
	v_add_co_ci_u32_e64 v73, null, 0, v71, vcc_lo
	v_add_co_u32 v74, vcc_lo, v60, v35
	v_add_co_ci_u32_e64 v75, null, v61, v36, vcc_lo
	;; [unrolled: 2-line block ×4, first 2 shown]
	v_cndmask_b32_e64 v72, v74, v72, s0
	v_cndmask_b32_e64 v73, v75, v73, s0
	global_load_dword v76, v[72:73], off
	v_add_co_u32 v72, vcc_lo, v43, v46
	v_add_co_ci_u32_e64 v73, null, 0, v44, vcc_lo
	v_lshlrev_b64 v[72:73], 2, v[72:73]
	v_add_co_u32 v74, vcc_lo, s30, v72
	v_add_co_ci_u32_e64 v75, null, s31, v73, vcc_lo
	v_add_co_u32 v72, vcc_lo, s26, v72
	v_add_co_ci_u32_e64 v73, null, s27, v73, vcc_lo
	global_store_dword v[74:75], v66, off offset:512
	s_waitcnt vmcnt(0)
	global_store_dword v[72:73], v76, off offset:512
	s_or_b32 exec_lo, exec_lo, s90
	s_and_saveexec_b32 s90, s77
	s_cbranch_execz .LBB129_72
.LBB129_132:                            ;   in Loop: Header=BB129_21 Depth=1
	v_add_co_u32 v72, vcc_lo, v45, v62
	v_add_co_ci_u32_e64 v73, null, 0, v71, vcc_lo
	v_add_co_u32 v74, vcc_lo, v60, v37
	v_add_co_ci_u32_e64 v75, null, v61, v38, vcc_lo
	v_cndmask_b32_e64 v72, v74, v72, s0
	v_cndmask_b32_e64 v73, v75, v73, s0
	global_load_dword v76, v[72:73], off offset:640
	v_add_co_u32 v72, vcc_lo, v43, v46
	v_add_co_ci_u32_e64 v73, null, 0, v44, vcc_lo
	v_lshlrev_b64 v[72:73], 2, v[72:73]
	v_add_co_u32 v74, vcc_lo, s30, v72
	v_add_co_ci_u32_e64 v75, null, s31, v73, vcc_lo
	v_add_co_u32 v72, vcc_lo, s26, v72
	v_add_co_ci_u32_e64 v73, null, s27, v73, vcc_lo
	global_store_dword v[74:75], v64, off offset:640
	s_waitcnt vmcnt(0)
	global_store_dword v[72:73], v76, off offset:640
	s_or_b32 exec_lo, exec_lo, s90
	s_and_saveexec_b32 s90, s78
	s_cbranch_execz .LBB129_73
.LBB129_133:                            ;   in Loop: Header=BB129_21 Depth=1
	v_add_co_u32 v72, vcc_lo, v45, v62
	v_add_co_ci_u32_e64 v73, null, 0, v71, vcc_lo
	v_add_co_u32 v74, vcc_lo, v60, v39
	v_add_co_ci_u32_e64 v75, null, v61, v40, vcc_lo
	;; [unrolled: 2-line block ×4, first 2 shown]
	v_cndmask_b32_e64 v72, v74, v72, s0
	v_cndmask_b32_e64 v73, v75, v73, s0
	global_load_dword v76, v[72:73], off
	v_add_co_u32 v72, vcc_lo, v43, v46
	v_add_co_ci_u32_e64 v73, null, 0, v44, vcc_lo
	v_lshlrev_b64 v[72:73], 2, v[72:73]
	v_add_co_u32 v74, vcc_lo, s30, v72
	v_add_co_ci_u32_e64 v75, null, s31, v73, vcc_lo
	v_add_co_u32 v72, vcc_lo, s26, v72
	v_add_co_ci_u32_e64 v73, null, s27, v73, vcc_lo
	global_store_dword v[74:75], v63, off offset:768
	s_waitcnt vmcnt(0)
	global_store_dword v[72:73], v76, off offset:768
	s_or_b32 exec_lo, exec_lo, s90
	s_and_saveexec_b32 s90, s7
	s_cbranch_execnz .LBB129_74
	s_branch .LBB129_75
.LBB129_134:                            ;   in Loop: Header=BB129_21 Depth=1
	v_add_co_u32 v72, vcc_lo, v60, v27
	v_add_co_ci_u32_e64 v73, null, v61, v28, vcc_lo
	v_add_co_u32 v74, vcc_lo, v45, v62
	v_add_co_ci_u32_e64 v75, null, 0, v71, vcc_lo
	v_add_co_u32 v72, vcc_lo, 0x300, v72
	v_add_co_ci_u32_e64 v73, null, 0, v73, vcc_lo
	v_cndmask_b32_e64 v72, v72, v74, s0
	v_cndmask_b32_e64 v73, v73, v75, s0
	global_load_dword v76, v[72:73], off
	v_add_co_u32 v72, vcc_lo, v43, v46
	v_add_co_ci_u32_e64 v73, null, 0, v44, vcc_lo
	v_lshlrev_b64 v[72:73], 2, v[72:73]
	v_add_co_u32 v74, vcc_lo, s30, v72
	v_add_co_ci_u32_e64 v75, null, s31, v73, vcc_lo
	v_add_co_u32 v72, vcc_lo, s26, v72
	v_add_co_ci_u32_e64 v73, null, s27, v73, vcc_lo
	global_store_dword v[74:75], v68, off
	s_waitcnt vmcnt(0)
	global_store_dword v[72:73], v76, off
	s_or_b32 exec_lo, exec_lo, s90
	s_and_saveexec_b32 s90, s80
	s_cbranch_execz .LBB129_77
.LBB129_135:                            ;   in Loop: Header=BB129_21 Depth=1
	v_add_co_u32 v72, vcc_lo, v45, v62
	v_add_co_ci_u32_e64 v73, null, 0, v71, vcc_lo
	v_add_co_u32 v74, vcc_lo, v60, v29
	v_add_co_ci_u32_e64 v75, null, v61, v30, vcc_lo
	;; [unrolled: 2-line block ×4, first 2 shown]
	v_cndmask_b32_e64 v72, v74, v72, s0
	v_cndmask_b32_e64 v73, v75, v73, s0
	global_load_dword v76, v[72:73], off
	v_add_co_u32 v72, vcc_lo, v43, v46
	v_add_co_ci_u32_e64 v73, null, 0, v44, vcc_lo
	v_lshlrev_b64 v[72:73], 2, v[72:73]
	v_add_co_u32 v74, vcc_lo, s30, v72
	v_add_co_ci_u32_e64 v75, null, s31, v73, vcc_lo
	v_add_co_u32 v72, vcc_lo, s26, v72
	v_add_co_ci_u32_e64 v73, null, s27, v73, vcc_lo
	global_store_dword v[74:75], v70, off offset:128
	s_waitcnt vmcnt(0)
	global_store_dword v[72:73], v76, off offset:128
	s_or_b32 exec_lo, exec_lo, s90
	s_and_saveexec_b32 s90, s81
	s_cbranch_execz .LBB129_78
.LBB129_136:                            ;   in Loop: Header=BB129_21 Depth=1
	v_add_co_u32 v72, vcc_lo, v45, v62
	v_add_co_ci_u32_e64 v73, null, 0, v71, vcc_lo
	v_add_co_u32 v74, vcc_lo, v60, v31
	v_add_co_ci_u32_e64 v75, null, v61, v32, vcc_lo
	;; [unrolled: 2-line block ×4, first 2 shown]
	v_cndmask_b32_e64 v72, v74, v72, s0
	v_cndmask_b32_e64 v73, v75, v73, s0
	global_load_dword v76, v[72:73], off
	v_add_co_u32 v72, vcc_lo, v43, v46
	v_add_co_ci_u32_e64 v73, null, 0, v44, vcc_lo
	v_lshlrev_b64 v[72:73], 2, v[72:73]
	v_add_co_u32 v74, vcc_lo, s30, v72
	v_add_co_ci_u32_e64 v75, null, s31, v73, vcc_lo
	v_add_co_u32 v72, vcc_lo, s26, v72
	v_add_co_ci_u32_e64 v73, null, s27, v73, vcc_lo
	global_store_dword v[74:75], v69, off offset:256
	s_waitcnt vmcnt(0)
	global_store_dword v[72:73], v76, off offset:256
	s_or_b32 exec_lo, exec_lo, s90
	s_and_saveexec_b32 s90, s82
	s_cbranch_execz .LBB129_79
.LBB129_137:                            ;   in Loop: Header=BB129_21 Depth=1
	v_add_co_u32 v72, vcc_lo, v45, v62
	v_add_co_ci_u32_e64 v73, null, 0, v71, vcc_lo
	v_add_co_u32 v74, vcc_lo, v60, v33
	v_add_co_ci_u32_e64 v75, null, v61, v34, vcc_lo
	;; [unrolled: 2-line block ×4, first 2 shown]
	v_cndmask_b32_e64 v72, v74, v72, s0
	v_cndmask_b32_e64 v73, v75, v73, s0
	global_load_dword v76, v[72:73], off
	v_add_co_u32 v72, vcc_lo, v43, v46
	v_add_co_ci_u32_e64 v73, null, 0, v44, vcc_lo
	v_lshlrev_b64 v[72:73], 2, v[72:73]
	v_add_co_u32 v74, vcc_lo, s30, v72
	v_add_co_ci_u32_e64 v75, null, s31, v73, vcc_lo
	v_add_co_u32 v72, vcc_lo, s26, v72
	v_add_co_ci_u32_e64 v73, null, s27, v73, vcc_lo
	global_store_dword v[74:75], v67, off offset:384
	s_waitcnt vmcnt(0)
	global_store_dword v[72:73], v76, off offset:384
	s_or_b32 exec_lo, exec_lo, s90
	s_and_saveexec_b32 s90, s83
	s_cbranch_execz .LBB129_80
.LBB129_138:                            ;   in Loop: Header=BB129_21 Depth=1
	v_add_co_u32 v72, vcc_lo, v45, v62
	v_add_co_ci_u32_e64 v73, null, 0, v71, vcc_lo
	v_add_co_u32 v74, vcc_lo, v60, v35
	v_add_co_ci_u32_e64 v75, null, v61, v36, vcc_lo
	;; [unrolled: 2-line block ×4, first 2 shown]
	v_cndmask_b32_e64 v72, v74, v72, s0
	v_cndmask_b32_e64 v73, v75, v73, s0
	global_load_dword v76, v[72:73], off
	v_add_co_u32 v72, vcc_lo, v43, v46
	v_add_co_ci_u32_e64 v73, null, 0, v44, vcc_lo
	v_lshlrev_b64 v[72:73], 2, v[72:73]
	v_add_co_u32 v74, vcc_lo, s30, v72
	v_add_co_ci_u32_e64 v75, null, s31, v73, vcc_lo
	v_add_co_u32 v72, vcc_lo, s26, v72
	v_add_co_ci_u32_e64 v73, null, s27, v73, vcc_lo
	global_store_dword v[74:75], v66, off offset:512
	s_waitcnt vmcnt(0)
	global_store_dword v[72:73], v76, off offset:512
	s_or_b32 exec_lo, exec_lo, s90
	s_and_saveexec_b32 s90, s84
	s_cbranch_execz .LBB129_81
.LBB129_139:                            ;   in Loop: Header=BB129_21 Depth=1
	v_add_co_u32 v72, vcc_lo, v45, v62
	v_add_co_ci_u32_e64 v73, null, 0, v71, vcc_lo
	v_add_co_u32 v74, vcc_lo, v60, v37
	v_add_co_ci_u32_e64 v75, null, v61, v38, vcc_lo
	;; [unrolled: 2-line block ×4, first 2 shown]
	v_cndmask_b32_e64 v72, v74, v72, s0
	v_cndmask_b32_e64 v73, v75, v73, s0
	global_load_dword v76, v[72:73], off
	v_add_co_u32 v72, vcc_lo, v43, v46
	v_add_co_ci_u32_e64 v73, null, 0, v44, vcc_lo
	v_lshlrev_b64 v[72:73], 2, v[72:73]
	v_add_co_u32 v74, vcc_lo, s30, v72
	v_add_co_ci_u32_e64 v75, null, s31, v73, vcc_lo
	v_add_co_u32 v72, vcc_lo, s26, v72
	v_add_co_ci_u32_e64 v73, null, s27, v73, vcc_lo
	global_store_dword v[74:75], v64, off offset:640
	s_waitcnt vmcnt(0)
	global_store_dword v[72:73], v76, off offset:640
	s_or_b32 exec_lo, exec_lo, s90
	s_and_saveexec_b32 s90, s85
	s_cbranch_execz .LBB129_82
.LBB129_140:                            ;   in Loop: Header=BB129_21 Depth=1
	v_add_co_u32 v72, vcc_lo, v45, v62
	v_add_co_ci_u32_e64 v73, null, 0, v71, vcc_lo
	v_add_co_u32 v74, vcc_lo, v60, v39
	v_add_co_ci_u32_e64 v75, null, v61, v40, vcc_lo
	v_cndmask_b32_e64 v72, v74, v72, s0
	v_cndmask_b32_e64 v73, v75, v73, s0
	global_load_dword v76, v[72:73], off offset:768
	v_add_co_u32 v72, vcc_lo, v43, v46
	v_add_co_ci_u32_e64 v73, null, 0, v44, vcc_lo
	v_lshlrev_b64 v[72:73], 2, v[72:73]
	v_add_co_u32 v74, vcc_lo, s30, v72
	v_add_co_ci_u32_e64 v75, null, s31, v73, vcc_lo
	v_add_co_u32 v72, vcc_lo, s26, v72
	v_add_co_ci_u32_e64 v73, null, s27, v73, vcc_lo
	global_store_dword v[74:75], v63, off offset:768
	s_waitcnt vmcnt(0)
	global_store_dword v[72:73], v76, off offset:768
	s_or_b32 exec_lo, exec_lo, s90
	s_and_saveexec_b32 s90, s10
	s_cbranch_execnz .LBB129_83
	s_branch .LBB129_84
.LBB129_141:                            ;   in Loop: Header=BB129_21 Depth=1
	v_add_co_u32 v72, vcc_lo, v60, v27
	v_add_co_ci_u32_e64 v73, null, v61, v28, vcc_lo
	v_add_co_u32 v74, vcc_lo, v45, v62
	v_add_co_ci_u32_e64 v75, null, 0, v71, vcc_lo
	;; [unrolled: 2-line block ×3, first 2 shown]
	v_cndmask_b32_e64 v72, v72, v74, s0
	v_cndmask_b32_e64 v73, v73, v75, s0
	global_load_dword v76, v[72:73], off
	v_add_co_u32 v72, vcc_lo, v43, v46
	v_add_co_ci_u32_e64 v73, null, 0, v44, vcc_lo
	v_lshlrev_b64 v[72:73], 2, v[72:73]
	v_add_co_u32 v74, vcc_lo, s30, v72
	v_add_co_ci_u32_e64 v75, null, s31, v73, vcc_lo
	v_add_co_u32 v72, vcc_lo, s26, v72
	v_add_co_ci_u32_e64 v73, null, s27, v73, vcc_lo
	global_store_dword v[74:75], v68, off
	s_waitcnt vmcnt(0)
	global_store_dword v[72:73], v76, off
	s_or_b32 exec_lo, exec_lo, s9
	s_and_saveexec_b32 s9, s11
	s_cbranch_execz .LBB129_86
.LBB129_142:                            ;   in Loop: Header=BB129_21 Depth=1
	v_add_co_u32 v68, vcc_lo, v45, v62
	v_add_co_ci_u32_e64 v72, null, 0, v71, vcc_lo
	v_add_co_u32 v73, vcc_lo, v60, v29
	v_add_co_ci_u32_e64 v74, null, v61, v30, vcc_lo
	v_add_co_u32 v68, vcc_lo, 0x80, v68
	v_add_co_ci_u32_e64 v72, null, 0, v72, vcc_lo
	v_add_co_u32 v75, vcc_lo, 0x380, v73
	v_add_co_ci_u32_e64 v73, null, 0, v74, vcc_lo
	v_cndmask_b32_e64 v73, v73, v72, s0
	v_cndmask_b32_e64 v72, v75, v68, s0
	global_load_dword v68, v[72:73], off
	v_add_co_u32 v72, vcc_lo, v43, v46
	v_add_co_ci_u32_e64 v73, null, 0, v44, vcc_lo
	v_lshlrev_b64 v[72:73], 2, v[72:73]
	v_add_co_u32 v74, vcc_lo, s30, v72
	v_add_co_ci_u32_e64 v75, null, s31, v73, vcc_lo
	v_add_co_u32 v72, vcc_lo, s26, v72
	v_add_co_ci_u32_e64 v73, null, s27, v73, vcc_lo
	global_store_dword v[74:75], v70, off offset:128
	s_waitcnt vmcnt(0)
	global_store_dword v[72:73], v68, off offset:128
	s_or_b32 exec_lo, exec_lo, s9
	s_and_saveexec_b32 s9, s12
	s_cbranch_execz .LBB129_87
.LBB129_143:                            ;   in Loop: Header=BB129_21 Depth=1
	v_add_co_u32 v68, vcc_lo, v45, v62
	v_add_co_ci_u32_e64 v70, null, 0, v71, vcc_lo
	v_add_co_u32 v72, vcc_lo, v60, v31
	v_add_co_ci_u32_e64 v73, null, v61, v32, vcc_lo
	;; [unrolled: 2-line block ×4, first 2 shown]
	v_cndmask_b32_e64 v72, v72, v68, s0
	v_cndmask_b32_e64 v73, v73, v70, s0
	global_load_dword v68, v[72:73], off
	v_add_co_u32 v72, vcc_lo, v43, v46
	v_add_co_ci_u32_e64 v73, null, 0, v44, vcc_lo
	v_lshlrev_b64 v[72:73], 2, v[72:73]
	v_add_co_u32 v74, vcc_lo, s30, v72
	v_add_co_ci_u32_e64 v75, null, s31, v73, vcc_lo
	v_add_co_u32 v72, vcc_lo, s26, v72
	v_add_co_ci_u32_e64 v73, null, s27, v73, vcc_lo
	global_store_dword v[74:75], v69, off offset:256
	s_waitcnt vmcnt(0)
	global_store_dword v[72:73], v68, off offset:256
	s_or_b32 exec_lo, exec_lo, s9
	s_and_saveexec_b32 s9, s13
	s_cbranch_execz .LBB129_88
.LBB129_144:                            ;   in Loop: Header=BB129_21 Depth=1
	v_add_co_u32 v68, vcc_lo, v45, v62
	v_add_co_ci_u32_e64 v69, null, 0, v71, vcc_lo
	v_add_co_u32 v70, vcc_lo, v60, v33
	v_add_co_ci_u32_e64 v72, null, v61, v34, vcc_lo
	;; [unrolled: 2-line block ×4, first 2 shown]
	v_cndmask_b32_e64 v68, v70, v68, s0
	v_cndmask_b32_e64 v69, v72, v69, s0
	global_load_dword v70, v[68:69], off
	v_add_co_u32 v68, vcc_lo, v43, v46
	v_add_co_ci_u32_e64 v69, null, 0, v44, vcc_lo
	v_lshlrev_b64 v[68:69], 2, v[68:69]
	v_add_co_u32 v72, vcc_lo, s30, v68
	v_add_co_ci_u32_e64 v73, null, s31, v69, vcc_lo
	v_add_co_u32 v68, vcc_lo, s26, v68
	v_add_co_ci_u32_e64 v69, null, s27, v69, vcc_lo
	global_store_dword v[72:73], v67, off offset:384
	s_waitcnt vmcnt(0)
	global_store_dword v[68:69], v70, off offset:384
	s_or_b32 exec_lo, exec_lo, s9
	s_and_saveexec_b32 s9, s14
	s_cbranch_execz .LBB129_89
.LBB129_145:                            ;   in Loop: Header=BB129_21 Depth=1
	v_add_co_u32 v67, vcc_lo, v45, v62
	v_add_co_ci_u32_e64 v68, null, 0, v71, vcc_lo
	v_add_co_u32 v69, vcc_lo, v60, v35
	v_add_co_ci_u32_e64 v70, null, v61, v36, vcc_lo
	;; [unrolled: 2-line block ×4, first 2 shown]
	v_cndmask_b32_e64 v67, v69, v67, s0
	v_cndmask_b32_e64 v68, v70, v68, s0
	global_load_dword v72, v[67:68], off
	v_add_co_u32 v67, vcc_lo, v43, v46
	v_add_co_ci_u32_e64 v68, null, 0, v44, vcc_lo
	v_lshlrev_b64 v[67:68], 2, v[67:68]
	v_add_co_u32 v69, vcc_lo, s30, v67
	v_add_co_ci_u32_e64 v70, null, s31, v68, vcc_lo
	v_add_co_u32 v67, vcc_lo, s26, v67
	v_add_co_ci_u32_e64 v68, null, s27, v68, vcc_lo
	global_store_dword v[69:70], v66, off offset:512
	s_waitcnt vmcnt(0)
	global_store_dword v[67:68], v72, off offset:512
	s_or_b32 exec_lo, exec_lo, s9
	s_and_saveexec_b32 s9, s15
	s_cbranch_execz .LBB129_90
.LBB129_146:                            ;   in Loop: Header=BB129_21 Depth=1
	v_add_co_u32 v66, vcc_lo, v45, v62
	v_add_co_ci_u32_e64 v67, null, 0, v71, vcc_lo
	v_add_co_u32 v68, vcc_lo, v60, v37
	v_add_co_ci_u32_e64 v69, null, v61, v38, vcc_lo
	;; [unrolled: 2-line block ×4, first 2 shown]
	v_cndmask_b32_e64 v66, v68, v66, s0
	v_cndmask_b32_e64 v67, v69, v67, s0
	global_load_dword v70, v[66:67], off
	v_add_co_u32 v66, vcc_lo, v43, v46
	v_add_co_ci_u32_e64 v67, null, 0, v44, vcc_lo
	v_lshlrev_b64 v[66:67], 2, v[66:67]
	v_add_co_u32 v68, vcc_lo, s30, v66
	v_add_co_ci_u32_e64 v69, null, s31, v67, vcc_lo
	v_add_co_u32 v66, vcc_lo, s26, v66
	v_add_co_ci_u32_e64 v67, null, s27, v67, vcc_lo
	global_store_dword v[68:69], v64, off offset:640
	s_waitcnt vmcnt(0)
	global_store_dword v[66:67], v70, off offset:640
	s_or_b32 exec_lo, exec_lo, s9
	s_and_saveexec_b32 s9, s4
	s_cbranch_execz .LBB129_91
.LBB129_147:                            ;   in Loop: Header=BB129_21 Depth=1
	v_add_co_u32 v64, vcc_lo, v45, v62
	v_add_co_ci_u32_e64 v66, null, 0, v71, vcc_lo
	v_add_co_u32 v67, vcc_lo, v60, v39
	v_add_co_ci_u32_e64 v68, null, v61, v40, vcc_lo
	;; [unrolled: 2-line block ×4, first 2 shown]
	v_cndmask_b32_e64 v67, v67, v66, s0
	v_cndmask_b32_e64 v66, v69, v64, s0
	global_load_dword v64, v[66:67], off
	v_add_co_u32 v66, vcc_lo, v43, v46
	v_add_co_ci_u32_e64 v67, null, 0, v44, vcc_lo
	v_lshlrev_b64 v[66:67], 2, v[66:67]
	v_add_co_u32 v68, vcc_lo, s30, v66
	v_add_co_ci_u32_e64 v69, null, s31, v67, vcc_lo
	v_add_co_u32 v66, vcc_lo, s26, v66
	v_add_co_ci_u32_e64 v67, null, s27, v67, vcc_lo
	global_store_dword v[68:69], v63, off offset:768
	s_waitcnt vmcnt(0)
	global_store_dword v[66:67], v64, off offset:768
	s_or_b32 exec_lo, exec_lo, s9
	s_and_saveexec_b32 s9, s5
	s_cbranch_execz .LBB129_20
.LBB129_148:                            ;   in Loop: Header=BB129_21 Depth=1
	v_add_co_u32 v45, vcc_lo, v45, v62
	v_add_co_ci_u32_e64 v62, null, 0, v71, vcc_lo
	v_add_co_u32 v60, vcc_lo, v60, v41
	v_add_co_ci_u32_e64 v61, null, v61, v42, vcc_lo
	v_add_co_u32 v43, vcc_lo, v43, v46
	v_cndmask_b32_e64 v60, v60, v45, s0
	v_cndmask_b32_e64 v61, v61, v62, s0
	v_add_co_ci_u32_e64 v44, null, 0, v44, vcc_lo
	global_load_dword v45, v[60:61], off offset:896
	v_lshlrev_b64 v[43:44], 2, v[43:44]
	v_add_co_u32 v60, vcc_lo, s30, v43
	v_add_co_ci_u32_e64 v61, null, s31, v44, vcc_lo
	v_add_co_u32 v43, vcc_lo, s26, v43
	v_add_co_ci_u32_e64 v44, null, s27, v44, vcc_lo
	global_store_dword v[60:61], v65, off offset:896
	s_waitcnt vmcnt(0)
	global_store_dword v[43:44], v45, off offset:896
	s_branch .LBB129_20
.LBB129_149:
	s_endpgm
	.section	.rodata,"a",@progbits
	.p2align	6, 0x0
	.amdhsa_kernel _ZN9rocsparseL35bsr2csr_block_per_row_33_256_kernelILj1024ELj256ELj32EfliEEv20rocsparse_direction_T4_S2_21rocsparse_index_base_PKT2_PKT3_PKS2_S2_S3_PS4_PS7_PS2_
		.amdhsa_group_segment_fixed_size 0
		.amdhsa_private_segment_fixed_size 0
		.amdhsa_kernarg_size 72
		.amdhsa_user_sgpr_count 6
		.amdhsa_user_sgpr_private_segment_buffer 1
		.amdhsa_user_sgpr_dispatch_ptr 0
		.amdhsa_user_sgpr_queue_ptr 0
		.amdhsa_user_sgpr_kernarg_segment_ptr 1
		.amdhsa_user_sgpr_dispatch_id 0
		.amdhsa_user_sgpr_flat_scratch_init 0
		.amdhsa_user_sgpr_private_segment_size 0
		.amdhsa_wavefront_size32 1
		.amdhsa_uses_dynamic_stack 0
		.amdhsa_system_sgpr_private_segment_wavefront_offset 0
		.amdhsa_system_sgpr_workgroup_id_x 1
		.amdhsa_system_sgpr_workgroup_id_y 0
		.amdhsa_system_sgpr_workgroup_id_z 0
		.amdhsa_system_sgpr_workgroup_info 0
		.amdhsa_system_vgpr_workitem_id 0
		.amdhsa_next_free_vgpr 77
		.amdhsa_next_free_sgpr 92
		.amdhsa_reserve_vcc 1
		.amdhsa_reserve_flat_scratch 0
		.amdhsa_float_round_mode_32 0
		.amdhsa_float_round_mode_16_64 0
		.amdhsa_float_denorm_mode_32 3
		.amdhsa_float_denorm_mode_16_64 3
		.amdhsa_dx10_clamp 1
		.amdhsa_ieee_mode 1
		.amdhsa_fp16_overflow 0
		.amdhsa_workgroup_processor_mode 1
		.amdhsa_memory_ordered 1
		.amdhsa_forward_progress 1
		.amdhsa_shared_vgpr_count 0
		.amdhsa_exception_fp_ieee_invalid_op 0
		.amdhsa_exception_fp_denorm_src 0
		.amdhsa_exception_fp_ieee_div_zero 0
		.amdhsa_exception_fp_ieee_overflow 0
		.amdhsa_exception_fp_ieee_underflow 0
		.amdhsa_exception_fp_ieee_inexact 0
		.amdhsa_exception_int_div_zero 0
	.end_amdhsa_kernel
	.section	.text._ZN9rocsparseL35bsr2csr_block_per_row_33_256_kernelILj1024ELj256ELj32EfliEEv20rocsparse_direction_T4_S2_21rocsparse_index_base_PKT2_PKT3_PKS2_S2_S3_PS4_PS7_PS2_,"axG",@progbits,_ZN9rocsparseL35bsr2csr_block_per_row_33_256_kernelILj1024ELj256ELj32EfliEEv20rocsparse_direction_T4_S2_21rocsparse_index_base_PKT2_PKT3_PKS2_S2_S3_PS4_PS7_PS2_,comdat
.Lfunc_end129:
	.size	_ZN9rocsparseL35bsr2csr_block_per_row_33_256_kernelILj1024ELj256ELj32EfliEEv20rocsparse_direction_T4_S2_21rocsparse_index_base_PKT2_PKT3_PKS2_S2_S3_PS4_PS7_PS2_, .Lfunc_end129-_ZN9rocsparseL35bsr2csr_block_per_row_33_256_kernelILj1024ELj256ELj32EfliEEv20rocsparse_direction_T4_S2_21rocsparse_index_base_PKT2_PKT3_PKS2_S2_S3_PS4_PS7_PS2_
                                        ; -- End function
	.set _ZN9rocsparseL35bsr2csr_block_per_row_33_256_kernelILj1024ELj256ELj32EfliEEv20rocsparse_direction_T4_S2_21rocsparse_index_base_PKT2_PKT3_PKS2_S2_S3_PS4_PS7_PS2_.num_vgpr, 77
	.set _ZN9rocsparseL35bsr2csr_block_per_row_33_256_kernelILj1024ELj256ELj32EfliEEv20rocsparse_direction_T4_S2_21rocsparse_index_base_PKT2_PKT3_PKS2_S2_S3_PS4_PS7_PS2_.num_agpr, 0
	.set _ZN9rocsparseL35bsr2csr_block_per_row_33_256_kernelILj1024ELj256ELj32EfliEEv20rocsparse_direction_T4_S2_21rocsparse_index_base_PKT2_PKT3_PKS2_S2_S3_PS4_PS7_PS2_.numbered_sgpr, 92
	.set _ZN9rocsparseL35bsr2csr_block_per_row_33_256_kernelILj1024ELj256ELj32EfliEEv20rocsparse_direction_T4_S2_21rocsparse_index_base_PKT2_PKT3_PKS2_S2_S3_PS4_PS7_PS2_.num_named_barrier, 0
	.set _ZN9rocsparseL35bsr2csr_block_per_row_33_256_kernelILj1024ELj256ELj32EfliEEv20rocsparse_direction_T4_S2_21rocsparse_index_base_PKT2_PKT3_PKS2_S2_S3_PS4_PS7_PS2_.private_seg_size, 0
	.set _ZN9rocsparseL35bsr2csr_block_per_row_33_256_kernelILj1024ELj256ELj32EfliEEv20rocsparse_direction_T4_S2_21rocsparse_index_base_PKT2_PKT3_PKS2_S2_S3_PS4_PS7_PS2_.uses_vcc, 1
	.set _ZN9rocsparseL35bsr2csr_block_per_row_33_256_kernelILj1024ELj256ELj32EfliEEv20rocsparse_direction_T4_S2_21rocsparse_index_base_PKT2_PKT3_PKS2_S2_S3_PS4_PS7_PS2_.uses_flat_scratch, 0
	.set _ZN9rocsparseL35bsr2csr_block_per_row_33_256_kernelILj1024ELj256ELj32EfliEEv20rocsparse_direction_T4_S2_21rocsparse_index_base_PKT2_PKT3_PKS2_S2_S3_PS4_PS7_PS2_.has_dyn_sized_stack, 0
	.set _ZN9rocsparseL35bsr2csr_block_per_row_33_256_kernelILj1024ELj256ELj32EfliEEv20rocsparse_direction_T4_S2_21rocsparse_index_base_PKT2_PKT3_PKS2_S2_S3_PS4_PS7_PS2_.has_recursion, 0
	.set _ZN9rocsparseL35bsr2csr_block_per_row_33_256_kernelILj1024ELj256ELj32EfliEEv20rocsparse_direction_T4_S2_21rocsparse_index_base_PKT2_PKT3_PKS2_S2_S3_PS4_PS7_PS2_.has_indirect_call, 0
	.section	.AMDGPU.csdata,"",@progbits
; Kernel info:
; codeLenInByte = 14276
; TotalNumSgprs: 94
; NumVgprs: 77
; ScratchSize: 0
; MemoryBound: 0
; FloatMode: 240
; IeeeMode: 1
; LDSByteSize: 0 bytes/workgroup (compile time only)
; SGPRBlocks: 0
; VGPRBlocks: 9
; NumSGPRsForWavesPerEU: 94
; NumVGPRsForWavesPerEU: 77
; Occupancy: 12
; WaveLimiterHint : 1
; COMPUTE_PGM_RSRC2:SCRATCH_EN: 0
; COMPUTE_PGM_RSRC2:USER_SGPR: 6
; COMPUTE_PGM_RSRC2:TRAP_HANDLER: 0
; COMPUTE_PGM_RSRC2:TGID_X_EN: 1
; COMPUTE_PGM_RSRC2:TGID_Y_EN: 0
; COMPUTE_PGM_RSRC2:TGID_Z_EN: 0
; COMPUTE_PGM_RSRC2:TIDIG_COMP_CNT: 0
	.section	.text._ZN9rocsparseL35bsr2csr_block_dim_equals_one_kernelILj1024EfilEEvT2_S1_21rocsparse_index_base_PKT0_PKT1_PKS1_S2_PS3_PS6_PS1_,"axG",@progbits,_ZN9rocsparseL35bsr2csr_block_dim_equals_one_kernelILj1024EfilEEvT2_S1_21rocsparse_index_base_PKT0_PKT1_PKS1_S2_PS3_PS6_PS1_,comdat
	.globl	_ZN9rocsparseL35bsr2csr_block_dim_equals_one_kernelILj1024EfilEEvT2_S1_21rocsparse_index_base_PKT0_PKT1_PKS1_S2_PS3_PS6_PS1_ ; -- Begin function _ZN9rocsparseL35bsr2csr_block_dim_equals_one_kernelILj1024EfilEEvT2_S1_21rocsparse_index_base_PKT0_PKT1_PKS1_S2_PS3_PS6_PS1_
	.p2align	8
	.type	_ZN9rocsparseL35bsr2csr_block_dim_equals_one_kernelILj1024EfilEEvT2_S1_21rocsparse_index_base_PKT0_PKT1_PKS1_S2_PS3_PS6_PS1_,@function
_ZN9rocsparseL35bsr2csr_block_dim_equals_one_kernelILj1024EfilEEvT2_S1_21rocsparse_index_base_PKT0_PKT1_PKS1_S2_PS3_PS6_PS1_: ; @_ZN9rocsparseL35bsr2csr_block_dim_equals_one_kernelILj1024EfilEEvT2_S1_21rocsparse_index_base_PKT0_PKT1_PKS1_S2_PS3_PS6_PS1_
; %bb.0:
	s_clause 0x6
	s_load_dwordx2 s[0:1], s[4:5], 0x0
	s_load_dword s16, s[4:5], 0x10
	s_load_dwordx4 s[8:11], s[4:5], 0x18
	s_load_dwordx2 s[2:3], s[4:5], 0x28
	s_load_dwordx2 s[12:13], s[4:5], 0x48
	s_load_dword s17, s[4:5], 0x30
	s_load_dwordx2 s[14:15], s[4:5], 0x38
	v_lshl_or_b32 v0, s6, 10, v0
	v_mov_b32_e32 v1, 0
	s_mov_b32 s18, exec_lo
	s_waitcnt lgkmcnt(0)
	v_cmpx_gt_i64_e64 s[0:1], v[0:1]
	s_cbranch_execz .LBB130_6
; %bb.1:
	s_load_dwordx2 s[6:7], s[4:5], 0x40
	s_mov_b32 s19, exec_lo
                                        ; implicit-def: $sgpr20
	v_cmpx_ne_u32_e32 0, v0
	s_xor_b32 s19, exec_lo, s19
; %bb.2:
	s_sub_i32 s20, s17, s16
; %bb.3:
	s_or_saveexec_b32 s19, s19
	v_mov_b32_e32 v2, s20
	s_xor_b32 exec_lo, exec_lo, s19
	s_cbranch_execz .LBB130_5
; %bb.4:
	s_load_dword s20, s[10:11], 0x0
	s_sub_i32 s21, s17, s16
	v_mov_b32_e32 v3, 0
	v_mov_b32_e32 v2, s21
	s_waitcnt lgkmcnt(0)
	s_add_i32 s20, s21, s20
	v_mov_b32_e32 v4, s20
	global_store_dword v3, v4, s[6:7]
.LBB130_5:
	s_or_b32 exec_lo, exec_lo, s19
	v_lshlrev_b64 v[3:4], 2, v[0:1]
	v_add_co_u32 v5, vcc_lo, s10, v3
	v_add_co_ci_u32_e64 v6, null, s11, v4, vcc_lo
	global_load_dword v5, v[5:6], off offset:4
	s_waitcnt vmcnt(0)
	v_add_nc_u32_e32 v5, v2, v5
	s_waitcnt lgkmcnt(0)
	v_add_co_u32 v2, vcc_lo, s6, v3
	v_add_co_ci_u32_e64 v3, null, s7, v4, vcc_lo
	global_store_dword v[2:3], v5, off offset:4
.LBB130_6:
	s_or_b32 exec_lo, exec_lo, s18
	s_lshl_b64 s[0:1], s[0:1], 2
	s_add_u32 s0, s10, s0
	s_addc_u32 s1, s11, s1
	s_clause 0x1
	s_load_dword s0, s[0:1], 0x0
	s_load_dword s1, s[10:11], 0x0
	s_waitcnt lgkmcnt(0)
	s_sub_i32 s6, s0, s1
	s_mov_b32 s0, exec_lo
	s_ashr_i32 s7, s6, 31
	v_cmpx_gt_i64_e64 s[6:7], v[0:1]
	s_cbranch_execz .LBB130_9
; %bb.7:
	s_load_dword s0, s[4:5], 0x50
	v_lshlrev_b64 v[2:3], 2, v[0:1]
	v_lshlrev_b64 v[4:5], 3, v[0:1]
	s_sub_u32 s18, s17, s16
	s_mov_b32 s5, 0
	s_subb_u32 s19, 0, 0
	s_waitcnt lgkmcnt(0)
	s_lshl_b32 s4, s0, 10
	s_lshl_b64 s[10:11], s[4:5], 2
	s_lshl_b64 s[16:17], s[4:5], 3
	s_inst_prefetch 0x1
	.p2align	6
.LBB130_8:                              ; =>This Inner Loop Header: Depth=1
	v_add_co_u32 v6, vcc_lo, s2, v4
	v_add_co_ci_u32_e64 v7, null, s3, v5, vcc_lo
	v_add_co_u32 v8, vcc_lo, s8, v2
	v_add_co_ci_u32_e64 v9, null, s9, v3, vcc_lo
	global_load_dwordx2 v[6:7], v[6:7], off
	global_load_dword v12, v[8:9], off
	v_add_co_u32 v8, vcc_lo, s12, v4
	v_add_co_ci_u32_e64 v9, null, s13, v5, vcc_lo
	v_add_co_u32 v10, vcc_lo, s14, v2
	v_add_co_ci_u32_e64 v11, null, s15, v3, vcc_lo
	;; [unrolled: 2-line block ×4, first 2 shown]
	v_cmp_le_i64_e64 s0, s[6:7], v[0:1]
	v_add_co_u32 v4, vcc_lo, v4, s16
	v_add_co_ci_u32_e64 v5, null, s17, v5, vcc_lo
	s_or_b32 s5, s0, s5
	s_waitcnt vmcnt(1)
	v_add_co_u32 v6, s1, s18, v6
	v_add_co_ci_u32_e64 v7, null, s19, v7, s1
	s_waitcnt vmcnt(0)
	global_store_dword v[10:11], v12, off
	global_store_dwordx2 v[8:9], v[6:7], off
	s_andn2_b32 exec_lo, exec_lo, s5
	s_cbranch_execnz .LBB130_8
.LBB130_9:
	s_inst_prefetch 0x2
	s_endpgm
	.section	.rodata,"a",@progbits
	.p2align	6, 0x0
	.amdhsa_kernel _ZN9rocsparseL35bsr2csr_block_dim_equals_one_kernelILj1024EfilEEvT2_S1_21rocsparse_index_base_PKT0_PKT1_PKS1_S2_PS3_PS6_PS1_
		.amdhsa_group_segment_fixed_size 0
		.amdhsa_private_segment_fixed_size 0
		.amdhsa_kernarg_size 336
		.amdhsa_user_sgpr_count 6
		.amdhsa_user_sgpr_private_segment_buffer 1
		.amdhsa_user_sgpr_dispatch_ptr 0
		.amdhsa_user_sgpr_queue_ptr 0
		.amdhsa_user_sgpr_kernarg_segment_ptr 1
		.amdhsa_user_sgpr_dispatch_id 0
		.amdhsa_user_sgpr_flat_scratch_init 0
		.amdhsa_user_sgpr_private_segment_size 0
		.amdhsa_wavefront_size32 1
		.amdhsa_uses_dynamic_stack 0
		.amdhsa_system_sgpr_private_segment_wavefront_offset 0
		.amdhsa_system_sgpr_workgroup_id_x 1
		.amdhsa_system_sgpr_workgroup_id_y 0
		.amdhsa_system_sgpr_workgroup_id_z 0
		.amdhsa_system_sgpr_workgroup_info 0
		.amdhsa_system_vgpr_workitem_id 0
		.amdhsa_next_free_vgpr 13
		.amdhsa_next_free_sgpr 22
		.amdhsa_reserve_vcc 1
		.amdhsa_reserve_flat_scratch 0
		.amdhsa_float_round_mode_32 0
		.amdhsa_float_round_mode_16_64 0
		.amdhsa_float_denorm_mode_32 3
		.amdhsa_float_denorm_mode_16_64 3
		.amdhsa_dx10_clamp 1
		.amdhsa_ieee_mode 1
		.amdhsa_fp16_overflow 0
		.amdhsa_workgroup_processor_mode 1
		.amdhsa_memory_ordered 1
		.amdhsa_forward_progress 1
		.amdhsa_shared_vgpr_count 0
		.amdhsa_exception_fp_ieee_invalid_op 0
		.amdhsa_exception_fp_denorm_src 0
		.amdhsa_exception_fp_ieee_div_zero 0
		.amdhsa_exception_fp_ieee_overflow 0
		.amdhsa_exception_fp_ieee_underflow 0
		.amdhsa_exception_fp_ieee_inexact 0
		.amdhsa_exception_int_div_zero 0
	.end_amdhsa_kernel
	.section	.text._ZN9rocsparseL35bsr2csr_block_dim_equals_one_kernelILj1024EfilEEvT2_S1_21rocsparse_index_base_PKT0_PKT1_PKS1_S2_PS3_PS6_PS1_,"axG",@progbits,_ZN9rocsparseL35bsr2csr_block_dim_equals_one_kernelILj1024EfilEEvT2_S1_21rocsparse_index_base_PKT0_PKT1_PKS1_S2_PS3_PS6_PS1_,comdat
.Lfunc_end130:
	.size	_ZN9rocsparseL35bsr2csr_block_dim_equals_one_kernelILj1024EfilEEvT2_S1_21rocsparse_index_base_PKT0_PKT1_PKS1_S2_PS3_PS6_PS1_, .Lfunc_end130-_ZN9rocsparseL35bsr2csr_block_dim_equals_one_kernelILj1024EfilEEvT2_S1_21rocsparse_index_base_PKT0_PKT1_PKS1_S2_PS3_PS6_PS1_
                                        ; -- End function
	.set _ZN9rocsparseL35bsr2csr_block_dim_equals_one_kernelILj1024EfilEEvT2_S1_21rocsparse_index_base_PKT0_PKT1_PKS1_S2_PS3_PS6_PS1_.num_vgpr, 13
	.set _ZN9rocsparseL35bsr2csr_block_dim_equals_one_kernelILj1024EfilEEvT2_S1_21rocsparse_index_base_PKT0_PKT1_PKS1_S2_PS3_PS6_PS1_.num_agpr, 0
	.set _ZN9rocsparseL35bsr2csr_block_dim_equals_one_kernelILj1024EfilEEvT2_S1_21rocsparse_index_base_PKT0_PKT1_PKS1_S2_PS3_PS6_PS1_.numbered_sgpr, 22
	.set _ZN9rocsparseL35bsr2csr_block_dim_equals_one_kernelILj1024EfilEEvT2_S1_21rocsparse_index_base_PKT0_PKT1_PKS1_S2_PS3_PS6_PS1_.num_named_barrier, 0
	.set _ZN9rocsparseL35bsr2csr_block_dim_equals_one_kernelILj1024EfilEEvT2_S1_21rocsparse_index_base_PKT0_PKT1_PKS1_S2_PS3_PS6_PS1_.private_seg_size, 0
	.set _ZN9rocsparseL35bsr2csr_block_dim_equals_one_kernelILj1024EfilEEvT2_S1_21rocsparse_index_base_PKT0_PKT1_PKS1_S2_PS3_PS6_PS1_.uses_vcc, 1
	.set _ZN9rocsparseL35bsr2csr_block_dim_equals_one_kernelILj1024EfilEEvT2_S1_21rocsparse_index_base_PKT0_PKT1_PKS1_S2_PS3_PS6_PS1_.uses_flat_scratch, 0
	.set _ZN9rocsparseL35bsr2csr_block_dim_equals_one_kernelILj1024EfilEEvT2_S1_21rocsparse_index_base_PKT0_PKT1_PKS1_S2_PS3_PS6_PS1_.has_dyn_sized_stack, 0
	.set _ZN9rocsparseL35bsr2csr_block_dim_equals_one_kernelILj1024EfilEEvT2_S1_21rocsparse_index_base_PKT0_PKT1_PKS1_S2_PS3_PS6_PS1_.has_recursion, 0
	.set _ZN9rocsparseL35bsr2csr_block_dim_equals_one_kernelILj1024EfilEEvT2_S1_21rocsparse_index_base_PKT0_PKT1_PKS1_S2_PS3_PS6_PS1_.has_indirect_call, 0
	.section	.AMDGPU.csdata,"",@progbits
; Kernel info:
; codeLenInByte = 580
; TotalNumSgprs: 24
; NumVgprs: 13
; ScratchSize: 0
; MemoryBound: 0
; FloatMode: 240
; IeeeMode: 1
; LDSByteSize: 0 bytes/workgroup (compile time only)
; SGPRBlocks: 0
; VGPRBlocks: 1
; NumSGPRsForWavesPerEU: 24
; NumVGPRsForWavesPerEU: 13
; Occupancy: 16
; WaveLimiterHint : 0
; COMPUTE_PGM_RSRC2:SCRATCH_EN: 0
; COMPUTE_PGM_RSRC2:USER_SGPR: 6
; COMPUTE_PGM_RSRC2:TRAP_HANDLER: 0
; COMPUTE_PGM_RSRC2:TGID_X_EN: 1
; COMPUTE_PGM_RSRC2:TGID_Y_EN: 0
; COMPUTE_PGM_RSRC2:TGID_Z_EN: 0
; COMPUTE_PGM_RSRC2:TIDIG_COMP_CNT: 0
	.section	.text._ZN9rocsparseL32bsr2csr_block_per_row_2_7_kernelILj256ELj2EfilEEv20rocsparse_direction_T3_S2_21rocsparse_index_base_PKT1_PKT2_PKS2_S2_S3_PS4_PS7_PS2_,"axG",@progbits,_ZN9rocsparseL32bsr2csr_block_per_row_2_7_kernelILj256ELj2EfilEEv20rocsparse_direction_T3_S2_21rocsparse_index_base_PKT1_PKT2_PKS2_S2_S3_PS4_PS7_PS2_,comdat
	.globl	_ZN9rocsparseL32bsr2csr_block_per_row_2_7_kernelILj256ELj2EfilEEv20rocsparse_direction_T3_S2_21rocsparse_index_base_PKT1_PKT2_PKS2_S2_S3_PS4_PS7_PS2_ ; -- Begin function _ZN9rocsparseL32bsr2csr_block_per_row_2_7_kernelILj256ELj2EfilEEv20rocsparse_direction_T3_S2_21rocsparse_index_base_PKT1_PKT2_PKS2_S2_S3_PS4_PS7_PS2_
	.p2align	8
	.type	_ZN9rocsparseL32bsr2csr_block_per_row_2_7_kernelILj256ELj2EfilEEv20rocsparse_direction_T3_S2_21rocsparse_index_base_PKT1_PKT2_PKS2_S2_S3_PS4_PS7_PS2_,@function
_ZN9rocsparseL32bsr2csr_block_per_row_2_7_kernelILj256ELj2EfilEEv20rocsparse_direction_T3_S2_21rocsparse_index_base_PKT1_PKT2_PKS2_S2_S3_PS4_PS7_PS2_: ; @_ZN9rocsparseL32bsr2csr_block_per_row_2_7_kernelILj256ELj2EfilEEv20rocsparse_direction_T3_S2_21rocsparse_index_base_PKT1_PKT2_PKS2_S2_S3_PS4_PS7_PS2_
; %bb.0:
	s_load_dwordx2 s[0:1], s[4:5], 0x28
	s_mov_b32 s7, 0
	s_clause 0x1
	s_load_dword s12, s[4:5], 0x40
	s_load_dwordx2 s[2:3], s[4:5], 0x50
	s_lshl_b64 s[8:9], s[6:7], 2
	v_or_b32_e32 v1, s6, v0
	s_waitcnt lgkmcnt(0)
	s_add_u32 s0, s0, s8
	s_addc_u32 s1, s1, s9
	s_mov_b32 s8, exec_lo
	s_load_dwordx2 s[0:1], s[0:1], 0x0
	v_cmpx_eq_u32_e32 0, v1
	s_cbranch_execz .LBB131_2
; %bb.1:
	v_mov_b32_e32 v1, 0
	v_mov_b32_e32 v2, s12
	global_store_dword v1, v2, s[2:3]
.LBB131_2:
	s_or_b32 exec_lo, exec_lo, s8
	s_load_dword s13, s[4:5], 0x18
	v_and_b32_e32 v8, 1, v0
	v_lshrrev_b32_e32 v2, 1, v0
	s_lshl_b64 s[6:7], s[6:7], 3
	v_lshlrev_b32_e32 v4, 2, v8
	s_waitcnt lgkmcnt(0)
	s_sub_i32 s8, s0, s13
	s_sub_i32 s14, s1, s13
	s_lshl_b32 s9, s8, 2
	s_sub_i32 s1, s14, s8
	v_add_nc_u32_e32 v0, s8, v2
	s_lshl_b32 s1, s1, 1
	v_mul_lo_u32 v1, s1, v8
	s_add_i32 s1, s1, s12
	s_add_u32 s2, s2, s6
	s_addc_u32 s3, s3, s7
	v_add3_u32 v3, s1, s9, v1
	s_mov_b32 s1, exec_lo
	global_store_dword v4, v3, s[2:3] offset:4
	v_cmpx_gt_i32_e64 s14, v0
	s_cbranch_execz .LBB131_5
; %bb.3:
	s_clause 0x4
	s_load_dwordx2 s[6:7], s[4:5], 0x30
	s_load_dwordx2 s[8:9], s[4:5], 0x48
	s_load_dword s1, s[4:5], 0x0
	s_load_dwordx2 s[10:11], s[4:5], 0x20
	s_load_dwordx2 s[4:5], s[4:5], 0x58
	v_lshlrev_b32_e32 v2, 1, v2
	v_lshlrev_b32_e32 v4, 3, v8
	v_mov_b32_e32 v3, 0
	v_lshlrev_b32_e32 v6, 2, v0
	s_mov_b32 s3, 0
	s_waitcnt lgkmcnt(0)
	s_cmp_eq_u32 s1, 0
	s_cselect_b32 vcc_lo, -1, 0
	s_lshl_b32 s0, s0, 2
	s_lshl_b32 s1, s13, 2
	v_add3_u32 v1, v1, s0, v2
	v_add_co_u32 v9, s0, s10, v4
	v_add_co_ci_u32_e64 v10, null, s11, 0, s0
	v_subrev_nc_u32_e32 v4, s1, v1
.LBB131_4:                              ; =>This Inner Loop Header: Depth=1
	v_ashrrev_i32_e32 v1, 31, v0
	v_mov_b32_e32 v7, v3
	v_add_nc_u32_e32 v2, v8, v6
	v_lshlrev_b64 v[11:12], 3, v[0:1]
	v_lshlrev_b64 v[13:14], 2, v[6:7]
	;; [unrolled: 1-line block ×3, first 2 shown]
	v_add_nc_u32_e32 v0, 0x80, v0
	v_add_nc_u32_e32 v6, 0x200, v6
	v_add_co_u32 v11, s0, s6, v11
	v_add_co_ci_u32_e64 v12, null, s7, v12, s0
	v_add_co_u32 v5, s1, v9, v13
	v_add_co_u32 v1, s0, s10, v1
	global_load_dwordx2 v[11:12], v[11:12], off
	v_add_co_ci_u32_e64 v7, null, v10, v14, s1
	v_add_co_ci_u32_e64 v2, null, s11, v2, s0
	v_add_co_u32 v13, s0, v5, 4
	v_add_co_ci_u32_e64 v14, null, 0, v7, s0
	v_add_co_u32 v15, s0, v1, 8
	v_add_co_ci_u32_e64 v16, null, 0, v2, s0
	v_cndmask_b32_e32 v2, v2, v7, vcc_lo
	v_cndmask_b32_e32 v1, v1, v5, vcc_lo
	;; [unrolled: 1-line block ×4, first 2 shown]
	global_load_dword v1, v[1:2], off
	global_load_dword v2, v[13:14], off
	v_ashrrev_i32_e32 v5, 31, v4
	v_cmp_le_i32_e64 s0, s14, v0
	v_lshlrev_b64 v[13:14], 3, v[4:5]
	v_lshlrev_b64 v[15:16], 2, v[4:5]
	v_add_nc_u32_e32 v4, 0x100, v4
	s_or_b32 s3, s0, s3
	v_add_co_u32 v17, s1, s4, v13
	v_add_co_ci_u32_e64 v18, null, s5, v14, s1
	v_add_co_u32 v15, s1, s8, v15
	v_add_co_ci_u32_e64 v16, null, s9, v16, s1
	s_waitcnt vmcnt(2)
	v_sub_co_u32 v11, s2, v11, s13
	v_subrev_co_ci_u32_e64 v12, null, 0, v12, s2
	v_lshlrev_b64 v[11:12], 1, v[11:12]
	v_add_co_u32 v11, s2, v11, s12
	v_add_co_ci_u32_e64 v12, null, 0, v12, s2
	v_add_co_u32 v13, s1, v11, 1
	v_add_co_ci_u32_e64 v14, null, 0, v12, s1
	s_waitcnt vmcnt(0)
	global_store_dwordx2 v[15:16], v[1:2], off
	global_store_dwordx4 v[17:18], v[11:14], off
	s_andn2_b32 exec_lo, exec_lo, s3
	s_cbranch_execnz .LBB131_4
.LBB131_5:
	s_endpgm
	.section	.rodata,"a",@progbits
	.p2align	6, 0x0
	.amdhsa_kernel _ZN9rocsparseL32bsr2csr_block_per_row_2_7_kernelILj256ELj2EfilEEv20rocsparse_direction_T3_S2_21rocsparse_index_base_PKT1_PKT2_PKS2_S2_S3_PS4_PS7_PS2_
		.amdhsa_group_segment_fixed_size 0
		.amdhsa_private_segment_fixed_size 0
		.amdhsa_kernarg_size 96
		.amdhsa_user_sgpr_count 6
		.amdhsa_user_sgpr_private_segment_buffer 1
		.amdhsa_user_sgpr_dispatch_ptr 0
		.amdhsa_user_sgpr_queue_ptr 0
		.amdhsa_user_sgpr_kernarg_segment_ptr 1
		.amdhsa_user_sgpr_dispatch_id 0
		.amdhsa_user_sgpr_flat_scratch_init 0
		.amdhsa_user_sgpr_private_segment_size 0
		.amdhsa_wavefront_size32 1
		.amdhsa_uses_dynamic_stack 0
		.amdhsa_system_sgpr_private_segment_wavefront_offset 0
		.amdhsa_system_sgpr_workgroup_id_x 1
		.amdhsa_system_sgpr_workgroup_id_y 0
		.amdhsa_system_sgpr_workgroup_id_z 0
		.amdhsa_system_sgpr_workgroup_info 0
		.amdhsa_system_vgpr_workitem_id 0
		.amdhsa_next_free_vgpr 19
		.amdhsa_next_free_sgpr 15
		.amdhsa_reserve_vcc 1
		.amdhsa_reserve_flat_scratch 0
		.amdhsa_float_round_mode_32 0
		.amdhsa_float_round_mode_16_64 0
		.amdhsa_float_denorm_mode_32 3
		.amdhsa_float_denorm_mode_16_64 3
		.amdhsa_dx10_clamp 1
		.amdhsa_ieee_mode 1
		.amdhsa_fp16_overflow 0
		.amdhsa_workgroup_processor_mode 1
		.amdhsa_memory_ordered 1
		.amdhsa_forward_progress 1
		.amdhsa_shared_vgpr_count 0
		.amdhsa_exception_fp_ieee_invalid_op 0
		.amdhsa_exception_fp_denorm_src 0
		.amdhsa_exception_fp_ieee_div_zero 0
		.amdhsa_exception_fp_ieee_overflow 0
		.amdhsa_exception_fp_ieee_underflow 0
		.amdhsa_exception_fp_ieee_inexact 0
		.amdhsa_exception_int_div_zero 0
	.end_amdhsa_kernel
	.section	.text._ZN9rocsparseL32bsr2csr_block_per_row_2_7_kernelILj256ELj2EfilEEv20rocsparse_direction_T3_S2_21rocsparse_index_base_PKT1_PKT2_PKS2_S2_S3_PS4_PS7_PS2_,"axG",@progbits,_ZN9rocsparseL32bsr2csr_block_per_row_2_7_kernelILj256ELj2EfilEEv20rocsparse_direction_T3_S2_21rocsparse_index_base_PKT1_PKT2_PKS2_S2_S3_PS4_PS7_PS2_,comdat
.Lfunc_end131:
	.size	_ZN9rocsparseL32bsr2csr_block_per_row_2_7_kernelILj256ELj2EfilEEv20rocsparse_direction_T3_S2_21rocsparse_index_base_PKT1_PKT2_PKS2_S2_S3_PS4_PS7_PS2_, .Lfunc_end131-_ZN9rocsparseL32bsr2csr_block_per_row_2_7_kernelILj256ELj2EfilEEv20rocsparse_direction_T3_S2_21rocsparse_index_base_PKT1_PKT2_PKS2_S2_S3_PS4_PS7_PS2_
                                        ; -- End function
	.set _ZN9rocsparseL32bsr2csr_block_per_row_2_7_kernelILj256ELj2EfilEEv20rocsparse_direction_T3_S2_21rocsparse_index_base_PKT1_PKT2_PKS2_S2_S3_PS4_PS7_PS2_.num_vgpr, 19
	.set _ZN9rocsparseL32bsr2csr_block_per_row_2_7_kernelILj256ELj2EfilEEv20rocsparse_direction_T3_S2_21rocsparse_index_base_PKT1_PKT2_PKS2_S2_S3_PS4_PS7_PS2_.num_agpr, 0
	.set _ZN9rocsparseL32bsr2csr_block_per_row_2_7_kernelILj256ELj2EfilEEv20rocsparse_direction_T3_S2_21rocsparse_index_base_PKT1_PKT2_PKS2_S2_S3_PS4_PS7_PS2_.numbered_sgpr, 15
	.set _ZN9rocsparseL32bsr2csr_block_per_row_2_7_kernelILj256ELj2EfilEEv20rocsparse_direction_T3_S2_21rocsparse_index_base_PKT1_PKT2_PKS2_S2_S3_PS4_PS7_PS2_.num_named_barrier, 0
	.set _ZN9rocsparseL32bsr2csr_block_per_row_2_7_kernelILj256ELj2EfilEEv20rocsparse_direction_T3_S2_21rocsparse_index_base_PKT1_PKT2_PKS2_S2_S3_PS4_PS7_PS2_.private_seg_size, 0
	.set _ZN9rocsparseL32bsr2csr_block_per_row_2_7_kernelILj256ELj2EfilEEv20rocsparse_direction_T3_S2_21rocsparse_index_base_PKT1_PKT2_PKS2_S2_S3_PS4_PS7_PS2_.uses_vcc, 1
	.set _ZN9rocsparseL32bsr2csr_block_per_row_2_7_kernelILj256ELj2EfilEEv20rocsparse_direction_T3_S2_21rocsparse_index_base_PKT1_PKT2_PKS2_S2_S3_PS4_PS7_PS2_.uses_flat_scratch, 0
	.set _ZN9rocsparseL32bsr2csr_block_per_row_2_7_kernelILj256ELj2EfilEEv20rocsparse_direction_T3_S2_21rocsparse_index_base_PKT1_PKT2_PKS2_S2_S3_PS4_PS7_PS2_.has_dyn_sized_stack, 0
	.set _ZN9rocsparseL32bsr2csr_block_per_row_2_7_kernelILj256ELj2EfilEEv20rocsparse_direction_T3_S2_21rocsparse_index_base_PKT1_PKT2_PKS2_S2_S3_PS4_PS7_PS2_.has_recursion, 0
	.set _ZN9rocsparseL32bsr2csr_block_per_row_2_7_kernelILj256ELj2EfilEEv20rocsparse_direction_T3_S2_21rocsparse_index_base_PKT1_PKT2_PKS2_S2_S3_PS4_PS7_PS2_.has_indirect_call, 0
	.section	.AMDGPU.csdata,"",@progbits
; Kernel info:
; codeLenInByte = 644
; TotalNumSgprs: 17
; NumVgprs: 19
; ScratchSize: 0
; MemoryBound: 0
; FloatMode: 240
; IeeeMode: 1
; LDSByteSize: 0 bytes/workgroup (compile time only)
; SGPRBlocks: 0
; VGPRBlocks: 2
; NumSGPRsForWavesPerEU: 17
; NumVGPRsForWavesPerEU: 19
; Occupancy: 16
; WaveLimiterHint : 0
; COMPUTE_PGM_RSRC2:SCRATCH_EN: 0
; COMPUTE_PGM_RSRC2:USER_SGPR: 6
; COMPUTE_PGM_RSRC2:TRAP_HANDLER: 0
; COMPUTE_PGM_RSRC2:TGID_X_EN: 1
; COMPUTE_PGM_RSRC2:TGID_Y_EN: 0
; COMPUTE_PGM_RSRC2:TGID_Z_EN: 0
; COMPUTE_PGM_RSRC2:TIDIG_COMP_CNT: 0
	.section	.text._ZN9rocsparseL32bsr2csr_block_per_row_2_7_kernelILj256ELj3EfilEEv20rocsparse_direction_T3_S2_21rocsparse_index_base_PKT1_PKT2_PKS2_S2_S3_PS4_PS7_PS2_,"axG",@progbits,_ZN9rocsparseL32bsr2csr_block_per_row_2_7_kernelILj256ELj3EfilEEv20rocsparse_direction_T3_S2_21rocsparse_index_base_PKT1_PKT2_PKS2_S2_S3_PS4_PS7_PS2_,comdat
	.globl	_ZN9rocsparseL32bsr2csr_block_per_row_2_7_kernelILj256ELj3EfilEEv20rocsparse_direction_T3_S2_21rocsparse_index_base_PKT1_PKT2_PKS2_S2_S3_PS4_PS7_PS2_ ; -- Begin function _ZN9rocsparseL32bsr2csr_block_per_row_2_7_kernelILj256ELj3EfilEEv20rocsparse_direction_T3_S2_21rocsparse_index_base_PKT1_PKT2_PKS2_S2_S3_PS4_PS7_PS2_
	.p2align	8
	.type	_ZN9rocsparseL32bsr2csr_block_per_row_2_7_kernelILj256ELj3EfilEEv20rocsparse_direction_T3_S2_21rocsparse_index_base_PKT1_PKT2_PKS2_S2_S3_PS4_PS7_PS2_,@function
_ZN9rocsparseL32bsr2csr_block_per_row_2_7_kernelILj256ELj3EfilEEv20rocsparse_direction_T3_S2_21rocsparse_index_base_PKT1_PKT2_PKS2_S2_S3_PS4_PS7_PS2_: ; @_ZN9rocsparseL32bsr2csr_block_per_row_2_7_kernelILj256ELj3EfilEEv20rocsparse_direction_T3_S2_21rocsparse_index_base_PKT1_PKT2_PKS2_S2_S3_PS4_PS7_PS2_
; %bb.0:
	s_clause 0x2
	s_load_dwordx2 s[2:3], s[4:5], 0x28
	s_load_dword s8, s[4:5], 0x40
	s_load_dwordx2 s[0:1], s[4:5], 0x50
	s_mov_b32 s7, 0
	v_or_b32_e32 v1, s6, v0
	s_lshl_b64 s[10:11], s[6:7], 2
	s_mov_b32 s7, exec_lo
	s_waitcnt lgkmcnt(0)
	s_add_u32 s2, s2, s10
	s_addc_u32 s3, s3, s11
	v_cmpx_eq_u32_e32 0, v1
	s_cbranch_execz .LBB132_2
; %bb.1:
	v_mov_b32_e32 v1, 0
	v_mov_b32_e32 v2, s8
	global_store_dword v1, v2, s[0:1]
.LBB132_2:
	s_or_b32 exec_lo, exec_lo, s7
	v_and_b32_e32 v1, 3, v0
	s_mov_b32 s7, exec_lo
	v_cmpx_ne_u32_e32 3, v1
	s_cbranch_execz .LBB132_6
; %bb.3:
	s_load_dwordx2 s[2:3], s[2:3], 0x0
	s_load_dword s12, s[4:5], 0x18
	v_lshrrev_b32_e32 v2, 2, v0
	s_mul_hi_u32 s10, s6, 12
	s_mul_i32 s6, s6, 12
	v_lshlrev_b32_e32 v5, 2, v1
	s_waitcnt lgkmcnt(0)
	s_sub_i32 s7, s2, s12
	s_sub_i32 s3, s3, s12
	v_add_nc_u32_e32 v0, s7, v2
	s_sub_i32 s9, s3, s7
	s_mul_i32 s11, s7, 9
	s_mul_i32 s9, s9, 3
	v_mul_lo_u32 v4, s9, v1
	s_add_i32 s9, s9, s8
	v_cmp_gt_i32_e32 vcc_lo, s3, v0
	s_add_u32 s0, s0, s6
	s_addc_u32 s1, s1, s10
	v_add3_u32 v3, s9, s11, v4
	global_store_dword v5, v3, s[0:1] offset:4
	s_and_b32 exec_lo, exec_lo, vcc_lo
	s_cbranch_execz .LBB132_6
; %bb.4:
	s_clause 0x4
	s_load_dwordx2 s[0:1], s[4:5], 0x20
	s_load_dwordx2 s[6:7], s[4:5], 0x30
	;; [unrolled: 1-line block ×3, first 2 shown]
	s_load_dword s9, s[4:5], 0x0
	s_load_dwordx2 s[4:5], s[4:5], 0x58
	v_mul_u32_u24_e32 v6, 3, v2
	s_mul_i32 s2, s2, 9
	v_lshlrev_b32_e32 v1, 3, v1
	s_mul_i32 s13, s12, 9
	v_mov_b32_e32 v3, 0
	v_add3_u32 v4, v4, s2, v6
	v_lshl_add_u32 v2, v0, 3, v0
	v_subrev_nc_u32_e32 v4, s13, v4
	s_waitcnt lgkmcnt(0)
	v_add_co_u32 v6, s0, s0, v5
	v_add_co_ci_u32_e64 v7, null, s1, 0, s0
	s_cmp_eq_u32 s9, 0
	v_add_co_u32 v8, vcc_lo, v6, v1
	v_add_co_ci_u32_e64 v9, null, 0, v7, vcc_lo
	s_mov_b32 s9, 0
	s_cselect_b32 vcc_lo, -1, 0
	s_mov_b32 s13, s9
.LBB132_5:                              ; =>This Inner Loop Header: Depth=1
	v_ashrrev_i32_e32 v1, 31, v0
	v_lshlrev_b64 v[10:11], 2, v[2:3]
	v_add_nc_u32_e32 v2, 0x240, v2
	v_lshlrev_b64 v[12:13], 3, v[0:1]
	v_add_nc_u32_e32 v0, 64, v0
	v_add_co_u32 v5, s1, v8, v10
	v_add_co_u32 v1, s0, v6, v10
	;; [unrolled: 1-line block ×3, first 2 shown]
	v_add_co_ci_u32_e64 v13, null, s7, v13, s2
	v_add_co_ci_u32_e64 v10, null, v9, v11, s1
	;; [unrolled: 1-line block ×3, first 2 shown]
	global_load_dwordx2 v[12:13], v[12:13], off
	v_add_co_u32 v14, s0, v5, 4
	v_add_co_ci_u32_e64 v15, null, 0, v10, s0
	v_add_co_u32 v17, s0, v1, 12
	v_add_co_ci_u32_e64 v16, null, 0, v11, s0
	;; [unrolled: 2-line block ×4, first 2 shown]
	v_cndmask_b32_e32 v11, v11, v10, vcc_lo
	v_cndmask_b32_e32 v10, v1, v5, vcc_lo
	v_cndmask_b32_e32 v16, v16, v15, vcc_lo
	v_cndmask_b32_e32 v15, v17, v14, vcc_lo
	v_cndmask_b32_e32 v18, v21, v18, vcc_lo
	v_cndmask_b32_e32 v17, v20, v19, vcc_lo
	global_load_dword v14, v[10:11], off
	global_load_dword v15, v[15:16], off
	;; [unrolled: 1-line block ×3, first 2 shown]
	v_ashrrev_i32_e32 v5, 31, v4
	v_cmp_le_i32_e64 s0, s3, v0
	v_lshlrev_b64 v[17:18], 3, v[4:5]
	v_lshlrev_b64 v[19:20], 2, v[4:5]
	v_add_nc_u32_e32 v4, 0xc0, v4
	s_or_b32 s13, s0, s13
	s_waitcnt vmcnt(3)
	v_sub_co_u32 v1, s1, v12, s12
	v_subrev_co_ci_u32_e64 v5, null, 0, v13, s1
	v_add_co_u32 v17, s1, s4, v17
	v_mad_u64_u32 v[10:11], null, v1, 3, s[8:9]
	v_add_co_ci_u32_e64 v18, null, s5, v18, s1
	v_add_co_u32 v19, s1, s10, v19
	v_add_co_ci_u32_e64 v20, null, s11, v20, s1
	v_mov_b32_e32 v1, v11
	v_add_co_u32 v21, s1, v10, 2
	v_mad_u64_u32 v[11:12], null, v5, 3, v[1:2]
	v_add_co_u32 v12, s2, v10, 1
	v_add_co_ci_u32_e64 v13, null, 0, v11, s2
	v_add_co_ci_u32_e64 v22, null, 0, v11, s1
	s_waitcnt vmcnt(0)
	global_store_dwordx3 v[19:20], v[14:16], off
	global_store_dwordx4 v[17:18], v[10:13], off
	global_store_dwordx2 v[17:18], v[21:22], off offset:16
	s_andn2_b32 exec_lo, exec_lo, s13
	s_cbranch_execnz .LBB132_5
.LBB132_6:
	s_endpgm
	.section	.rodata,"a",@progbits
	.p2align	6, 0x0
	.amdhsa_kernel _ZN9rocsparseL32bsr2csr_block_per_row_2_7_kernelILj256ELj3EfilEEv20rocsparse_direction_T3_S2_21rocsparse_index_base_PKT1_PKT2_PKS2_S2_S3_PS4_PS7_PS2_
		.amdhsa_group_segment_fixed_size 0
		.amdhsa_private_segment_fixed_size 0
		.amdhsa_kernarg_size 96
		.amdhsa_user_sgpr_count 6
		.amdhsa_user_sgpr_private_segment_buffer 1
		.amdhsa_user_sgpr_dispatch_ptr 0
		.amdhsa_user_sgpr_queue_ptr 0
		.amdhsa_user_sgpr_kernarg_segment_ptr 1
		.amdhsa_user_sgpr_dispatch_id 0
		.amdhsa_user_sgpr_flat_scratch_init 0
		.amdhsa_user_sgpr_private_segment_size 0
		.amdhsa_wavefront_size32 1
		.amdhsa_uses_dynamic_stack 0
		.amdhsa_system_sgpr_private_segment_wavefront_offset 0
		.amdhsa_system_sgpr_workgroup_id_x 1
		.amdhsa_system_sgpr_workgroup_id_y 0
		.amdhsa_system_sgpr_workgroup_id_z 0
		.amdhsa_system_sgpr_workgroup_info 0
		.amdhsa_system_vgpr_workitem_id 0
		.amdhsa_next_free_vgpr 23
		.amdhsa_next_free_sgpr 14
		.amdhsa_reserve_vcc 1
		.amdhsa_reserve_flat_scratch 0
		.amdhsa_float_round_mode_32 0
		.amdhsa_float_round_mode_16_64 0
		.amdhsa_float_denorm_mode_32 3
		.amdhsa_float_denorm_mode_16_64 3
		.amdhsa_dx10_clamp 1
		.amdhsa_ieee_mode 1
		.amdhsa_fp16_overflow 0
		.amdhsa_workgroup_processor_mode 1
		.amdhsa_memory_ordered 1
		.amdhsa_forward_progress 1
		.amdhsa_shared_vgpr_count 0
		.amdhsa_exception_fp_ieee_invalid_op 0
		.amdhsa_exception_fp_denorm_src 0
		.amdhsa_exception_fp_ieee_div_zero 0
		.amdhsa_exception_fp_ieee_overflow 0
		.amdhsa_exception_fp_ieee_underflow 0
		.amdhsa_exception_fp_ieee_inexact 0
		.amdhsa_exception_int_div_zero 0
	.end_amdhsa_kernel
	.section	.text._ZN9rocsparseL32bsr2csr_block_per_row_2_7_kernelILj256ELj3EfilEEv20rocsparse_direction_T3_S2_21rocsparse_index_base_PKT1_PKT2_PKS2_S2_S3_PS4_PS7_PS2_,"axG",@progbits,_ZN9rocsparseL32bsr2csr_block_per_row_2_7_kernelILj256ELj3EfilEEv20rocsparse_direction_T3_S2_21rocsparse_index_base_PKT1_PKT2_PKS2_S2_S3_PS4_PS7_PS2_,comdat
.Lfunc_end132:
	.size	_ZN9rocsparseL32bsr2csr_block_per_row_2_7_kernelILj256ELj3EfilEEv20rocsparse_direction_T3_S2_21rocsparse_index_base_PKT1_PKT2_PKS2_S2_S3_PS4_PS7_PS2_, .Lfunc_end132-_ZN9rocsparseL32bsr2csr_block_per_row_2_7_kernelILj256ELj3EfilEEv20rocsparse_direction_T3_S2_21rocsparse_index_base_PKT1_PKT2_PKS2_S2_S3_PS4_PS7_PS2_
                                        ; -- End function
	.set _ZN9rocsparseL32bsr2csr_block_per_row_2_7_kernelILj256ELj3EfilEEv20rocsparse_direction_T3_S2_21rocsparse_index_base_PKT1_PKT2_PKS2_S2_S3_PS4_PS7_PS2_.num_vgpr, 23
	.set _ZN9rocsparseL32bsr2csr_block_per_row_2_7_kernelILj256ELj3EfilEEv20rocsparse_direction_T3_S2_21rocsparse_index_base_PKT1_PKT2_PKS2_S2_S3_PS4_PS7_PS2_.num_agpr, 0
	.set _ZN9rocsparseL32bsr2csr_block_per_row_2_7_kernelILj256ELj3EfilEEv20rocsparse_direction_T3_S2_21rocsparse_index_base_PKT1_PKT2_PKS2_S2_S3_PS4_PS7_PS2_.numbered_sgpr, 14
	.set _ZN9rocsparseL32bsr2csr_block_per_row_2_7_kernelILj256ELj3EfilEEv20rocsparse_direction_T3_S2_21rocsparse_index_base_PKT1_PKT2_PKS2_S2_S3_PS4_PS7_PS2_.num_named_barrier, 0
	.set _ZN9rocsparseL32bsr2csr_block_per_row_2_7_kernelILj256ELj3EfilEEv20rocsparse_direction_T3_S2_21rocsparse_index_base_PKT1_PKT2_PKS2_S2_S3_PS4_PS7_PS2_.private_seg_size, 0
	.set _ZN9rocsparseL32bsr2csr_block_per_row_2_7_kernelILj256ELj3EfilEEv20rocsparse_direction_T3_S2_21rocsparse_index_base_PKT1_PKT2_PKS2_S2_S3_PS4_PS7_PS2_.uses_vcc, 1
	.set _ZN9rocsparseL32bsr2csr_block_per_row_2_7_kernelILj256ELj3EfilEEv20rocsparse_direction_T3_S2_21rocsparse_index_base_PKT1_PKT2_PKS2_S2_S3_PS4_PS7_PS2_.uses_flat_scratch, 0
	.set _ZN9rocsparseL32bsr2csr_block_per_row_2_7_kernelILj256ELj3EfilEEv20rocsparse_direction_T3_S2_21rocsparse_index_base_PKT1_PKT2_PKS2_S2_S3_PS4_PS7_PS2_.has_dyn_sized_stack, 0
	.set _ZN9rocsparseL32bsr2csr_block_per_row_2_7_kernelILj256ELj3EfilEEv20rocsparse_direction_T3_S2_21rocsparse_index_base_PKT1_PKT2_PKS2_S2_S3_PS4_PS7_PS2_.has_recursion, 0
	.set _ZN9rocsparseL32bsr2csr_block_per_row_2_7_kernelILj256ELj3EfilEEv20rocsparse_direction_T3_S2_21rocsparse_index_base_PKT1_PKT2_PKS2_S2_S3_PS4_PS7_PS2_.has_indirect_call, 0
	.section	.AMDGPU.csdata,"",@progbits
; Kernel info:
; codeLenInByte = 728
; TotalNumSgprs: 16
; NumVgprs: 23
; ScratchSize: 0
; MemoryBound: 0
; FloatMode: 240
; IeeeMode: 1
; LDSByteSize: 0 bytes/workgroup (compile time only)
; SGPRBlocks: 0
; VGPRBlocks: 2
; NumSGPRsForWavesPerEU: 16
; NumVGPRsForWavesPerEU: 23
; Occupancy: 16
; WaveLimiterHint : 0
; COMPUTE_PGM_RSRC2:SCRATCH_EN: 0
; COMPUTE_PGM_RSRC2:USER_SGPR: 6
; COMPUTE_PGM_RSRC2:TRAP_HANDLER: 0
; COMPUTE_PGM_RSRC2:TGID_X_EN: 1
; COMPUTE_PGM_RSRC2:TGID_Y_EN: 0
; COMPUTE_PGM_RSRC2:TGID_Z_EN: 0
; COMPUTE_PGM_RSRC2:TIDIG_COMP_CNT: 0
	.section	.text._ZN9rocsparseL32bsr2csr_block_per_row_2_7_kernelILj256ELj4EfilEEv20rocsparse_direction_T3_S2_21rocsparse_index_base_PKT1_PKT2_PKS2_S2_S3_PS4_PS7_PS2_,"axG",@progbits,_ZN9rocsparseL32bsr2csr_block_per_row_2_7_kernelILj256ELj4EfilEEv20rocsparse_direction_T3_S2_21rocsparse_index_base_PKT1_PKT2_PKS2_S2_S3_PS4_PS7_PS2_,comdat
	.globl	_ZN9rocsparseL32bsr2csr_block_per_row_2_7_kernelILj256ELj4EfilEEv20rocsparse_direction_T3_S2_21rocsparse_index_base_PKT1_PKT2_PKS2_S2_S3_PS4_PS7_PS2_ ; -- Begin function _ZN9rocsparseL32bsr2csr_block_per_row_2_7_kernelILj256ELj4EfilEEv20rocsparse_direction_T3_S2_21rocsparse_index_base_PKT1_PKT2_PKS2_S2_S3_PS4_PS7_PS2_
	.p2align	8
	.type	_ZN9rocsparseL32bsr2csr_block_per_row_2_7_kernelILj256ELj4EfilEEv20rocsparse_direction_T3_S2_21rocsparse_index_base_PKT1_PKT2_PKS2_S2_S3_PS4_PS7_PS2_,@function
_ZN9rocsparseL32bsr2csr_block_per_row_2_7_kernelILj256ELj4EfilEEv20rocsparse_direction_T3_S2_21rocsparse_index_base_PKT1_PKT2_PKS2_S2_S3_PS4_PS7_PS2_: ; @_ZN9rocsparseL32bsr2csr_block_per_row_2_7_kernelILj256ELj4EfilEEv20rocsparse_direction_T3_S2_21rocsparse_index_base_PKT1_PKT2_PKS2_S2_S3_PS4_PS7_PS2_
; %bb.0:
	s_load_dwordx2 s[0:1], s[4:5], 0x28
	s_mov_b32 s7, 0
	s_clause 0x1
	s_load_dword s10, s[4:5], 0x40
	s_load_dwordx2 s[2:3], s[4:5], 0x50
	s_lshl_b64 s[8:9], s[6:7], 2
	v_or_b32_e32 v1, s6, v0
	s_waitcnt lgkmcnt(0)
	s_add_u32 s0, s0, s8
	s_addc_u32 s1, s1, s9
	s_mov_b32 s8, exec_lo
	s_load_dwordx2 s[0:1], s[0:1], 0x0
	v_cmpx_eq_u32_e32 0, v1
	s_cbranch_execz .LBB133_2
; %bb.1:
	v_mov_b32_e32 v1, 0
	v_mov_b32_e32 v2, s10
	global_store_dword v1, v2, s[2:3]
.LBB133_2:
	s_or_b32 exec_lo, exec_lo, s8
	s_load_dword s11, s[4:5], 0x18
	v_and_b32_e32 v8, 3, v0
	v_lshrrev_b32_e32 v2, 2, v0
	s_lshl_b64 s[6:7], s[6:7], 4
	v_lshlrev_b32_e32 v4, 2, v8
	s_waitcnt lgkmcnt(0)
	s_sub_i32 s8, s0, s11
	s_sub_i32 s12, s1, s11
	s_lshl_b32 s9, s8, 4
	s_sub_i32 s1, s12, s8
	v_add_nc_u32_e32 v0, s8, v2
	s_lshl_b32 s1, s1, 2
	v_mul_lo_u32 v1, s1, v8
	s_add_i32 s1, s1, s10
	s_add_u32 s2, s2, s6
	s_addc_u32 s3, s3, s7
	v_add3_u32 v3, s1, s9, v1
	s_mov_b32 s1, exec_lo
	global_store_dword v4, v3, s[2:3] offset:4
	v_cmpx_gt_i32_e64 s12, v0
	s_cbranch_execz .LBB133_5
; %bb.3:
	s_clause 0x4
	s_load_dwordx2 s[2:3], s[4:5], 0x30
	s_load_dwordx2 s[6:7], s[4:5], 0x48
	s_load_dword s1, s[4:5], 0x0
	s_load_dwordx2 s[8:9], s[4:5], 0x20
	s_load_dwordx2 s[4:5], s[4:5], 0x58
	v_lshlrev_b32_e32 v2, 2, v2
	v_lshlrev_b32_e32 v4, 4, v8
	v_mov_b32_e32 v3, 0
	v_lshlrev_b32_e32 v6, 4, v0
	s_mov_b32 s13, 0
	s_waitcnt lgkmcnt(0)
	s_cmp_eq_u32 s1, 0
	s_cselect_b32 vcc_lo, -1, 0
	s_lshl_b32 s0, s0, 4
	s_lshl_b32 s1, s11, 4
	v_add3_u32 v1, v1, s0, v2
	v_add_co_u32 v9, s0, s8, v4
	v_add_co_ci_u32_e64 v10, null, s9, 0, s0
	v_subrev_nc_u32_e32 v4, s1, v1
.LBB133_4:                              ; =>This Inner Loop Header: Depth=1
	v_ashrrev_i32_e32 v1, 31, v0
	v_add_nc_u32_e32 v2, v8, v6
	v_mov_b32_e32 v7, v3
	v_lshlrev_b64 v[11:12], 3, v[0:1]
	v_lshlrev_b64 v[1:2], 2, v[2:3]
	;; [unrolled: 1-line block ×3, first 2 shown]
	v_add_nc_u32_e32 v0, 64, v0
	v_add_nc_u32_e32 v6, 0x400, v6
	v_add_co_u32 v11, s0, s2, v11
	v_add_co_ci_u32_e64 v12, null, s3, v12, s0
	v_add_co_u32 v5, s0, s8, v1
	v_add_co_ci_u32_e64 v7, null, s9, v2, s0
	global_load_dwordx2 v[1:2], v[11:12], off
	v_add_co_u32 v13, s0, v9, v13
	v_add_co_ci_u32_e64 v14, null, v10, v14, s0
	v_add_co_u32 v15, s0, v13, 4
	v_add_co_ci_u32_e64 v16, null, 0, v14, s0
	;; [unrolled: 2-line block ×5, first 2 shown]
	v_add_co_u32 v23, s0, v13, 12
	v_cndmask_b32_e32 v11, v5, v13, vcc_lo
	v_add_co_ci_u32_e64 v24, null, 0, v14, s0
	v_add_co_u32 v5, s0, v5, 48
	v_cndmask_b32_e32 v12, v7, v14, vcc_lo
	v_add_co_ci_u32_e64 v7, null, 0, v7, s0
	v_cndmask_b32_e32 v14, v18, v16, vcc_lo
	v_cndmask_b32_e32 v13, v17, v15, vcc_lo
	;; [unrolled: 1-line block ×6, first 2 shown]
	global_load_dword v11, v[11:12], off
	global_load_dword v12, v[13:14], off
	;; [unrolled: 1-line block ×4, first 2 shown]
	v_ashrrev_i32_e32 v5, 31, v4
	v_cmp_le_i32_e64 s0, s12, v0
	v_lshlrev_b64 v[15:16], 3, v[4:5]
	v_lshlrev_b64 v[17:18], 2, v[4:5]
	v_add_nc_u32_e32 v4, 0x100, v4
	s_or_b32 s13, s0, s13
	v_add_co_u32 v23, s1, s4, v15
	v_add_co_ci_u32_e64 v24, null, s5, v16, s1
	v_add_co_u32 v25, s1, s6, v17
	v_add_co_ci_u32_e64 v26, null, s7, v18, s1
	s_waitcnt vmcnt(4)
	v_sub_co_u32 v1, s1, v1, s11
	v_subrev_co_ci_u32_e64 v2, null, 0, v2, s1
	v_lshlrev_b64 v[1:2], 2, v[1:2]
	v_add_co_u32 v15, s1, v1, s10
	v_add_co_ci_u32_e64 v16, null, 0, v2, s1
	v_add_co_u32 v17, s1, v15, 1
	v_add_co_ci_u32_e64 v18, null, 0, v16, s1
	v_add_co_u32 v19, s1, v15, 2
	v_add_co_ci_u32_e64 v20, null, 0, v16, s1
	v_add_co_u32 v21, s1, v15, 3
	v_add_co_ci_u32_e64 v22, null, 0, v16, s1
	s_waitcnt vmcnt(0)
	global_store_dwordx4 v[25:26], v[11:14], off
	global_store_dwordx4 v[23:24], v[15:18], off
	global_store_dwordx4 v[23:24], v[19:22], off offset:16
	s_andn2_b32 exec_lo, exec_lo, s13
	s_cbranch_execnz .LBB133_4
.LBB133_5:
	s_endpgm
	.section	.rodata,"a",@progbits
	.p2align	6, 0x0
	.amdhsa_kernel _ZN9rocsparseL32bsr2csr_block_per_row_2_7_kernelILj256ELj4EfilEEv20rocsparse_direction_T3_S2_21rocsparse_index_base_PKT1_PKT2_PKS2_S2_S3_PS4_PS7_PS2_
		.amdhsa_group_segment_fixed_size 0
		.amdhsa_private_segment_fixed_size 0
		.amdhsa_kernarg_size 96
		.amdhsa_user_sgpr_count 6
		.amdhsa_user_sgpr_private_segment_buffer 1
		.amdhsa_user_sgpr_dispatch_ptr 0
		.amdhsa_user_sgpr_queue_ptr 0
		.amdhsa_user_sgpr_kernarg_segment_ptr 1
		.amdhsa_user_sgpr_dispatch_id 0
		.amdhsa_user_sgpr_flat_scratch_init 0
		.amdhsa_user_sgpr_private_segment_size 0
		.amdhsa_wavefront_size32 1
		.amdhsa_uses_dynamic_stack 0
		.amdhsa_system_sgpr_private_segment_wavefront_offset 0
		.amdhsa_system_sgpr_workgroup_id_x 1
		.amdhsa_system_sgpr_workgroup_id_y 0
		.amdhsa_system_sgpr_workgroup_id_z 0
		.amdhsa_system_sgpr_workgroup_info 0
		.amdhsa_system_vgpr_workitem_id 0
		.amdhsa_next_free_vgpr 27
		.amdhsa_next_free_sgpr 14
		.amdhsa_reserve_vcc 1
		.amdhsa_reserve_flat_scratch 0
		.amdhsa_float_round_mode_32 0
		.amdhsa_float_round_mode_16_64 0
		.amdhsa_float_denorm_mode_32 3
		.amdhsa_float_denorm_mode_16_64 3
		.amdhsa_dx10_clamp 1
		.amdhsa_ieee_mode 1
		.amdhsa_fp16_overflow 0
		.amdhsa_workgroup_processor_mode 1
		.amdhsa_memory_ordered 1
		.amdhsa_forward_progress 1
		.amdhsa_shared_vgpr_count 0
		.amdhsa_exception_fp_ieee_invalid_op 0
		.amdhsa_exception_fp_denorm_src 0
		.amdhsa_exception_fp_ieee_div_zero 0
		.amdhsa_exception_fp_ieee_overflow 0
		.amdhsa_exception_fp_ieee_underflow 0
		.amdhsa_exception_fp_ieee_inexact 0
		.amdhsa_exception_int_div_zero 0
	.end_amdhsa_kernel
	.section	.text._ZN9rocsparseL32bsr2csr_block_per_row_2_7_kernelILj256ELj4EfilEEv20rocsparse_direction_T3_S2_21rocsparse_index_base_PKT1_PKT2_PKS2_S2_S3_PS4_PS7_PS2_,"axG",@progbits,_ZN9rocsparseL32bsr2csr_block_per_row_2_7_kernelILj256ELj4EfilEEv20rocsparse_direction_T3_S2_21rocsparse_index_base_PKT1_PKT2_PKS2_S2_S3_PS4_PS7_PS2_,comdat
.Lfunc_end133:
	.size	_ZN9rocsparseL32bsr2csr_block_per_row_2_7_kernelILj256ELj4EfilEEv20rocsparse_direction_T3_S2_21rocsparse_index_base_PKT1_PKT2_PKS2_S2_S3_PS4_PS7_PS2_, .Lfunc_end133-_ZN9rocsparseL32bsr2csr_block_per_row_2_7_kernelILj256ELj4EfilEEv20rocsparse_direction_T3_S2_21rocsparse_index_base_PKT1_PKT2_PKS2_S2_S3_PS4_PS7_PS2_
                                        ; -- End function
	.set _ZN9rocsparseL32bsr2csr_block_per_row_2_7_kernelILj256ELj4EfilEEv20rocsparse_direction_T3_S2_21rocsparse_index_base_PKT1_PKT2_PKS2_S2_S3_PS4_PS7_PS2_.num_vgpr, 27
	.set _ZN9rocsparseL32bsr2csr_block_per_row_2_7_kernelILj256ELj4EfilEEv20rocsparse_direction_T3_S2_21rocsparse_index_base_PKT1_PKT2_PKS2_S2_S3_PS4_PS7_PS2_.num_agpr, 0
	.set _ZN9rocsparseL32bsr2csr_block_per_row_2_7_kernelILj256ELj4EfilEEv20rocsparse_direction_T3_S2_21rocsparse_index_base_PKT1_PKT2_PKS2_S2_S3_PS4_PS7_PS2_.numbered_sgpr, 14
	.set _ZN9rocsparseL32bsr2csr_block_per_row_2_7_kernelILj256ELj4EfilEEv20rocsparse_direction_T3_S2_21rocsparse_index_base_PKT1_PKT2_PKS2_S2_S3_PS4_PS7_PS2_.num_named_barrier, 0
	.set _ZN9rocsparseL32bsr2csr_block_per_row_2_7_kernelILj256ELj4EfilEEv20rocsparse_direction_T3_S2_21rocsparse_index_base_PKT1_PKT2_PKS2_S2_S3_PS4_PS7_PS2_.private_seg_size, 0
	.set _ZN9rocsparseL32bsr2csr_block_per_row_2_7_kernelILj256ELj4EfilEEv20rocsparse_direction_T3_S2_21rocsparse_index_base_PKT1_PKT2_PKS2_S2_S3_PS4_PS7_PS2_.uses_vcc, 1
	.set _ZN9rocsparseL32bsr2csr_block_per_row_2_7_kernelILj256ELj4EfilEEv20rocsparse_direction_T3_S2_21rocsparse_index_base_PKT1_PKT2_PKS2_S2_S3_PS4_PS7_PS2_.uses_flat_scratch, 0
	.set _ZN9rocsparseL32bsr2csr_block_per_row_2_7_kernelILj256ELj4EfilEEv20rocsparse_direction_T3_S2_21rocsparse_index_base_PKT1_PKT2_PKS2_S2_S3_PS4_PS7_PS2_.has_dyn_sized_stack, 0
	.set _ZN9rocsparseL32bsr2csr_block_per_row_2_7_kernelILj256ELj4EfilEEv20rocsparse_direction_T3_S2_21rocsparse_index_base_PKT1_PKT2_PKS2_S2_S3_PS4_PS7_PS2_.has_recursion, 0
	.set _ZN9rocsparseL32bsr2csr_block_per_row_2_7_kernelILj256ELj4EfilEEv20rocsparse_direction_T3_S2_21rocsparse_index_base_PKT1_PKT2_PKS2_S2_S3_PS4_PS7_PS2_.has_indirect_call, 0
	.section	.AMDGPU.csdata,"",@progbits
; Kernel info:
; codeLenInByte = 776
; TotalNumSgprs: 16
; NumVgprs: 27
; ScratchSize: 0
; MemoryBound: 0
; FloatMode: 240
; IeeeMode: 1
; LDSByteSize: 0 bytes/workgroup (compile time only)
; SGPRBlocks: 0
; VGPRBlocks: 3
; NumSGPRsForWavesPerEU: 16
; NumVGPRsForWavesPerEU: 27
; Occupancy: 16
; WaveLimiterHint : 0
; COMPUTE_PGM_RSRC2:SCRATCH_EN: 0
; COMPUTE_PGM_RSRC2:USER_SGPR: 6
; COMPUTE_PGM_RSRC2:TRAP_HANDLER: 0
; COMPUTE_PGM_RSRC2:TGID_X_EN: 1
; COMPUTE_PGM_RSRC2:TGID_Y_EN: 0
; COMPUTE_PGM_RSRC2:TGID_Z_EN: 0
; COMPUTE_PGM_RSRC2:TIDIG_COMP_CNT: 0
	.section	.text._ZN9rocsparseL32bsr2csr_block_per_row_2_7_kernelILj256ELj5EfilEEv20rocsparse_direction_T3_S2_21rocsparse_index_base_PKT1_PKT2_PKS2_S2_S3_PS4_PS7_PS2_,"axG",@progbits,_ZN9rocsparseL32bsr2csr_block_per_row_2_7_kernelILj256ELj5EfilEEv20rocsparse_direction_T3_S2_21rocsparse_index_base_PKT1_PKT2_PKS2_S2_S3_PS4_PS7_PS2_,comdat
	.globl	_ZN9rocsparseL32bsr2csr_block_per_row_2_7_kernelILj256ELj5EfilEEv20rocsparse_direction_T3_S2_21rocsparse_index_base_PKT1_PKT2_PKS2_S2_S3_PS4_PS7_PS2_ ; -- Begin function _ZN9rocsparseL32bsr2csr_block_per_row_2_7_kernelILj256ELj5EfilEEv20rocsparse_direction_T3_S2_21rocsparse_index_base_PKT1_PKT2_PKS2_S2_S3_PS4_PS7_PS2_
	.p2align	8
	.type	_ZN9rocsparseL32bsr2csr_block_per_row_2_7_kernelILj256ELj5EfilEEv20rocsparse_direction_T3_S2_21rocsparse_index_base_PKT1_PKT2_PKS2_S2_S3_PS4_PS7_PS2_,@function
_ZN9rocsparseL32bsr2csr_block_per_row_2_7_kernelILj256ELj5EfilEEv20rocsparse_direction_T3_S2_21rocsparse_index_base_PKT1_PKT2_PKS2_S2_S3_PS4_PS7_PS2_: ; @_ZN9rocsparseL32bsr2csr_block_per_row_2_7_kernelILj256ELj5EfilEEv20rocsparse_direction_T3_S2_21rocsparse_index_base_PKT1_PKT2_PKS2_S2_S3_PS4_PS7_PS2_
; %bb.0:
	s_clause 0x2
	s_load_dwordx2 s[2:3], s[4:5], 0x28
	s_load_dword s8, s[4:5], 0x40
	s_load_dwordx2 s[0:1], s[4:5], 0x50
	s_mov_b32 s7, 0
	v_or_b32_e32 v1, s6, v0
	s_lshl_b64 s[10:11], s[6:7], 2
	s_mov_b32 s7, exec_lo
	s_waitcnt lgkmcnt(0)
	s_add_u32 s2, s2, s10
	s_addc_u32 s3, s3, s11
	v_cmpx_eq_u32_e32 0, v1
	s_cbranch_execz .LBB134_2
; %bb.1:
	v_mov_b32_e32 v1, 0
	v_mov_b32_e32 v2, s8
	global_store_dword v1, v2, s[0:1]
.LBB134_2:
	s_or_b32 exec_lo, exec_lo, s7
	v_and_b32_e32 v1, 7, v0
	s_mov_b32 s7, exec_lo
	v_cmpx_gt_u32_e32 5, v1
	s_cbranch_execz .LBB134_6
; %bb.3:
	s_load_dwordx2 s[2:3], s[2:3], 0x0
	s_load_dword s12, s[4:5], 0x18
	v_lshrrev_b32_e32 v2, 3, v0
	s_mul_hi_u32 s9, s6, 20
	s_mul_i32 s6, s6, 20
	v_lshlrev_b32_e32 v5, 2, v1
	s_waitcnt lgkmcnt(0)
	s_sub_i32 s7, s2, s12
	s_sub_i32 s13, s3, s12
	v_add_nc_u32_e32 v0, s7, v2
	s_sub_i32 s3, s13, s7
	s_mul_i32 s10, s7, 25
	s_mul_i32 s3, s3, 5
	v_mul_lo_u32 v4, s3, v1
	s_add_i32 s3, s3, s8
	v_cmp_gt_i32_e32 vcc_lo, s13, v0
	s_add_u32 s0, s0, s6
	s_addc_u32 s1, s1, s9
	v_add3_u32 v3, s3, s10, v4
	global_store_dword v5, v3, s[0:1] offset:4
	s_and_b32 exec_lo, exec_lo, vcc_lo
	s_cbranch_execz .LBB134_6
; %bb.4:
	s_clause 0x4
	s_load_dwordx2 s[0:1], s[4:5], 0x20
	s_load_dwordx2 s[6:7], s[4:5], 0x30
	;; [unrolled: 1-line block ×3, first 2 shown]
	s_load_dword s3, s[4:5], 0x0
	s_load_dwordx2 s[4:5], s[4:5], 0x58
	v_mul_u32_u24_e32 v6, 5, v2
	s_mul_i32 s2, s2, 25
	v_lshlrev_b32_e32 v1, 4, v1
	v_mul_lo_u32 v2, v0, 25
	s_mul_i32 s9, s12, 25
	v_add3_u32 v4, v4, s2, v6
	v_mov_b32_e32 v3, 0
	v_subrev_nc_u32_e32 v4, s9, v4
	s_mov_b32 s9, 0
	s_mov_b32 s14, s9
	s_waitcnt lgkmcnt(0)
	v_add_co_u32 v6, s0, s0, v5
	v_add_co_ci_u32_e64 v7, null, s1, 0, s0
	s_cmp_eq_u32 s3, 0
	v_add_co_u32 v8, vcc_lo, v6, v1
	v_add_co_ci_u32_e64 v9, null, 0, v7, vcc_lo
	s_cselect_b32 vcc_lo, -1, 0
.LBB134_5:                              ; =>This Inner Loop Header: Depth=1
	v_ashrrev_i32_e32 v1, 31, v0
	v_lshlrev_b64 v[10:11], 2, v[2:3]
	v_add_nc_u32_e32 v2, 0x320, v2
	v_lshlrev_b64 v[12:13], 3, v[0:1]
	v_add_nc_u32_e32 v0, 32, v0
	v_add_co_u32 v1, s0, v6, v10
	v_add_co_ci_u32_e64 v5, null, v7, v11, s0
	v_add_co_u32 v16, s0, v8, v10
	v_add_co_ci_u32_e64 v17, null, v9, v11, s0
	;; [unrolled: 2-line block ×4, first 2 shown]
	global_load_dwordx2 v[14:15], v[10:11], off
	v_add_co_u32 v20, s0, v1, 20
	v_add_co_ci_u32_e64 v21, null, 0, v5, s0
	v_add_co_u32 v22, s0, v16, 8
	v_add_co_ci_u32_e64 v23, null, 0, v17, s0
	;; [unrolled: 2-line block ×5, first 2 shown]
	v_add_co_u32 v28, s0, v16, 16
	v_cndmask_b32_e32 v12, v1, v16, vcc_lo
	v_add_co_ci_u32_e64 v29, null, 0, v17, s0
	v_add_co_u32 v1, s0, 0x50, v1
	v_cndmask_b32_e32 v13, v5, v17, vcc_lo
	v_add_co_ci_u32_e64 v5, null, 0, v5, s0
	v_cndmask_b32_e32 v17, v21, v19, vcc_lo
	v_cndmask_b32_e32 v16, v20, v18, vcc_lo
	v_cndmask_b32_e32 v19, v25, v23, vcc_lo
	v_cndmask_b32_e32 v18, v24, v22, vcc_lo
	v_cndmask_b32_e32 v21, v27, v11, vcc_lo
	v_cndmask_b32_e32 v20, v26, v10, vcc_lo
	v_cndmask_b32_e32 v23, v5, v29, vcc_lo
	v_cndmask_b32_e32 v22, v1, v28, vcc_lo
	global_load_dword v10, v[12:13], off
	global_load_dword v11, v[16:17], off
	;; [unrolled: 1-line block ×5, first 2 shown]
	v_cmp_le_i32_e64 s0, s13, v0
	v_ashrrev_i32_e32 v5, 31, v4
	s_or_b32 s14, s0, s14
	v_lshlrev_b64 v[16:17], 3, v[4:5]
	v_lshlrev_b64 v[18:19], 2, v[4:5]
	v_add_nc_u32_e32 v4, 0xa0, v4
	v_add_co_u32 v22, s1, s4, v16
	v_add_co_ci_u32_e64 v23, null, s5, v17, s1
	v_add_co_u32 v24, s1, s10, v18
	v_add_co_ci_u32_e64 v25, null, s11, v19, s1
	s_waitcnt vmcnt(5)
	v_sub_co_u32 v1, s0, v14, s12
	v_subrev_co_ci_u32_e64 v5, null, 0, v15, s0
	v_mad_u64_u32 v[14:15], null, v1, 5, s[8:9]
	v_mov_b32_e32 v1, v15
	v_add_co_u32 v18, s0, v14, 2
	v_add_co_u32 v20, s1, v14, 3
	v_mad_u64_u32 v[15:16], null, v5, 5, v[1:2]
	v_add_co_u32 v16, s3, v14, 1
	v_add_co_u32 v26, s2, v14, 4
	v_add_co_ci_u32_e64 v17, null, 0, v15, s3
	v_add_co_ci_u32_e64 v19, null, 0, v15, s0
	;; [unrolled: 1-line block ×4, first 2 shown]
	s_waitcnt vmcnt(1)
	global_store_dwordx4 v[24:25], v[10:13], off
	s_waitcnt vmcnt(0)
	global_store_dword v[24:25], v28, off offset:16
	global_store_dwordx4 v[22:23], v[14:17], off
	global_store_dwordx4 v[22:23], v[18:21], off offset:16
	global_store_dwordx2 v[22:23], v[26:27], off offset:32
	s_andn2_b32 exec_lo, exec_lo, s14
	s_cbranch_execnz .LBB134_5
.LBB134_6:
	s_endpgm
	.section	.rodata,"a",@progbits
	.p2align	6, 0x0
	.amdhsa_kernel _ZN9rocsparseL32bsr2csr_block_per_row_2_7_kernelILj256ELj5EfilEEv20rocsparse_direction_T3_S2_21rocsparse_index_base_PKT1_PKT2_PKS2_S2_S3_PS4_PS7_PS2_
		.amdhsa_group_segment_fixed_size 0
		.amdhsa_private_segment_fixed_size 0
		.amdhsa_kernarg_size 96
		.amdhsa_user_sgpr_count 6
		.amdhsa_user_sgpr_private_segment_buffer 1
		.amdhsa_user_sgpr_dispatch_ptr 0
		.amdhsa_user_sgpr_queue_ptr 0
		.amdhsa_user_sgpr_kernarg_segment_ptr 1
		.amdhsa_user_sgpr_dispatch_id 0
		.amdhsa_user_sgpr_flat_scratch_init 0
		.amdhsa_user_sgpr_private_segment_size 0
		.amdhsa_wavefront_size32 1
		.amdhsa_uses_dynamic_stack 0
		.amdhsa_system_sgpr_private_segment_wavefront_offset 0
		.amdhsa_system_sgpr_workgroup_id_x 1
		.amdhsa_system_sgpr_workgroup_id_y 0
		.amdhsa_system_sgpr_workgroup_id_z 0
		.amdhsa_system_sgpr_workgroup_info 0
		.amdhsa_system_vgpr_workitem_id 0
		.amdhsa_next_free_vgpr 30
		.amdhsa_next_free_sgpr 15
		.amdhsa_reserve_vcc 1
		.amdhsa_reserve_flat_scratch 0
		.amdhsa_float_round_mode_32 0
		.amdhsa_float_round_mode_16_64 0
		.amdhsa_float_denorm_mode_32 3
		.amdhsa_float_denorm_mode_16_64 3
		.amdhsa_dx10_clamp 1
		.amdhsa_ieee_mode 1
		.amdhsa_fp16_overflow 0
		.amdhsa_workgroup_processor_mode 1
		.amdhsa_memory_ordered 1
		.amdhsa_forward_progress 1
		.amdhsa_shared_vgpr_count 0
		.amdhsa_exception_fp_ieee_invalid_op 0
		.amdhsa_exception_fp_denorm_src 0
		.amdhsa_exception_fp_ieee_div_zero 0
		.amdhsa_exception_fp_ieee_overflow 0
		.amdhsa_exception_fp_ieee_underflow 0
		.amdhsa_exception_fp_ieee_inexact 0
		.amdhsa_exception_int_div_zero 0
	.end_amdhsa_kernel
	.section	.text._ZN9rocsparseL32bsr2csr_block_per_row_2_7_kernelILj256ELj5EfilEEv20rocsparse_direction_T3_S2_21rocsparse_index_base_PKT1_PKT2_PKS2_S2_S3_PS4_PS7_PS2_,"axG",@progbits,_ZN9rocsparseL32bsr2csr_block_per_row_2_7_kernelILj256ELj5EfilEEv20rocsparse_direction_T3_S2_21rocsparse_index_base_PKT1_PKT2_PKS2_S2_S3_PS4_PS7_PS2_,comdat
.Lfunc_end134:
	.size	_ZN9rocsparseL32bsr2csr_block_per_row_2_7_kernelILj256ELj5EfilEEv20rocsparse_direction_T3_S2_21rocsparse_index_base_PKT1_PKT2_PKS2_S2_S3_PS4_PS7_PS2_, .Lfunc_end134-_ZN9rocsparseL32bsr2csr_block_per_row_2_7_kernelILj256ELj5EfilEEv20rocsparse_direction_T3_S2_21rocsparse_index_base_PKT1_PKT2_PKS2_S2_S3_PS4_PS7_PS2_
                                        ; -- End function
	.set _ZN9rocsparseL32bsr2csr_block_per_row_2_7_kernelILj256ELj5EfilEEv20rocsparse_direction_T3_S2_21rocsparse_index_base_PKT1_PKT2_PKS2_S2_S3_PS4_PS7_PS2_.num_vgpr, 30
	.set _ZN9rocsparseL32bsr2csr_block_per_row_2_7_kernelILj256ELj5EfilEEv20rocsparse_direction_T3_S2_21rocsparse_index_base_PKT1_PKT2_PKS2_S2_S3_PS4_PS7_PS2_.num_agpr, 0
	.set _ZN9rocsparseL32bsr2csr_block_per_row_2_7_kernelILj256ELj5EfilEEv20rocsparse_direction_T3_S2_21rocsparse_index_base_PKT1_PKT2_PKS2_S2_S3_PS4_PS7_PS2_.numbered_sgpr, 15
	.set _ZN9rocsparseL32bsr2csr_block_per_row_2_7_kernelILj256ELj5EfilEEv20rocsparse_direction_T3_S2_21rocsparse_index_base_PKT1_PKT2_PKS2_S2_S3_PS4_PS7_PS2_.num_named_barrier, 0
	.set _ZN9rocsparseL32bsr2csr_block_per_row_2_7_kernelILj256ELj5EfilEEv20rocsparse_direction_T3_S2_21rocsparse_index_base_PKT1_PKT2_PKS2_S2_S3_PS4_PS7_PS2_.private_seg_size, 0
	.set _ZN9rocsparseL32bsr2csr_block_per_row_2_7_kernelILj256ELj5EfilEEv20rocsparse_direction_T3_S2_21rocsparse_index_base_PKT1_PKT2_PKS2_S2_S3_PS4_PS7_PS2_.uses_vcc, 1
	.set _ZN9rocsparseL32bsr2csr_block_per_row_2_7_kernelILj256ELj5EfilEEv20rocsparse_direction_T3_S2_21rocsparse_index_base_PKT1_PKT2_PKS2_S2_S3_PS4_PS7_PS2_.uses_flat_scratch, 0
	.set _ZN9rocsparseL32bsr2csr_block_per_row_2_7_kernelILj256ELj5EfilEEv20rocsparse_direction_T3_S2_21rocsparse_index_base_PKT1_PKT2_PKS2_S2_S3_PS4_PS7_PS2_.has_dyn_sized_stack, 0
	.set _ZN9rocsparseL32bsr2csr_block_per_row_2_7_kernelILj256ELj5EfilEEv20rocsparse_direction_T3_S2_21rocsparse_index_base_PKT1_PKT2_PKS2_S2_S3_PS4_PS7_PS2_.has_recursion, 0
	.set _ZN9rocsparseL32bsr2csr_block_per_row_2_7_kernelILj256ELj5EfilEEv20rocsparse_direction_T3_S2_21rocsparse_index_base_PKT1_PKT2_PKS2_S2_S3_PS4_PS7_PS2_.has_indirect_call, 0
	.section	.AMDGPU.csdata,"",@progbits
; Kernel info:
; codeLenInByte = 880
; TotalNumSgprs: 17
; NumVgprs: 30
; ScratchSize: 0
; MemoryBound: 0
; FloatMode: 240
; IeeeMode: 1
; LDSByteSize: 0 bytes/workgroup (compile time only)
; SGPRBlocks: 0
; VGPRBlocks: 3
; NumSGPRsForWavesPerEU: 17
; NumVGPRsForWavesPerEU: 30
; Occupancy: 16
; WaveLimiterHint : 0
; COMPUTE_PGM_RSRC2:SCRATCH_EN: 0
; COMPUTE_PGM_RSRC2:USER_SGPR: 6
; COMPUTE_PGM_RSRC2:TRAP_HANDLER: 0
; COMPUTE_PGM_RSRC2:TGID_X_EN: 1
; COMPUTE_PGM_RSRC2:TGID_Y_EN: 0
; COMPUTE_PGM_RSRC2:TGID_Z_EN: 0
; COMPUTE_PGM_RSRC2:TIDIG_COMP_CNT: 0
	.section	.text._ZN9rocsparseL32bsr2csr_block_per_row_2_7_kernelILj256ELj6EfilEEv20rocsparse_direction_T3_S2_21rocsparse_index_base_PKT1_PKT2_PKS2_S2_S3_PS4_PS7_PS2_,"axG",@progbits,_ZN9rocsparseL32bsr2csr_block_per_row_2_7_kernelILj256ELj6EfilEEv20rocsparse_direction_T3_S2_21rocsparse_index_base_PKT1_PKT2_PKS2_S2_S3_PS4_PS7_PS2_,comdat
	.globl	_ZN9rocsparseL32bsr2csr_block_per_row_2_7_kernelILj256ELj6EfilEEv20rocsparse_direction_T3_S2_21rocsparse_index_base_PKT1_PKT2_PKS2_S2_S3_PS4_PS7_PS2_ ; -- Begin function _ZN9rocsparseL32bsr2csr_block_per_row_2_7_kernelILj256ELj6EfilEEv20rocsparse_direction_T3_S2_21rocsparse_index_base_PKT1_PKT2_PKS2_S2_S3_PS4_PS7_PS2_
	.p2align	8
	.type	_ZN9rocsparseL32bsr2csr_block_per_row_2_7_kernelILj256ELj6EfilEEv20rocsparse_direction_T3_S2_21rocsparse_index_base_PKT1_PKT2_PKS2_S2_S3_PS4_PS7_PS2_,@function
_ZN9rocsparseL32bsr2csr_block_per_row_2_7_kernelILj256ELj6EfilEEv20rocsparse_direction_T3_S2_21rocsparse_index_base_PKT1_PKT2_PKS2_S2_S3_PS4_PS7_PS2_: ; @_ZN9rocsparseL32bsr2csr_block_per_row_2_7_kernelILj256ELj6EfilEEv20rocsparse_direction_T3_S2_21rocsparse_index_base_PKT1_PKT2_PKS2_S2_S3_PS4_PS7_PS2_
; %bb.0:
	s_clause 0x2
	s_load_dwordx2 s[2:3], s[4:5], 0x28
	s_load_dword s8, s[4:5], 0x40
	s_load_dwordx2 s[0:1], s[4:5], 0x50
	s_mov_b32 s7, 0
	v_or_b32_e32 v1, s6, v0
	s_lshl_b64 s[10:11], s[6:7], 2
	s_mov_b32 s7, exec_lo
	s_waitcnt lgkmcnt(0)
	s_add_u32 s2, s2, s10
	s_addc_u32 s3, s3, s11
	v_cmpx_eq_u32_e32 0, v1
	s_cbranch_execz .LBB135_2
; %bb.1:
	v_mov_b32_e32 v1, 0
	v_mov_b32_e32 v2, s8
	global_store_dword v1, v2, s[0:1]
.LBB135_2:
	s_or_b32 exec_lo, exec_lo, s7
	v_and_b32_e32 v1, 7, v0
	s_mov_b32 s7, exec_lo
	v_cmpx_gt_u32_e32 6, v1
	s_cbranch_execz .LBB135_6
; %bb.3:
	s_load_dwordx2 s[2:3], s[2:3], 0x0
	s_load_dword s14, s[4:5], 0x18
	v_lshrrev_b32_e32 v2, 3, v0
	s_mul_hi_u32 s9, s6, 24
	s_mul_i32 s6, s6, 24
	v_lshlrev_b32_e32 v3, 2, v1
	s_waitcnt lgkmcnt(0)
	s_sub_i32 s7, s2, s14
	s_sub_i32 s15, s3, s14
	v_add_nc_u32_e32 v0, s7, v2
	s_sub_i32 s3, s15, s7
	s_mul_i32 s10, s7, 36
	s_mul_i32 s3, s3, 6
	v_mul_lo_u32 v4, s3, v1
	s_add_i32 s3, s3, s8
	v_cmp_gt_i32_e32 vcc_lo, s15, v0
	s_add_u32 s0, s0, s6
	s_addc_u32 s1, s1, s9
	v_add3_u32 v5, s3, s10, v4
	global_store_dword v3, v5, s[0:1] offset:4
	s_and_b32 exec_lo, exec_lo, vcc_lo
	s_cbranch_execz .LBB135_6
; %bb.4:
	s_clause 0x4
	s_load_dwordx2 s[0:1], s[4:5], 0x20
	s_load_dwordx2 s[6:7], s[4:5], 0x30
	;; [unrolled: 1-line block ×3, first 2 shown]
	s_load_dword s3, s[4:5], 0x0
	s_load_dwordx2 s[12:13], s[4:5], 0x58
	v_mul_u32_u24_e32 v6, 6, v2
	v_mov_b32_e32 v5, 0
	s_mov_b32 s9, 0
	s_mov_b32 s5, s9
	s_waitcnt lgkmcnt(0)
	v_add_co_u32 v2, s0, s0, v3
	v_add_co_ci_u32_e64 v3, null, s1, 0, s0
	s_mul_i32 s0, s2, 36
	s_cmp_eq_u32 s3, 0
	v_add3_u32 v8, v4, s0, v6
	v_mad_u64_u32 v[6:7], null, v1, 20, v[2:3]
	v_mul_lo_u32 v4, v0, 36
	s_mul_i32 s0, s14, 36
	s_cselect_b32 vcc_lo, -1, 0
	v_subrev_nc_u32_e32 v8, s0, v8
.LBB135_5:                              ; =>This Inner Loop Header: Depth=1
	v_ashrrev_i32_e32 v1, 31, v0
	v_lshlrev_b64 v[9:10], 2, v[4:5]
	v_add_nc_u32_e32 v4, 0x480, v4
	v_lshlrev_b64 v[11:12], 3, v[0:1]
	v_add_nc_u32_e32 v0, 32, v0
	v_add_co_u32 v1, s0, v2, v9
	v_add_co_ci_u32_e64 v13, null, v3, v10, s0
	v_add_co_u32 v16, s0, v6, v9
	v_add_co_ci_u32_e64 v17, null, v7, v10, s0
	;; [unrolled: 2-line block ×4, first 2 shown]
	global_load_dwordx2 v[14:15], v[9:10], off
	v_add_co_u32 v20, s0, v1, 24
	v_add_co_ci_u32_e64 v21, null, 0, v13, s0
	v_add_co_u32 v22, s0, v16, 8
	v_add_co_ci_u32_e64 v23, null, 0, v17, s0
	v_add_co_u32 v24, s0, v1, 48
	v_add_co_ci_u32_e64 v25, null, 0, v13, s0
	v_add_co_u32 v26, s0, v16, 12
	v_add_co_ci_u32_e64 v27, null, 0, v17, s0
	v_add_co_u32 v28, s0, 0x48, v1
	v_add_co_ci_u32_e64 v29, null, 0, v13, s0
	v_add_co_u32 v30, s0, v16, 16
	v_add_co_ci_u32_e64 v31, null, 0, v17, s0
	v_add_co_u32 v9, s0, 0x60, v1
	v_cndmask_b32_e32 v12, v13, v17, vcc_lo
	v_cndmask_b32_e32 v11, v1, v16, vcc_lo
	v_add_co_ci_u32_e64 v32, null, 0, v13, s0
	v_add_co_u32 v33, s0, v16, 20
	v_add_co_ci_u32_e64 v34, null, 0, v17, s0
	v_add_co_u32 v1, s0, 0x78, v1
	v_add_co_ci_u32_e64 v13, null, 0, v13, s0
	global_load_dword v10, v[11:12], off
	v_cndmask_b32_e32 v12, v21, v19, vcc_lo
	v_cndmask_b32_e32 v11, v20, v18, vcc_lo
	;; [unrolled: 1-line block ×10, first 2 shown]
	global_load_dword v11, v[11:12], off
	global_load_dword v12, v[16:17], off
	;; [unrolled: 1-line block ×5, first 2 shown]
	v_cmp_le_i32_e64 s0, s15, v0
	v_ashrrev_i32_e32 v9, 31, v8
	s_or_b32 s5, s0, s5
	v_lshlrev_b64 v[16:17], 3, v[8:9]
	v_lshlrev_b64 v[18:19], 2, v[8:9]
	v_add_nc_u32_e32 v8, 0xc0, v8
	v_add_co_u32 v28, s1, s12, v16
	v_add_co_ci_u32_e64 v29, null, s13, v17, s1
	v_add_co_u32 v30, s1, s10, v18
	v_add_co_ci_u32_e64 v31, null, s11, v19, s1
	s_waitcnt vmcnt(6)
	v_sub_co_u32 v1, s0, v14, s14
	v_subrev_co_ci_u32_e64 v9, null, 0, v15, s0
	v_mad_u64_u32 v[14:15], null, v1, 6, s[8:9]
	v_mov_b32_e32 v1, v15
	v_add_co_u32 v18, s0, v14, 2
	v_add_co_u32 v20, s1, v14, 3
	v_mad_u64_u32 v[15:16], null, v9, 6, v[1:2]
	v_add_co_u32 v16, s4, v14, 1
	v_add_co_u32 v22, s2, v14, 4
	;; [unrolled: 1-line block ×3, first 2 shown]
	v_add_co_ci_u32_e64 v17, null, 0, v15, s4
	v_add_co_ci_u32_e64 v19, null, 0, v15, s0
	;; [unrolled: 1-line block ×5, first 2 shown]
	s_waitcnt vmcnt(2)
	global_store_dwordx4 v[30:31], v[10:13], off
	s_waitcnt vmcnt(0)
	global_store_dwordx2 v[30:31], v[26:27], off offset:16
	global_store_dwordx4 v[28:29], v[14:17], off
	global_store_dwordx4 v[28:29], v[18:21], off offset:16
	global_store_dwordx4 v[28:29], v[22:25], off offset:32
	s_andn2_b32 exec_lo, exec_lo, s5
	s_cbranch_execnz .LBB135_5
.LBB135_6:
	s_endpgm
	.section	.rodata,"a",@progbits
	.p2align	6, 0x0
	.amdhsa_kernel _ZN9rocsparseL32bsr2csr_block_per_row_2_7_kernelILj256ELj6EfilEEv20rocsparse_direction_T3_S2_21rocsparse_index_base_PKT1_PKT2_PKS2_S2_S3_PS4_PS7_PS2_
		.amdhsa_group_segment_fixed_size 0
		.amdhsa_private_segment_fixed_size 0
		.amdhsa_kernarg_size 96
		.amdhsa_user_sgpr_count 6
		.amdhsa_user_sgpr_private_segment_buffer 1
		.amdhsa_user_sgpr_dispatch_ptr 0
		.amdhsa_user_sgpr_queue_ptr 0
		.amdhsa_user_sgpr_kernarg_segment_ptr 1
		.amdhsa_user_sgpr_dispatch_id 0
		.amdhsa_user_sgpr_flat_scratch_init 0
		.amdhsa_user_sgpr_private_segment_size 0
		.amdhsa_wavefront_size32 1
		.amdhsa_uses_dynamic_stack 0
		.amdhsa_system_sgpr_private_segment_wavefront_offset 0
		.amdhsa_system_sgpr_workgroup_id_x 1
		.amdhsa_system_sgpr_workgroup_id_y 0
		.amdhsa_system_sgpr_workgroup_id_z 0
		.amdhsa_system_sgpr_workgroup_info 0
		.amdhsa_system_vgpr_workitem_id 0
		.amdhsa_next_free_vgpr 35
		.amdhsa_next_free_sgpr 16
		.amdhsa_reserve_vcc 1
		.amdhsa_reserve_flat_scratch 0
		.amdhsa_float_round_mode_32 0
		.amdhsa_float_round_mode_16_64 0
		.amdhsa_float_denorm_mode_32 3
		.amdhsa_float_denorm_mode_16_64 3
		.amdhsa_dx10_clamp 1
		.amdhsa_ieee_mode 1
		.amdhsa_fp16_overflow 0
		.amdhsa_workgroup_processor_mode 1
		.amdhsa_memory_ordered 1
		.amdhsa_forward_progress 1
		.amdhsa_shared_vgpr_count 0
		.amdhsa_exception_fp_ieee_invalid_op 0
		.amdhsa_exception_fp_denorm_src 0
		.amdhsa_exception_fp_ieee_div_zero 0
		.amdhsa_exception_fp_ieee_overflow 0
		.amdhsa_exception_fp_ieee_underflow 0
		.amdhsa_exception_fp_ieee_inexact 0
		.amdhsa_exception_int_div_zero 0
	.end_amdhsa_kernel
	.section	.text._ZN9rocsparseL32bsr2csr_block_per_row_2_7_kernelILj256ELj6EfilEEv20rocsparse_direction_T3_S2_21rocsparse_index_base_PKT1_PKT2_PKS2_S2_S3_PS4_PS7_PS2_,"axG",@progbits,_ZN9rocsparseL32bsr2csr_block_per_row_2_7_kernelILj256ELj6EfilEEv20rocsparse_direction_T3_S2_21rocsparse_index_base_PKT1_PKT2_PKS2_S2_S3_PS4_PS7_PS2_,comdat
.Lfunc_end135:
	.size	_ZN9rocsparseL32bsr2csr_block_per_row_2_7_kernelILj256ELj6EfilEEv20rocsparse_direction_T3_S2_21rocsparse_index_base_PKT1_PKT2_PKS2_S2_S3_PS4_PS7_PS2_, .Lfunc_end135-_ZN9rocsparseL32bsr2csr_block_per_row_2_7_kernelILj256ELj6EfilEEv20rocsparse_direction_T3_S2_21rocsparse_index_base_PKT1_PKT2_PKS2_S2_S3_PS4_PS7_PS2_
                                        ; -- End function
	.set _ZN9rocsparseL32bsr2csr_block_per_row_2_7_kernelILj256ELj6EfilEEv20rocsparse_direction_T3_S2_21rocsparse_index_base_PKT1_PKT2_PKS2_S2_S3_PS4_PS7_PS2_.num_vgpr, 35
	.set _ZN9rocsparseL32bsr2csr_block_per_row_2_7_kernelILj256ELj6EfilEEv20rocsparse_direction_T3_S2_21rocsparse_index_base_PKT1_PKT2_PKS2_S2_S3_PS4_PS7_PS2_.num_agpr, 0
	.set _ZN9rocsparseL32bsr2csr_block_per_row_2_7_kernelILj256ELj6EfilEEv20rocsparse_direction_T3_S2_21rocsparse_index_base_PKT1_PKT2_PKS2_S2_S3_PS4_PS7_PS2_.numbered_sgpr, 16
	.set _ZN9rocsparseL32bsr2csr_block_per_row_2_7_kernelILj256ELj6EfilEEv20rocsparse_direction_T3_S2_21rocsparse_index_base_PKT1_PKT2_PKS2_S2_S3_PS4_PS7_PS2_.num_named_barrier, 0
	.set _ZN9rocsparseL32bsr2csr_block_per_row_2_7_kernelILj256ELj6EfilEEv20rocsparse_direction_T3_S2_21rocsparse_index_base_PKT1_PKT2_PKS2_S2_S3_PS4_PS7_PS2_.private_seg_size, 0
	.set _ZN9rocsparseL32bsr2csr_block_per_row_2_7_kernelILj256ELj6EfilEEv20rocsparse_direction_T3_S2_21rocsparse_index_base_PKT1_PKT2_PKS2_S2_S3_PS4_PS7_PS2_.uses_vcc, 1
	.set _ZN9rocsparseL32bsr2csr_block_per_row_2_7_kernelILj256ELj6EfilEEv20rocsparse_direction_T3_S2_21rocsparse_index_base_PKT1_PKT2_PKS2_S2_S3_PS4_PS7_PS2_.uses_flat_scratch, 0
	.set _ZN9rocsparseL32bsr2csr_block_per_row_2_7_kernelILj256ELj6EfilEEv20rocsparse_direction_T3_S2_21rocsparse_index_base_PKT1_PKT2_PKS2_S2_S3_PS4_PS7_PS2_.has_dyn_sized_stack, 0
	.set _ZN9rocsparseL32bsr2csr_block_per_row_2_7_kernelILj256ELj6EfilEEv20rocsparse_direction_T3_S2_21rocsparse_index_base_PKT1_PKT2_PKS2_S2_S3_PS4_PS7_PS2_.has_recursion, 0
	.set _ZN9rocsparseL32bsr2csr_block_per_row_2_7_kernelILj256ELj6EfilEEv20rocsparse_direction_T3_S2_21rocsparse_index_base_PKT1_PKT2_PKS2_S2_S3_PS4_PS7_PS2_.has_indirect_call, 0
	.section	.AMDGPU.csdata,"",@progbits
; Kernel info:
; codeLenInByte = 940
; TotalNumSgprs: 18
; NumVgprs: 35
; ScratchSize: 0
; MemoryBound: 0
; FloatMode: 240
; IeeeMode: 1
; LDSByteSize: 0 bytes/workgroup (compile time only)
; SGPRBlocks: 0
; VGPRBlocks: 4
; NumSGPRsForWavesPerEU: 18
; NumVGPRsForWavesPerEU: 35
; Occupancy: 16
; WaveLimiterHint : 0
; COMPUTE_PGM_RSRC2:SCRATCH_EN: 0
; COMPUTE_PGM_RSRC2:USER_SGPR: 6
; COMPUTE_PGM_RSRC2:TRAP_HANDLER: 0
; COMPUTE_PGM_RSRC2:TGID_X_EN: 1
; COMPUTE_PGM_RSRC2:TGID_Y_EN: 0
; COMPUTE_PGM_RSRC2:TGID_Z_EN: 0
; COMPUTE_PGM_RSRC2:TIDIG_COMP_CNT: 0
	.section	.text._ZN9rocsparseL32bsr2csr_block_per_row_2_7_kernelILj256ELj7EfilEEv20rocsparse_direction_T3_S2_21rocsparse_index_base_PKT1_PKT2_PKS2_S2_S3_PS4_PS7_PS2_,"axG",@progbits,_ZN9rocsparseL32bsr2csr_block_per_row_2_7_kernelILj256ELj7EfilEEv20rocsparse_direction_T3_S2_21rocsparse_index_base_PKT1_PKT2_PKS2_S2_S3_PS4_PS7_PS2_,comdat
	.globl	_ZN9rocsparseL32bsr2csr_block_per_row_2_7_kernelILj256ELj7EfilEEv20rocsparse_direction_T3_S2_21rocsparse_index_base_PKT1_PKT2_PKS2_S2_S3_PS4_PS7_PS2_ ; -- Begin function _ZN9rocsparseL32bsr2csr_block_per_row_2_7_kernelILj256ELj7EfilEEv20rocsparse_direction_T3_S2_21rocsparse_index_base_PKT1_PKT2_PKS2_S2_S3_PS4_PS7_PS2_
	.p2align	8
	.type	_ZN9rocsparseL32bsr2csr_block_per_row_2_7_kernelILj256ELj7EfilEEv20rocsparse_direction_T3_S2_21rocsparse_index_base_PKT1_PKT2_PKS2_S2_S3_PS4_PS7_PS2_,@function
_ZN9rocsparseL32bsr2csr_block_per_row_2_7_kernelILj256ELj7EfilEEv20rocsparse_direction_T3_S2_21rocsparse_index_base_PKT1_PKT2_PKS2_S2_S3_PS4_PS7_PS2_: ; @_ZN9rocsparseL32bsr2csr_block_per_row_2_7_kernelILj256ELj7EfilEEv20rocsparse_direction_T3_S2_21rocsparse_index_base_PKT1_PKT2_PKS2_S2_S3_PS4_PS7_PS2_
; %bb.0:
	s_clause 0x2
	s_load_dwordx2 s[2:3], s[4:5], 0x28
	s_load_dword s8, s[4:5], 0x40
	s_load_dwordx2 s[0:1], s[4:5], 0x50
	s_mov_b32 s7, 0
	v_or_b32_e32 v1, s6, v0
	s_lshl_b64 s[10:11], s[6:7], 2
	s_mov_b32 s7, exec_lo
	s_waitcnt lgkmcnt(0)
	s_add_u32 s2, s2, s10
	s_addc_u32 s3, s3, s11
	v_cmpx_eq_u32_e32 0, v1
	s_cbranch_execz .LBB136_2
; %bb.1:
	v_mov_b32_e32 v1, 0
	v_mov_b32_e32 v2, s8
	global_store_dword v1, v2, s[0:1]
.LBB136_2:
	s_or_b32 exec_lo, exec_lo, s7
	v_and_b32_e32 v1, 7, v0
	s_mov_b32 s7, exec_lo
	v_cmpx_ne_u32_e32 7, v1
	s_cbranch_execz .LBB136_6
; %bb.3:
	s_load_dwordx2 s[2:3], s[2:3], 0x0
	s_load_dword s14, s[4:5], 0x18
	v_lshrrev_b32_e32 v2, 3, v0
	s_mul_hi_u32 s9, s6, 28
	s_mul_i32 s6, s6, 28
	v_lshlrev_b32_e32 v3, 2, v1
	s_waitcnt lgkmcnt(0)
	s_sub_i32 s7, s2, s14
	s_sub_i32 s15, s3, s14
	v_add_nc_u32_e32 v0, s7, v2
	s_sub_i32 s3, s15, s7
	s_mul_i32 s10, s7, 49
	s_mul_i32 s3, s3, 7
	v_mul_lo_u32 v4, s3, v1
	s_add_i32 s3, s3, s8
	v_cmp_gt_i32_e32 vcc_lo, s15, v0
	s_add_u32 s0, s0, s6
	s_addc_u32 s1, s1, s9
	v_add3_u32 v5, s3, s10, v4
	global_store_dword v3, v5, s[0:1] offset:4
	s_and_b32 exec_lo, exec_lo, vcc_lo
	s_cbranch_execz .LBB136_6
; %bb.4:
	s_clause 0x4
	s_load_dwordx2 s[0:1], s[4:5], 0x20
	s_load_dwordx2 s[6:7], s[4:5], 0x30
	;; [unrolled: 1-line block ×3, first 2 shown]
	s_load_dword s3, s[4:5], 0x0
	s_load_dwordx2 s[12:13], s[4:5], 0x58
	v_mul_u32_u24_e32 v6, 7, v2
	v_mov_b32_e32 v5, 0
	s_mov_b32 s9, 0
	s_mov_b32 s16, s9
	s_waitcnt lgkmcnt(0)
	v_add_co_u32 v2, s0, s0, v3
	v_add_co_ci_u32_e64 v3, null, s1, 0, s0
	s_mul_i32 s0, s2, 49
	s_cmp_eq_u32 s3, 0
	v_add3_u32 v8, v4, s0, v6
	v_mad_u64_u32 v[6:7], null, v1, 24, v[2:3]
	v_mul_lo_u32 v4, v0, 49
	s_mul_i32 s0, s14, 49
	s_cselect_b32 vcc_lo, -1, 0
	v_subrev_nc_u32_e32 v8, s0, v8
.LBB136_5:                              ; =>This Inner Loop Header: Depth=1
	v_ashrrev_i32_e32 v1, 31, v0
	v_lshlrev_b64 v[9:10], 2, v[4:5]
	v_add_nc_u32_e32 v4, 0x620, v4
	v_lshlrev_b64 v[11:12], 3, v[0:1]
	v_add_nc_u32_e32 v0, 32, v0
	v_add_co_u32 v1, s0, v2, v9
	v_add_co_ci_u32_e64 v13, null, v3, v10, s0
	v_add_co_u32 v14, s0, v6, v9
	v_add_co_ci_u32_e64 v15, null, v7, v10, s0
	;; [unrolled: 2-line block ×11, first 2 shown]
	v_add_co_u32 v32, s0, v14, 20
	v_cndmask_b32_e32 v12, v13, v15, vcc_lo
	v_cndmask_b32_e32 v11, v1, v14, vcc_lo
	v_add_co_ci_u32_e64 v33, null, 0, v15, s0
	v_add_co_u32 v34, s0, 0x8c, v1
	v_add_co_ci_u32_e64 v35, null, 0, v13, s0
	v_add_co_u32 v36, s0, v14, 24
	v_add_co_ci_u32_e64 v37, null, 0, v15, s0
	global_load_dwordx2 v[14:15], v[9:10], off
	global_load_dword v10, v[11:12], off
	v_add_co_u32 v1, s0, 0xa8, v1
	v_add_co_ci_u32_e64 v13, null, 0, v13, s0
	v_cndmask_b32_e32 v12, v19, v17, vcc_lo
	v_cndmask_b32_e32 v11, v18, v16, vcc_lo
	;; [unrolled: 1-line block ×12, first 2 shown]
	global_load_dword v11, v[11:12], off
	global_load_dword v12, v[16:17], off
	;; [unrolled: 1-line block ×6, first 2 shown]
	v_cmp_le_i32_e64 s0, s15, v0
	v_ashrrev_i32_e32 v9, 31, v8
	s_or_b32 s16, s0, s16
	v_lshlrev_b64 v[16:17], 3, v[8:9]
	v_lshlrev_b64 v[18:19], 2, v[8:9]
	v_add_nc_u32_e32 v8, 0xe0, v8
	v_add_co_u32 v25, s1, s12, v16
	v_add_co_ci_u32_e64 v26, null, s13, v17, s1
	v_add_co_u32 v27, s1, s10, v18
	v_add_co_ci_u32_e64 v28, null, s11, v19, s1
	s_waitcnt vmcnt(7)
	v_sub_co_u32 v1, s0, v14, s14
	v_subrev_co_ci_u32_e64 v9, null, 0, v15, s0
	v_mad_u64_u32 v[14:15], null, v1, 7, s[8:9]
	v_mov_b32_e32 v1, v15
	v_add_co_u32 v18, s2, v14, 4
	s_waitcnt vmcnt(3)
	global_store_dwordx4 v[27:28], v[10:13], off
	v_add_co_u32 v11, s1, v14, 3
	v_mad_u64_u32 v[15:16], null, v9, 7, v[1:2]
	v_add_co_u32 v16, s5, v14, 1
	v_add_co_u32 v9, s0, v14, 2
	v_add_co_u32 v20, s3, v14, 5
	v_add_co_ci_u32_e64 v17, null, 0, v15, s5
	v_add_co_u32 v29, s4, v14, 6
	v_add_co_ci_u32_e64 v10, null, 0, v15, s0
	v_add_co_ci_u32_e64 v12, null, 0, v15, s1
	;; [unrolled: 1-line block ×5, first 2 shown]
	s_waitcnt vmcnt(0)
	global_store_dwordx3 v[27:28], v[22:24], off offset:16
	global_store_dwordx4 v[25:26], v[14:17], off
	global_store_dwordx4 v[25:26], v[9:12], off offset:16
	global_store_dwordx4 v[25:26], v[18:21], off offset:32
	global_store_dwordx2 v[25:26], v[29:30], off offset:48
	s_andn2_b32 exec_lo, exec_lo, s16
	s_cbranch_execnz .LBB136_5
.LBB136_6:
	s_endpgm
	.section	.rodata,"a",@progbits
	.p2align	6, 0x0
	.amdhsa_kernel _ZN9rocsparseL32bsr2csr_block_per_row_2_7_kernelILj256ELj7EfilEEv20rocsparse_direction_T3_S2_21rocsparse_index_base_PKT1_PKT2_PKS2_S2_S3_PS4_PS7_PS2_
		.amdhsa_group_segment_fixed_size 0
		.amdhsa_private_segment_fixed_size 0
		.amdhsa_kernarg_size 96
		.amdhsa_user_sgpr_count 6
		.amdhsa_user_sgpr_private_segment_buffer 1
		.amdhsa_user_sgpr_dispatch_ptr 0
		.amdhsa_user_sgpr_queue_ptr 0
		.amdhsa_user_sgpr_kernarg_segment_ptr 1
		.amdhsa_user_sgpr_dispatch_id 0
		.amdhsa_user_sgpr_flat_scratch_init 0
		.amdhsa_user_sgpr_private_segment_size 0
		.amdhsa_wavefront_size32 1
		.amdhsa_uses_dynamic_stack 0
		.amdhsa_system_sgpr_private_segment_wavefront_offset 0
		.amdhsa_system_sgpr_workgroup_id_x 1
		.amdhsa_system_sgpr_workgroup_id_y 0
		.amdhsa_system_sgpr_workgroup_id_z 0
		.amdhsa_system_sgpr_workgroup_info 0
		.amdhsa_system_vgpr_workitem_id 0
		.amdhsa_next_free_vgpr 38
		.amdhsa_next_free_sgpr 17
		.amdhsa_reserve_vcc 1
		.amdhsa_reserve_flat_scratch 0
		.amdhsa_float_round_mode_32 0
		.amdhsa_float_round_mode_16_64 0
		.amdhsa_float_denorm_mode_32 3
		.amdhsa_float_denorm_mode_16_64 3
		.amdhsa_dx10_clamp 1
		.amdhsa_ieee_mode 1
		.amdhsa_fp16_overflow 0
		.amdhsa_workgroup_processor_mode 1
		.amdhsa_memory_ordered 1
		.amdhsa_forward_progress 1
		.amdhsa_shared_vgpr_count 0
		.amdhsa_exception_fp_ieee_invalid_op 0
		.amdhsa_exception_fp_denorm_src 0
		.amdhsa_exception_fp_ieee_div_zero 0
		.amdhsa_exception_fp_ieee_overflow 0
		.amdhsa_exception_fp_ieee_underflow 0
		.amdhsa_exception_fp_ieee_inexact 0
		.amdhsa_exception_int_div_zero 0
	.end_amdhsa_kernel
	.section	.text._ZN9rocsparseL32bsr2csr_block_per_row_2_7_kernelILj256ELj7EfilEEv20rocsparse_direction_T3_S2_21rocsparse_index_base_PKT1_PKT2_PKS2_S2_S3_PS4_PS7_PS2_,"axG",@progbits,_ZN9rocsparseL32bsr2csr_block_per_row_2_7_kernelILj256ELj7EfilEEv20rocsparse_direction_T3_S2_21rocsparse_index_base_PKT1_PKT2_PKS2_S2_S3_PS4_PS7_PS2_,comdat
.Lfunc_end136:
	.size	_ZN9rocsparseL32bsr2csr_block_per_row_2_7_kernelILj256ELj7EfilEEv20rocsparse_direction_T3_S2_21rocsparse_index_base_PKT1_PKT2_PKS2_S2_S3_PS4_PS7_PS2_, .Lfunc_end136-_ZN9rocsparseL32bsr2csr_block_per_row_2_7_kernelILj256ELj7EfilEEv20rocsparse_direction_T3_S2_21rocsparse_index_base_PKT1_PKT2_PKS2_S2_S3_PS4_PS7_PS2_
                                        ; -- End function
	.set _ZN9rocsparseL32bsr2csr_block_per_row_2_7_kernelILj256ELj7EfilEEv20rocsparse_direction_T3_S2_21rocsparse_index_base_PKT1_PKT2_PKS2_S2_S3_PS4_PS7_PS2_.num_vgpr, 38
	.set _ZN9rocsparseL32bsr2csr_block_per_row_2_7_kernelILj256ELj7EfilEEv20rocsparse_direction_T3_S2_21rocsparse_index_base_PKT1_PKT2_PKS2_S2_S3_PS4_PS7_PS2_.num_agpr, 0
	.set _ZN9rocsparseL32bsr2csr_block_per_row_2_7_kernelILj256ELj7EfilEEv20rocsparse_direction_T3_S2_21rocsparse_index_base_PKT1_PKT2_PKS2_S2_S3_PS4_PS7_PS2_.numbered_sgpr, 17
	.set _ZN9rocsparseL32bsr2csr_block_per_row_2_7_kernelILj256ELj7EfilEEv20rocsparse_direction_T3_S2_21rocsparse_index_base_PKT1_PKT2_PKS2_S2_S3_PS4_PS7_PS2_.num_named_barrier, 0
	.set _ZN9rocsparseL32bsr2csr_block_per_row_2_7_kernelILj256ELj7EfilEEv20rocsparse_direction_T3_S2_21rocsparse_index_base_PKT1_PKT2_PKS2_S2_S3_PS4_PS7_PS2_.private_seg_size, 0
	.set _ZN9rocsparseL32bsr2csr_block_per_row_2_7_kernelILj256ELj7EfilEEv20rocsparse_direction_T3_S2_21rocsparse_index_base_PKT1_PKT2_PKS2_S2_S3_PS4_PS7_PS2_.uses_vcc, 1
	.set _ZN9rocsparseL32bsr2csr_block_per_row_2_7_kernelILj256ELj7EfilEEv20rocsparse_direction_T3_S2_21rocsparse_index_base_PKT1_PKT2_PKS2_S2_S3_PS4_PS7_PS2_.uses_flat_scratch, 0
	.set _ZN9rocsparseL32bsr2csr_block_per_row_2_7_kernelILj256ELj7EfilEEv20rocsparse_direction_T3_S2_21rocsparse_index_base_PKT1_PKT2_PKS2_S2_S3_PS4_PS7_PS2_.has_dyn_sized_stack, 0
	.set _ZN9rocsparseL32bsr2csr_block_per_row_2_7_kernelILj256ELj7EfilEEv20rocsparse_direction_T3_S2_21rocsparse_index_base_PKT1_PKT2_PKS2_S2_S3_PS4_PS7_PS2_.has_recursion, 0
	.set _ZN9rocsparseL32bsr2csr_block_per_row_2_7_kernelILj256ELj7EfilEEv20rocsparse_direction_T3_S2_21rocsparse_index_base_PKT1_PKT2_PKS2_S2_S3_PS4_PS7_PS2_.has_indirect_call, 0
	.section	.AMDGPU.csdata,"",@progbits
; Kernel info:
; codeLenInByte = 1016
; TotalNumSgprs: 19
; NumVgprs: 38
; ScratchSize: 0
; MemoryBound: 0
; FloatMode: 240
; IeeeMode: 1
; LDSByteSize: 0 bytes/workgroup (compile time only)
; SGPRBlocks: 0
; VGPRBlocks: 4
; NumSGPRsForWavesPerEU: 19
; NumVGPRsForWavesPerEU: 38
; Occupancy: 16
; WaveLimiterHint : 0
; COMPUTE_PGM_RSRC2:SCRATCH_EN: 0
; COMPUTE_PGM_RSRC2:USER_SGPR: 6
; COMPUTE_PGM_RSRC2:TRAP_HANDLER: 0
; COMPUTE_PGM_RSRC2:TGID_X_EN: 1
; COMPUTE_PGM_RSRC2:TGID_Y_EN: 0
; COMPUTE_PGM_RSRC2:TGID_Z_EN: 0
; COMPUTE_PGM_RSRC2:TIDIG_COMP_CNT: 0
	.section	.text._ZN9rocsparseL33bsr2csr_block_per_row_8_32_kernelILj1024ELj8EfilEEv20rocsparse_direction_T3_S2_21rocsparse_index_base_PKT1_PKT2_PKS2_S2_S3_PS4_PS7_PS2_,"axG",@progbits,_ZN9rocsparseL33bsr2csr_block_per_row_8_32_kernelILj1024ELj8EfilEEv20rocsparse_direction_T3_S2_21rocsparse_index_base_PKT1_PKT2_PKS2_S2_S3_PS4_PS7_PS2_,comdat
	.globl	_ZN9rocsparseL33bsr2csr_block_per_row_8_32_kernelILj1024ELj8EfilEEv20rocsparse_direction_T3_S2_21rocsparse_index_base_PKT1_PKT2_PKS2_S2_S3_PS4_PS7_PS2_ ; -- Begin function _ZN9rocsparseL33bsr2csr_block_per_row_8_32_kernelILj1024ELj8EfilEEv20rocsparse_direction_T3_S2_21rocsparse_index_base_PKT1_PKT2_PKS2_S2_S3_PS4_PS7_PS2_
	.p2align	8
	.type	_ZN9rocsparseL33bsr2csr_block_per_row_8_32_kernelILj1024ELj8EfilEEv20rocsparse_direction_T3_S2_21rocsparse_index_base_PKT1_PKT2_PKS2_S2_S3_PS4_PS7_PS2_,@function
_ZN9rocsparseL33bsr2csr_block_per_row_8_32_kernelILj1024ELj8EfilEEv20rocsparse_direction_T3_S2_21rocsparse_index_base_PKT1_PKT2_PKS2_S2_S3_PS4_PS7_PS2_: ; @_ZN9rocsparseL33bsr2csr_block_per_row_8_32_kernelILj1024ELj8EfilEEv20rocsparse_direction_T3_S2_21rocsparse_index_base_PKT1_PKT2_PKS2_S2_S3_PS4_PS7_PS2_
; %bb.0:
	s_clause 0x2
	s_load_dwordx2 s[2:3], s[4:5], 0x28
	s_load_dword s1, s[4:5], 0x40
	s_load_dwordx2 s[8:9], s[4:5], 0x50
	s_mov_b32 s7, 0
	v_or_b32_e32 v1, s6, v0
	s_lshl_b64 s[10:11], s[6:7], 2
	s_mov_b32 s0, exec_lo
	s_waitcnt lgkmcnt(0)
	s_add_u32 s10, s2, s10
	s_addc_u32 s11, s3, s11
	v_cmpx_eq_u32_e32 0, v1
	s_cbranch_execz .LBB137_2
; %bb.1:
	v_mov_b32_e32 v1, 0
	v_mov_b32_e32 v2, s1
	global_store_dword v1, v2, s[8:9]
.LBB137_2:
	s_or_b32 exec_lo, exec_lo, s0
	s_load_dwordx2 s[2:3], s[4:5], 0x38
	v_mov_b32_e32 v2, 0
	v_bfe_u32 v3, v0, 3, 3
	v_and_b32_e32 v1, 7, v0
	v_mov_b32_e32 v4, v2
	s_waitcnt lgkmcnt(0)
	v_cmp_gt_i64_e32 vcc_lo, s[2:3], v[3:4]
	v_cmp_gt_i64_e64 s0, s[2:3], v[1:2]
	s_and_b32 s0, vcc_lo, s0
	s_and_saveexec_b32 s7, s0
	s_cbranch_execz .LBB137_6
; %bb.3:
	s_load_dwordx2 s[10:11], s[10:11], 0x0
	s_load_dword s12, s[4:5], 0x18
	v_lshrrev_b32_e32 v2, 6, v0
	s_mul_i32 s14, s2, s2
	s_mul_i32 s7, s3, s6
	s_waitcnt lgkmcnt(0)
	s_sub_i32 s0, s10, s12
	s_sub_i32 s13, s11, s12
	v_add_nc_u32_e32 v0, s0, v2
	s_sub_i32 s15, s13, s0
	s_mul_hi_u32 s11, s2, s6
	s_mul_i32 s10, s2, s15
	s_mul_i32 s6, s2, s6
	v_mul_lo_u32 v4, s10, v3
	s_add_i32 s7, s11, s7
	s_mul_i32 s11, s14, s0
	s_add_i32 s10, s1, s10
	s_lshl_b64 s[6:7], s[6:7], 2
	v_cmp_gt_i32_e32 vcc_lo, s13, v0
	s_add_u32 s6, s8, s6
	s_addc_u32 s7, s9, s7
	v_add3_u32 v5, s10, s11, v4
	v_lshlrev_b32_e32 v4, 2, v3
	global_store_dword v4, v5, s[6:7] offset:4
	s_and_b32 exec_lo, exec_lo, vcc_lo
	s_cbranch_execz .LBB137_6
; %bb.4:
	v_mad_u64_u32 v[5:6], null, s2, v1, 0
	v_mad_u64_u32 v[7:8], null, s2, v3, 0
	s_clause 0x4
	s_load_dwordx2 s[16:17], s[4:5], 0x20
	s_load_dwordx2 s[6:7], s[4:5], 0x58
	;; [unrolled: 1-line block ×4, first 2 shown]
	s_load_dword s5, s[4:5], 0x0
	s_mul_i32 s0, s2, s0
	s_mul_i32 s18, s2, s3
	s_mul_hi_u32 s19, s2, s2
	v_mad_u64_u32 v[9:10], null, s3, v1, v[6:7]
	v_mov_b32_e32 v6, v8
	s_add_i32 s4, s19, s18
	s_add_i32 s4, s4, s18
	v_mad_u64_u32 v[10:11], null, s3, v3, v[6:7]
	v_mov_b32_e32 v6, v9
	v_mul_lo_u32 v3, s15, v3
	v_lshlrev_b32_e32 v9, 2, v1
	v_lshlrev_b64 v[5:6], 2, v[5:6]
	v_mov_b32_e32 v8, v10
	s_waitcnt lgkmcnt(0)
	s_cmp_eq_u32 s5, 0
	s_mov_b32 s5, 0
	v_add3_u32 v2, v2, s0, v3
	v_lshlrev_b64 v[7:8], 2, v[7:8]
	v_add_co_u32 v5, vcc_lo, s16, v5
	v_add_co_ci_u32_e64 v6, null, s17, v6, vcc_lo
	v_add_co_u32 v7, vcc_lo, s16, v7
	v_add_co_ci_u32_e64 v8, null, s17, v8, vcc_lo
	;; [unrolled: 2-line block ×4, first 2 shown]
	v_mad_u64_u32 v[5:6], null, s2, v2, v[1:2]
	v_add_co_u32 v2, s0, v1, s1
	s_cselect_b32 vcc_lo, -1, 0
	v_add_co_ci_u32_e64 v3, null, 0, 0, s0
	v_mov_b32_e32 v4, 0
	v_cndmask_b32_e32 v6, v11, v8, vcc_lo
	v_cndmask_b32_e32 v7, v10, v7, vcc_lo
	s_lshl_b32 s15, s2, 4
.LBB137_5:                              ; =>This Inner Loop Header: Depth=1
	v_ashrrev_i32_e32 v1, 31, v0
	v_mul_lo_u32 v12, s4, v0
	v_mad_u64_u32 v[8:9], null, s14, v0, 0
	v_lshlrev_b64 v[10:11], 3, v[0:1]
	v_mul_lo_u32 v1, s14, v1
	v_add_nc_u32_e32 v0, 16, v0
	v_add_co_u32 v10, vcc_lo, s8, v10
	v_add_co_ci_u32_e64 v11, null, s9, v11, vcc_lo
	v_add3_u32 v9, v9, v1, v12
	v_ashrrev_i64 v[12:13], 30, v[4:5]
	global_load_dwordx2 v[10:11], v[10:11], off
	v_lshlrev_b64 v[8:9], 2, v[8:9]
	v_add_co_u32 v8, vcc_lo, v7, v8
	v_add_co_ci_u32_e64 v9, null, v6, v9, vcc_lo
	global_load_dword v1, v[8:9], off
	v_ashrrev_i64 v[8:9], 29, v[4:5]
	v_add_co_u32 v4, vcc_lo, v4, 0
	v_add_co_ci_u32_e64 v5, null, s15, v5, vcc_lo
	v_add_co_u32 v8, s0, s6, v8
	v_add_co_ci_u32_e64 v9, null, s7, v9, s0
	v_add_co_u32 v12, s0, s10, v12
	v_add_co_ci_u32_e64 v13, null, s11, v13, s0
	v_cmp_le_i32_e64 s0, s13, v0
	s_or_b32 s5, s0, s5
	s_waitcnt vmcnt(1)
	v_sub_co_u32 v10, s1, v10, s12
	v_subrev_co_ci_u32_e64 v11, null, 0, v11, s1
	v_mul_lo_u32 v14, v10, s3
	v_mul_lo_u32 v15, v11, s2
	v_mad_u64_u32 v[10:11], null, v10, s2, v[2:3]
	v_add3_u32 v11, v15, v11, v14
	s_waitcnt vmcnt(0)
	global_store_dword v[12:13], v1, off
	global_store_dwordx2 v[8:9], v[10:11], off
	s_andn2_b32 exec_lo, exec_lo, s5
	s_cbranch_execnz .LBB137_5
.LBB137_6:
	s_endpgm
	.section	.rodata,"a",@progbits
	.p2align	6, 0x0
	.amdhsa_kernel _ZN9rocsparseL33bsr2csr_block_per_row_8_32_kernelILj1024ELj8EfilEEv20rocsparse_direction_T3_S2_21rocsparse_index_base_PKT1_PKT2_PKS2_S2_S3_PS4_PS7_PS2_
		.amdhsa_group_segment_fixed_size 0
		.amdhsa_private_segment_fixed_size 0
		.amdhsa_kernarg_size 96
		.amdhsa_user_sgpr_count 6
		.amdhsa_user_sgpr_private_segment_buffer 1
		.amdhsa_user_sgpr_dispatch_ptr 0
		.amdhsa_user_sgpr_queue_ptr 0
		.amdhsa_user_sgpr_kernarg_segment_ptr 1
		.amdhsa_user_sgpr_dispatch_id 0
		.amdhsa_user_sgpr_flat_scratch_init 0
		.amdhsa_user_sgpr_private_segment_size 0
		.amdhsa_wavefront_size32 1
		.amdhsa_uses_dynamic_stack 0
		.amdhsa_system_sgpr_private_segment_wavefront_offset 0
		.amdhsa_system_sgpr_workgroup_id_x 1
		.amdhsa_system_sgpr_workgroup_id_y 0
		.amdhsa_system_sgpr_workgroup_id_z 0
		.amdhsa_system_sgpr_workgroup_info 0
		.amdhsa_system_vgpr_workitem_id 0
		.amdhsa_next_free_vgpr 16
		.amdhsa_next_free_sgpr 20
		.amdhsa_reserve_vcc 1
		.amdhsa_reserve_flat_scratch 0
		.amdhsa_float_round_mode_32 0
		.amdhsa_float_round_mode_16_64 0
		.amdhsa_float_denorm_mode_32 3
		.amdhsa_float_denorm_mode_16_64 3
		.amdhsa_dx10_clamp 1
		.amdhsa_ieee_mode 1
		.amdhsa_fp16_overflow 0
		.amdhsa_workgroup_processor_mode 1
		.amdhsa_memory_ordered 1
		.amdhsa_forward_progress 1
		.amdhsa_shared_vgpr_count 0
		.amdhsa_exception_fp_ieee_invalid_op 0
		.amdhsa_exception_fp_denorm_src 0
		.amdhsa_exception_fp_ieee_div_zero 0
		.amdhsa_exception_fp_ieee_overflow 0
		.amdhsa_exception_fp_ieee_underflow 0
		.amdhsa_exception_fp_ieee_inexact 0
		.amdhsa_exception_int_div_zero 0
	.end_amdhsa_kernel
	.section	.text._ZN9rocsparseL33bsr2csr_block_per_row_8_32_kernelILj1024ELj8EfilEEv20rocsparse_direction_T3_S2_21rocsparse_index_base_PKT1_PKT2_PKS2_S2_S3_PS4_PS7_PS2_,"axG",@progbits,_ZN9rocsparseL33bsr2csr_block_per_row_8_32_kernelILj1024ELj8EfilEEv20rocsparse_direction_T3_S2_21rocsparse_index_base_PKT1_PKT2_PKS2_S2_S3_PS4_PS7_PS2_,comdat
.Lfunc_end137:
	.size	_ZN9rocsparseL33bsr2csr_block_per_row_8_32_kernelILj1024ELj8EfilEEv20rocsparse_direction_T3_S2_21rocsparse_index_base_PKT1_PKT2_PKS2_S2_S3_PS4_PS7_PS2_, .Lfunc_end137-_ZN9rocsparseL33bsr2csr_block_per_row_8_32_kernelILj1024ELj8EfilEEv20rocsparse_direction_T3_S2_21rocsparse_index_base_PKT1_PKT2_PKS2_S2_S3_PS4_PS7_PS2_
                                        ; -- End function
	.set _ZN9rocsparseL33bsr2csr_block_per_row_8_32_kernelILj1024ELj8EfilEEv20rocsparse_direction_T3_S2_21rocsparse_index_base_PKT1_PKT2_PKS2_S2_S3_PS4_PS7_PS2_.num_vgpr, 16
	.set _ZN9rocsparseL33bsr2csr_block_per_row_8_32_kernelILj1024ELj8EfilEEv20rocsparse_direction_T3_S2_21rocsparse_index_base_PKT1_PKT2_PKS2_S2_S3_PS4_PS7_PS2_.num_agpr, 0
	.set _ZN9rocsparseL33bsr2csr_block_per_row_8_32_kernelILj1024ELj8EfilEEv20rocsparse_direction_T3_S2_21rocsparse_index_base_PKT1_PKT2_PKS2_S2_S3_PS4_PS7_PS2_.numbered_sgpr, 20
	.set _ZN9rocsparseL33bsr2csr_block_per_row_8_32_kernelILj1024ELj8EfilEEv20rocsparse_direction_T3_S2_21rocsparse_index_base_PKT1_PKT2_PKS2_S2_S3_PS4_PS7_PS2_.num_named_barrier, 0
	.set _ZN9rocsparseL33bsr2csr_block_per_row_8_32_kernelILj1024ELj8EfilEEv20rocsparse_direction_T3_S2_21rocsparse_index_base_PKT1_PKT2_PKS2_S2_S3_PS4_PS7_PS2_.private_seg_size, 0
	.set _ZN9rocsparseL33bsr2csr_block_per_row_8_32_kernelILj1024ELj8EfilEEv20rocsparse_direction_T3_S2_21rocsparse_index_base_PKT1_PKT2_PKS2_S2_S3_PS4_PS7_PS2_.uses_vcc, 1
	.set _ZN9rocsparseL33bsr2csr_block_per_row_8_32_kernelILj1024ELj8EfilEEv20rocsparse_direction_T3_S2_21rocsparse_index_base_PKT1_PKT2_PKS2_S2_S3_PS4_PS7_PS2_.uses_flat_scratch, 0
	.set _ZN9rocsparseL33bsr2csr_block_per_row_8_32_kernelILj1024ELj8EfilEEv20rocsparse_direction_T3_S2_21rocsparse_index_base_PKT1_PKT2_PKS2_S2_S3_PS4_PS7_PS2_.has_dyn_sized_stack, 0
	.set _ZN9rocsparseL33bsr2csr_block_per_row_8_32_kernelILj1024ELj8EfilEEv20rocsparse_direction_T3_S2_21rocsparse_index_base_PKT1_PKT2_PKS2_S2_S3_PS4_PS7_PS2_.has_recursion, 0
	.set _ZN9rocsparseL33bsr2csr_block_per_row_8_32_kernelILj1024ELj8EfilEEv20rocsparse_direction_T3_S2_21rocsparse_index_base_PKT1_PKT2_PKS2_S2_S3_PS4_PS7_PS2_.has_indirect_call, 0
	.section	.AMDGPU.csdata,"",@progbits
; Kernel info:
; codeLenInByte = 792
; TotalNumSgprs: 22
; NumVgprs: 16
; ScratchSize: 0
; MemoryBound: 0
; FloatMode: 240
; IeeeMode: 1
; LDSByteSize: 0 bytes/workgroup (compile time only)
; SGPRBlocks: 0
; VGPRBlocks: 1
; NumSGPRsForWavesPerEU: 22
; NumVGPRsForWavesPerEU: 16
; Occupancy: 16
; WaveLimiterHint : 0
; COMPUTE_PGM_RSRC2:SCRATCH_EN: 0
; COMPUTE_PGM_RSRC2:USER_SGPR: 6
; COMPUTE_PGM_RSRC2:TRAP_HANDLER: 0
; COMPUTE_PGM_RSRC2:TGID_X_EN: 1
; COMPUTE_PGM_RSRC2:TGID_Y_EN: 0
; COMPUTE_PGM_RSRC2:TGID_Z_EN: 0
; COMPUTE_PGM_RSRC2:TIDIG_COMP_CNT: 0
	.section	.text._ZN9rocsparseL33bsr2csr_block_per_row_8_32_kernelILj1024ELj16EfilEEv20rocsparse_direction_T3_S2_21rocsparse_index_base_PKT1_PKT2_PKS2_S2_S3_PS4_PS7_PS2_,"axG",@progbits,_ZN9rocsparseL33bsr2csr_block_per_row_8_32_kernelILj1024ELj16EfilEEv20rocsparse_direction_T3_S2_21rocsparse_index_base_PKT1_PKT2_PKS2_S2_S3_PS4_PS7_PS2_,comdat
	.globl	_ZN9rocsparseL33bsr2csr_block_per_row_8_32_kernelILj1024ELj16EfilEEv20rocsparse_direction_T3_S2_21rocsparse_index_base_PKT1_PKT2_PKS2_S2_S3_PS4_PS7_PS2_ ; -- Begin function _ZN9rocsparseL33bsr2csr_block_per_row_8_32_kernelILj1024ELj16EfilEEv20rocsparse_direction_T3_S2_21rocsparse_index_base_PKT1_PKT2_PKS2_S2_S3_PS4_PS7_PS2_
	.p2align	8
	.type	_ZN9rocsparseL33bsr2csr_block_per_row_8_32_kernelILj1024ELj16EfilEEv20rocsparse_direction_T3_S2_21rocsparse_index_base_PKT1_PKT2_PKS2_S2_S3_PS4_PS7_PS2_,@function
_ZN9rocsparseL33bsr2csr_block_per_row_8_32_kernelILj1024ELj16EfilEEv20rocsparse_direction_T3_S2_21rocsparse_index_base_PKT1_PKT2_PKS2_S2_S3_PS4_PS7_PS2_: ; @_ZN9rocsparseL33bsr2csr_block_per_row_8_32_kernelILj1024ELj16EfilEEv20rocsparse_direction_T3_S2_21rocsparse_index_base_PKT1_PKT2_PKS2_S2_S3_PS4_PS7_PS2_
; %bb.0:
	s_clause 0x2
	s_load_dwordx2 s[2:3], s[4:5], 0x28
	s_load_dword s1, s[4:5], 0x40
	s_load_dwordx2 s[8:9], s[4:5], 0x50
	s_mov_b32 s7, 0
	v_or_b32_e32 v1, s6, v0
	s_lshl_b64 s[10:11], s[6:7], 2
	s_mov_b32 s0, exec_lo
	s_waitcnt lgkmcnt(0)
	s_add_u32 s10, s2, s10
	s_addc_u32 s11, s3, s11
	v_cmpx_eq_u32_e32 0, v1
	s_cbranch_execz .LBB138_2
; %bb.1:
	v_mov_b32_e32 v1, 0
	v_mov_b32_e32 v2, s1
	global_store_dword v1, v2, s[8:9]
.LBB138_2:
	s_or_b32 exec_lo, exec_lo, s0
	s_load_dwordx2 s[2:3], s[4:5], 0x38
	v_mov_b32_e32 v2, 0
	v_bfe_u32 v3, v0, 4, 4
	v_and_b32_e32 v1, 15, v0
	v_mov_b32_e32 v4, v2
	s_waitcnt lgkmcnt(0)
	v_cmp_gt_i64_e32 vcc_lo, s[2:3], v[3:4]
	v_cmp_gt_i64_e64 s0, s[2:3], v[1:2]
	s_and_b32 s0, vcc_lo, s0
	s_and_saveexec_b32 s7, s0
	s_cbranch_execz .LBB138_6
; %bb.3:
	s_load_dwordx2 s[10:11], s[10:11], 0x0
	s_load_dword s12, s[4:5], 0x18
	v_lshrrev_b32_e32 v2, 8, v0
	s_mul_i32 s14, s2, s2
	s_mul_i32 s7, s3, s6
	s_waitcnt lgkmcnt(0)
	s_sub_i32 s0, s10, s12
	s_sub_i32 s13, s11, s12
	v_add_nc_u32_e32 v0, s0, v2
	s_sub_i32 s15, s13, s0
	s_mul_hi_u32 s11, s2, s6
	s_mul_i32 s10, s2, s15
	s_mul_i32 s6, s2, s6
	v_mul_lo_u32 v4, s10, v3
	s_add_i32 s7, s11, s7
	s_mul_i32 s11, s14, s0
	s_add_i32 s10, s1, s10
	s_lshl_b64 s[6:7], s[6:7], 2
	v_cmp_gt_i32_e32 vcc_lo, s13, v0
	s_add_u32 s6, s8, s6
	s_addc_u32 s7, s9, s7
	v_add3_u32 v5, s10, s11, v4
	v_lshlrev_b32_e32 v4, 2, v3
	global_store_dword v4, v5, s[6:7] offset:4
	s_and_b32 exec_lo, exec_lo, vcc_lo
	s_cbranch_execz .LBB138_6
; %bb.4:
	v_mad_u64_u32 v[5:6], null, s2, v1, 0
	v_mad_u64_u32 v[7:8], null, s2, v3, 0
	s_clause 0x4
	s_load_dwordx2 s[16:17], s[4:5], 0x20
	s_load_dwordx2 s[6:7], s[4:5], 0x58
	;; [unrolled: 1-line block ×4, first 2 shown]
	s_load_dword s5, s[4:5], 0x0
	s_mul_i32 s0, s2, s0
	s_mul_i32 s18, s2, s3
	s_mul_hi_u32 s19, s2, s2
	v_mad_u64_u32 v[9:10], null, s3, v1, v[6:7]
	v_mov_b32_e32 v6, v8
	s_add_i32 s4, s19, s18
	s_add_i32 s4, s4, s18
	v_mad_u64_u32 v[10:11], null, s3, v3, v[6:7]
	v_mov_b32_e32 v6, v9
	v_mul_lo_u32 v3, s15, v3
	v_lshlrev_b32_e32 v9, 2, v1
	v_lshlrev_b64 v[5:6], 2, v[5:6]
	v_mov_b32_e32 v8, v10
	s_waitcnt lgkmcnt(0)
	s_cmp_eq_u32 s5, 0
	s_mov_b32 s5, 0
	v_add3_u32 v2, v2, s0, v3
	v_lshlrev_b64 v[7:8], 2, v[7:8]
	v_add_co_u32 v5, vcc_lo, s16, v5
	v_add_co_ci_u32_e64 v6, null, s17, v6, vcc_lo
	v_add_co_u32 v7, vcc_lo, s16, v7
	v_add_co_ci_u32_e64 v8, null, s17, v8, vcc_lo
	;; [unrolled: 2-line block ×4, first 2 shown]
	v_mad_u64_u32 v[5:6], null, s2, v2, v[1:2]
	v_add_co_u32 v2, s0, v1, s1
	s_cselect_b32 vcc_lo, -1, 0
	v_add_co_ci_u32_e64 v3, null, 0, 0, s0
	v_mov_b32_e32 v4, 0
	v_cndmask_b32_e32 v6, v11, v8, vcc_lo
	v_cndmask_b32_e32 v7, v10, v7, vcc_lo
	s_lshl_b32 s15, s2, 2
.LBB138_5:                              ; =>This Inner Loop Header: Depth=1
	v_ashrrev_i32_e32 v1, 31, v0
	v_mul_lo_u32 v12, s4, v0
	v_mad_u64_u32 v[8:9], null, s14, v0, 0
	v_lshlrev_b64 v[10:11], 3, v[0:1]
	v_mul_lo_u32 v1, s14, v1
	v_add_nc_u32_e32 v0, 4, v0
	v_add_co_u32 v10, vcc_lo, s8, v10
	v_add_co_ci_u32_e64 v11, null, s9, v11, vcc_lo
	v_add3_u32 v9, v9, v1, v12
	v_ashrrev_i64 v[12:13], 30, v[4:5]
	global_load_dwordx2 v[10:11], v[10:11], off
	v_lshlrev_b64 v[8:9], 2, v[8:9]
	v_add_co_u32 v8, vcc_lo, v7, v8
	v_add_co_ci_u32_e64 v9, null, v6, v9, vcc_lo
	global_load_dword v1, v[8:9], off
	v_ashrrev_i64 v[8:9], 29, v[4:5]
	v_add_co_u32 v4, vcc_lo, v4, 0
	v_add_co_ci_u32_e64 v5, null, s15, v5, vcc_lo
	v_add_co_u32 v8, s0, s6, v8
	v_add_co_ci_u32_e64 v9, null, s7, v9, s0
	v_add_co_u32 v12, s0, s10, v12
	v_add_co_ci_u32_e64 v13, null, s11, v13, s0
	v_cmp_le_i32_e64 s0, s13, v0
	s_or_b32 s5, s0, s5
	s_waitcnt vmcnt(1)
	v_sub_co_u32 v10, s1, v10, s12
	v_subrev_co_ci_u32_e64 v11, null, 0, v11, s1
	v_mul_lo_u32 v14, v10, s3
	v_mul_lo_u32 v15, v11, s2
	v_mad_u64_u32 v[10:11], null, v10, s2, v[2:3]
	v_add3_u32 v11, v15, v11, v14
	s_waitcnt vmcnt(0)
	global_store_dword v[12:13], v1, off
	global_store_dwordx2 v[8:9], v[10:11], off
	s_andn2_b32 exec_lo, exec_lo, s5
	s_cbranch_execnz .LBB138_5
.LBB138_6:
	s_endpgm
	.section	.rodata,"a",@progbits
	.p2align	6, 0x0
	.amdhsa_kernel _ZN9rocsparseL33bsr2csr_block_per_row_8_32_kernelILj1024ELj16EfilEEv20rocsparse_direction_T3_S2_21rocsparse_index_base_PKT1_PKT2_PKS2_S2_S3_PS4_PS7_PS2_
		.amdhsa_group_segment_fixed_size 0
		.amdhsa_private_segment_fixed_size 0
		.amdhsa_kernarg_size 96
		.amdhsa_user_sgpr_count 6
		.amdhsa_user_sgpr_private_segment_buffer 1
		.amdhsa_user_sgpr_dispatch_ptr 0
		.amdhsa_user_sgpr_queue_ptr 0
		.amdhsa_user_sgpr_kernarg_segment_ptr 1
		.amdhsa_user_sgpr_dispatch_id 0
		.amdhsa_user_sgpr_flat_scratch_init 0
		.amdhsa_user_sgpr_private_segment_size 0
		.amdhsa_wavefront_size32 1
		.amdhsa_uses_dynamic_stack 0
		.amdhsa_system_sgpr_private_segment_wavefront_offset 0
		.amdhsa_system_sgpr_workgroup_id_x 1
		.amdhsa_system_sgpr_workgroup_id_y 0
		.amdhsa_system_sgpr_workgroup_id_z 0
		.amdhsa_system_sgpr_workgroup_info 0
		.amdhsa_system_vgpr_workitem_id 0
		.amdhsa_next_free_vgpr 16
		.amdhsa_next_free_sgpr 20
		.amdhsa_reserve_vcc 1
		.amdhsa_reserve_flat_scratch 0
		.amdhsa_float_round_mode_32 0
		.amdhsa_float_round_mode_16_64 0
		.amdhsa_float_denorm_mode_32 3
		.amdhsa_float_denorm_mode_16_64 3
		.amdhsa_dx10_clamp 1
		.amdhsa_ieee_mode 1
		.amdhsa_fp16_overflow 0
		.amdhsa_workgroup_processor_mode 1
		.amdhsa_memory_ordered 1
		.amdhsa_forward_progress 1
		.amdhsa_shared_vgpr_count 0
		.amdhsa_exception_fp_ieee_invalid_op 0
		.amdhsa_exception_fp_denorm_src 0
		.amdhsa_exception_fp_ieee_div_zero 0
		.amdhsa_exception_fp_ieee_overflow 0
		.amdhsa_exception_fp_ieee_underflow 0
		.amdhsa_exception_fp_ieee_inexact 0
		.amdhsa_exception_int_div_zero 0
	.end_amdhsa_kernel
	.section	.text._ZN9rocsparseL33bsr2csr_block_per_row_8_32_kernelILj1024ELj16EfilEEv20rocsparse_direction_T3_S2_21rocsparse_index_base_PKT1_PKT2_PKS2_S2_S3_PS4_PS7_PS2_,"axG",@progbits,_ZN9rocsparseL33bsr2csr_block_per_row_8_32_kernelILj1024ELj16EfilEEv20rocsparse_direction_T3_S2_21rocsparse_index_base_PKT1_PKT2_PKS2_S2_S3_PS4_PS7_PS2_,comdat
.Lfunc_end138:
	.size	_ZN9rocsparseL33bsr2csr_block_per_row_8_32_kernelILj1024ELj16EfilEEv20rocsparse_direction_T3_S2_21rocsparse_index_base_PKT1_PKT2_PKS2_S2_S3_PS4_PS7_PS2_, .Lfunc_end138-_ZN9rocsparseL33bsr2csr_block_per_row_8_32_kernelILj1024ELj16EfilEEv20rocsparse_direction_T3_S2_21rocsparse_index_base_PKT1_PKT2_PKS2_S2_S3_PS4_PS7_PS2_
                                        ; -- End function
	.set _ZN9rocsparseL33bsr2csr_block_per_row_8_32_kernelILj1024ELj16EfilEEv20rocsparse_direction_T3_S2_21rocsparse_index_base_PKT1_PKT2_PKS2_S2_S3_PS4_PS7_PS2_.num_vgpr, 16
	.set _ZN9rocsparseL33bsr2csr_block_per_row_8_32_kernelILj1024ELj16EfilEEv20rocsparse_direction_T3_S2_21rocsparse_index_base_PKT1_PKT2_PKS2_S2_S3_PS4_PS7_PS2_.num_agpr, 0
	.set _ZN9rocsparseL33bsr2csr_block_per_row_8_32_kernelILj1024ELj16EfilEEv20rocsparse_direction_T3_S2_21rocsparse_index_base_PKT1_PKT2_PKS2_S2_S3_PS4_PS7_PS2_.numbered_sgpr, 20
	.set _ZN9rocsparseL33bsr2csr_block_per_row_8_32_kernelILj1024ELj16EfilEEv20rocsparse_direction_T3_S2_21rocsparse_index_base_PKT1_PKT2_PKS2_S2_S3_PS4_PS7_PS2_.num_named_barrier, 0
	.set _ZN9rocsparseL33bsr2csr_block_per_row_8_32_kernelILj1024ELj16EfilEEv20rocsparse_direction_T3_S2_21rocsparse_index_base_PKT1_PKT2_PKS2_S2_S3_PS4_PS7_PS2_.private_seg_size, 0
	.set _ZN9rocsparseL33bsr2csr_block_per_row_8_32_kernelILj1024ELj16EfilEEv20rocsparse_direction_T3_S2_21rocsparse_index_base_PKT1_PKT2_PKS2_S2_S3_PS4_PS7_PS2_.uses_vcc, 1
	.set _ZN9rocsparseL33bsr2csr_block_per_row_8_32_kernelILj1024ELj16EfilEEv20rocsparse_direction_T3_S2_21rocsparse_index_base_PKT1_PKT2_PKS2_S2_S3_PS4_PS7_PS2_.uses_flat_scratch, 0
	.set _ZN9rocsparseL33bsr2csr_block_per_row_8_32_kernelILj1024ELj16EfilEEv20rocsparse_direction_T3_S2_21rocsparse_index_base_PKT1_PKT2_PKS2_S2_S3_PS4_PS7_PS2_.has_dyn_sized_stack, 0
	.set _ZN9rocsparseL33bsr2csr_block_per_row_8_32_kernelILj1024ELj16EfilEEv20rocsparse_direction_T3_S2_21rocsparse_index_base_PKT1_PKT2_PKS2_S2_S3_PS4_PS7_PS2_.has_recursion, 0
	.set _ZN9rocsparseL33bsr2csr_block_per_row_8_32_kernelILj1024ELj16EfilEEv20rocsparse_direction_T3_S2_21rocsparse_index_base_PKT1_PKT2_PKS2_S2_S3_PS4_PS7_PS2_.has_indirect_call, 0
	.section	.AMDGPU.csdata,"",@progbits
; Kernel info:
; codeLenInByte = 792
; TotalNumSgprs: 22
; NumVgprs: 16
; ScratchSize: 0
; MemoryBound: 0
; FloatMode: 240
; IeeeMode: 1
; LDSByteSize: 0 bytes/workgroup (compile time only)
; SGPRBlocks: 0
; VGPRBlocks: 1
; NumSGPRsForWavesPerEU: 22
; NumVGPRsForWavesPerEU: 16
; Occupancy: 16
; WaveLimiterHint : 0
; COMPUTE_PGM_RSRC2:SCRATCH_EN: 0
; COMPUTE_PGM_RSRC2:USER_SGPR: 6
; COMPUTE_PGM_RSRC2:TRAP_HANDLER: 0
; COMPUTE_PGM_RSRC2:TGID_X_EN: 1
; COMPUTE_PGM_RSRC2:TGID_Y_EN: 0
; COMPUTE_PGM_RSRC2:TGID_Z_EN: 0
; COMPUTE_PGM_RSRC2:TIDIG_COMP_CNT: 0
	.section	.text._ZN9rocsparseL33bsr2csr_block_per_row_8_32_kernelILj1024ELj32EfilEEv20rocsparse_direction_T3_S2_21rocsparse_index_base_PKT1_PKT2_PKS2_S2_S3_PS4_PS7_PS2_,"axG",@progbits,_ZN9rocsparseL33bsr2csr_block_per_row_8_32_kernelILj1024ELj32EfilEEv20rocsparse_direction_T3_S2_21rocsparse_index_base_PKT1_PKT2_PKS2_S2_S3_PS4_PS7_PS2_,comdat
	.globl	_ZN9rocsparseL33bsr2csr_block_per_row_8_32_kernelILj1024ELj32EfilEEv20rocsparse_direction_T3_S2_21rocsparse_index_base_PKT1_PKT2_PKS2_S2_S3_PS4_PS7_PS2_ ; -- Begin function _ZN9rocsparseL33bsr2csr_block_per_row_8_32_kernelILj1024ELj32EfilEEv20rocsparse_direction_T3_S2_21rocsparse_index_base_PKT1_PKT2_PKS2_S2_S3_PS4_PS7_PS2_
	.p2align	8
	.type	_ZN9rocsparseL33bsr2csr_block_per_row_8_32_kernelILj1024ELj32EfilEEv20rocsparse_direction_T3_S2_21rocsparse_index_base_PKT1_PKT2_PKS2_S2_S3_PS4_PS7_PS2_,@function
_ZN9rocsparseL33bsr2csr_block_per_row_8_32_kernelILj1024ELj32EfilEEv20rocsparse_direction_T3_S2_21rocsparse_index_base_PKT1_PKT2_PKS2_S2_S3_PS4_PS7_PS2_: ; @_ZN9rocsparseL33bsr2csr_block_per_row_8_32_kernelILj1024ELj32EfilEEv20rocsparse_direction_T3_S2_21rocsparse_index_base_PKT1_PKT2_PKS2_S2_S3_PS4_PS7_PS2_
; %bb.0:
	s_clause 0x2
	s_load_dwordx2 s[2:3], s[4:5], 0x28
	s_load_dword s1, s[4:5], 0x40
	s_load_dwordx2 s[10:11], s[4:5], 0x50
	s_mov_b32 s7, 0
	v_or_b32_e32 v1, s6, v0
	s_lshl_b64 s[8:9], s[6:7], 2
	s_mov_b32 s0, exec_lo
	s_waitcnt lgkmcnt(0)
	s_add_u32 s8, s2, s8
	s_addc_u32 s9, s3, s9
	v_cmpx_eq_u32_e32 0, v1
	s_cbranch_execz .LBB139_2
; %bb.1:
	v_mov_b32_e32 v1, 0
	v_mov_b32_e32 v2, s1
	global_store_dword v1, v2, s[10:11]
.LBB139_2:
	s_or_b32 exec_lo, exec_lo, s0
	s_load_dwordx2 s[2:3], s[4:5], 0x38
	v_mov_b32_e32 v1, 0
	v_lshrrev_b32_e32 v2, 5, v0
	v_and_b32_e32 v0, 31, v0
	v_mov_b32_e32 v3, v1
	s_waitcnt lgkmcnt(0)
	v_cmp_gt_i64_e32 vcc_lo, s[2:3], v[2:3]
	v_cmp_gt_i64_e64 s0, s[2:3], v[0:1]
	s_and_b32 s0, vcc_lo, s0
	s_and_saveexec_b32 s7, s0
	s_cbranch_execz .LBB139_6
; %bb.3:
	s_load_dwordx2 s[14:15], s[8:9], 0x0
	s_load_dword s12, s[4:5], 0x18
	s_mul_i32 s7, s3, s6
	s_mul_hi_u32 s17, s2, s6
	s_mul_i32 s8, s2, s2
	s_mul_i32 s6, s2, s6
	s_add_i32 s7, s17, s7
	s_lshl_b64 s[6:7], s[6:7], 2
	s_waitcnt lgkmcnt(0)
	s_sub_i32 s0, s14, s12
	s_sub_i32 s13, s15, s12
	s_mul_i32 s17, s8, s0
	s_sub_i32 s9, s13, s0
	s_mul_i32 s16, s2, s9
	v_mul_lo_u32 v1, s16, v2
	s_add_i32 s16, s1, s16
	s_add_u32 s6, s10, s6
	s_addc_u32 s7, s11, s7
	s_cmp_ge_i32 s14, s15
	v_add3_u32 v3, s16, s17, v1
	v_lshlrev_b32_e32 v1, 2, v2
	global_store_dword v1, v3, s[6:7] offset:4
	s_cbranch_scc1 .LBB139_6
; %bb.4:
	v_mad_u64_u32 v[3:4], null, s2, v0, 0
	v_mad_u64_u32 v[5:6], null, s2, v2, 0
	s_clause 0x3
	s_load_dwordx2 s[10:11], s[4:5], 0x30
	s_load_dwordx2 s[6:7], s[4:5], 0x48
	s_load_dword s16, s[4:5], 0x0
	s_load_dwordx2 s[14:15], s[4:5], 0x20
	s_mul_i32 s17, s2, s3
	s_mul_hi_u32 s18, s2, s2
	s_load_dwordx2 s[4:5], s[4:5], 0x58
	s_add_i32 s18, s18, s17
	v_mad_u64_u32 v[7:8], null, s3, v0, v[4:5]
	v_mad_u64_u32 v[8:9], null, s3, v2, v[6:7]
	v_mov_b32_e32 v4, v7
	v_mul_lo_u32 v2, v2, s9
	v_lshlrev_b32_e32 v7, 2, v0
	s_add_i32 s9, s18, s17
	s_waitcnt lgkmcnt(0)
	s_cmp_eq_u32 s16, 0
	v_lshlrev_b64 v[3:4], 2, v[3:4]
	v_mov_b32_e32 v6, v8
	v_add_co_u32 v3, vcc_lo, s14, v3
	v_lshlrev_b64 v[5:6], 2, v[5:6]
	v_add_co_ci_u32_e64 v4, null, s15, v4, vcc_lo
	v_add_co_u32 v5, vcc_lo, s14, v5
	v_add_co_ci_u32_e64 v6, null, s15, v6, vcc_lo
	v_add_co_u32 v8, vcc_lo, v3, v1
	v_add_co_ci_u32_e64 v9, null, 0, v4, vcc_lo
	v_add_co_u32 v7, vcc_lo, v5, v7
	v_add_co_u32 v1, s1, v0, s1
	v_mad_u64_u32 v[4:5], null, s2, s0, v[2:3]
	v_add_co_ci_u32_e64 v6, null, 0, v6, vcc_lo
	v_add_co_ci_u32_e64 v2, null, 0, 0, s1
	s_cselect_b32 vcc_lo, -1, 0
	s_ashr_i32 s1, s0, 31
	v_mad_u64_u32 v[4:5], null, s2, v4, v[0:1]
	s_lshl_b64 s[14:15], s[0:1], 3
	s_mul_i32 s1, s8, s1
	s_add_u32 s10, s10, s14
	s_mul_hi_u32 s14, s8, s0
	s_addc_u32 s11, s11, s15
	s_add_i32 s1, s14, s1
	s_mul_i32 s14, s9, s0
	v_cndmask_b32_e32 v0, v8, v7, vcc_lo
	s_add_i32 s15, s1, s14
	s_mul_i32 s14, s8, s0
	v_cndmask_b32_e32 v6, v9, v6, vcc_lo
	s_lshl_b64 s[14:15], s[14:15], 2
	v_mov_b32_e32 v3, 0
	v_add_co_u32 v5, vcc_lo, v0, s14
	v_add_co_ci_u32_e64 v6, null, s15, v6, vcc_lo
	s_mov_b32 s1, s2
	s_lshl_b64 s[8:9], s[8:9], 2
	s_inst_prefetch 0x1
	.p2align	6
.LBB139_5:                              ; =>This Inner Loop Header: Depth=1
	global_load_dword v0, v[5:6], off
	s_load_dwordx2 s[14:15], s[10:11], 0x0
	v_ashrrev_i64 v[7:8], 29, v[3:4]
	v_ashrrev_i64 v[9:10], 30, v[3:4]
	v_add_co_u32 v3, vcc_lo, v3, 0
	v_add_co_ci_u32_e64 v4, null, s1, v4, vcc_lo
	v_add_co_u32 v5, vcc_lo, v5, s8
	v_add_co_ci_u32_e64 v6, null, s9, v6, vcc_lo
	;; [unrolled: 2-line block ×4, first 2 shown]
	s_waitcnt lgkmcnt(0)
	s_sub_u32 s14, s14, s12
	s_subb_u32 s15, s15, 0
	v_mad_u64_u32 v[11:12], null, s14, s2, v[1:2]
	s_mul_i32 s14, s14, s3
	s_mul_i32 s15, s15, s2
	s_add_i32 s0, s0, 1
	s_add_u32 s10, s10, 8
	s_addc_u32 s11, s11, 0
	s_cmp_lt_i32 s0, s13
	v_add3_u32 v12, s14, s15, v12
	global_store_dwordx2 v[7:8], v[11:12], off
	s_waitcnt vmcnt(0)
	global_store_dword v[9:10], v0, off
	s_cbranch_scc1 .LBB139_5
.LBB139_6:
	s_inst_prefetch 0x2
	s_endpgm
	.section	.rodata,"a",@progbits
	.p2align	6, 0x0
	.amdhsa_kernel _ZN9rocsparseL33bsr2csr_block_per_row_8_32_kernelILj1024ELj32EfilEEv20rocsparse_direction_T3_S2_21rocsparse_index_base_PKT1_PKT2_PKS2_S2_S3_PS4_PS7_PS2_
		.amdhsa_group_segment_fixed_size 0
		.amdhsa_private_segment_fixed_size 0
		.amdhsa_kernarg_size 96
		.amdhsa_user_sgpr_count 6
		.amdhsa_user_sgpr_private_segment_buffer 1
		.amdhsa_user_sgpr_dispatch_ptr 0
		.amdhsa_user_sgpr_queue_ptr 0
		.amdhsa_user_sgpr_kernarg_segment_ptr 1
		.amdhsa_user_sgpr_dispatch_id 0
		.amdhsa_user_sgpr_flat_scratch_init 0
		.amdhsa_user_sgpr_private_segment_size 0
		.amdhsa_wavefront_size32 1
		.amdhsa_uses_dynamic_stack 0
		.amdhsa_system_sgpr_private_segment_wavefront_offset 0
		.amdhsa_system_sgpr_workgroup_id_x 1
		.amdhsa_system_sgpr_workgroup_id_y 0
		.amdhsa_system_sgpr_workgroup_id_z 0
		.amdhsa_system_sgpr_workgroup_info 0
		.amdhsa_system_vgpr_workitem_id 0
		.amdhsa_next_free_vgpr 13
		.amdhsa_next_free_sgpr 19
		.amdhsa_reserve_vcc 1
		.amdhsa_reserve_flat_scratch 0
		.amdhsa_float_round_mode_32 0
		.amdhsa_float_round_mode_16_64 0
		.amdhsa_float_denorm_mode_32 3
		.amdhsa_float_denorm_mode_16_64 3
		.amdhsa_dx10_clamp 1
		.amdhsa_ieee_mode 1
		.amdhsa_fp16_overflow 0
		.amdhsa_workgroup_processor_mode 1
		.amdhsa_memory_ordered 1
		.amdhsa_forward_progress 1
		.amdhsa_shared_vgpr_count 0
		.amdhsa_exception_fp_ieee_invalid_op 0
		.amdhsa_exception_fp_denorm_src 0
		.amdhsa_exception_fp_ieee_div_zero 0
		.amdhsa_exception_fp_ieee_overflow 0
		.amdhsa_exception_fp_ieee_underflow 0
		.amdhsa_exception_fp_ieee_inexact 0
		.amdhsa_exception_int_div_zero 0
	.end_amdhsa_kernel
	.section	.text._ZN9rocsparseL33bsr2csr_block_per_row_8_32_kernelILj1024ELj32EfilEEv20rocsparse_direction_T3_S2_21rocsparse_index_base_PKT1_PKT2_PKS2_S2_S3_PS4_PS7_PS2_,"axG",@progbits,_ZN9rocsparseL33bsr2csr_block_per_row_8_32_kernelILj1024ELj32EfilEEv20rocsparse_direction_T3_S2_21rocsparse_index_base_PKT1_PKT2_PKS2_S2_S3_PS4_PS7_PS2_,comdat
.Lfunc_end139:
	.size	_ZN9rocsparseL33bsr2csr_block_per_row_8_32_kernelILj1024ELj32EfilEEv20rocsparse_direction_T3_S2_21rocsparse_index_base_PKT1_PKT2_PKS2_S2_S3_PS4_PS7_PS2_, .Lfunc_end139-_ZN9rocsparseL33bsr2csr_block_per_row_8_32_kernelILj1024ELj32EfilEEv20rocsparse_direction_T3_S2_21rocsparse_index_base_PKT1_PKT2_PKS2_S2_S3_PS4_PS7_PS2_
                                        ; -- End function
	.set _ZN9rocsparseL33bsr2csr_block_per_row_8_32_kernelILj1024ELj32EfilEEv20rocsparse_direction_T3_S2_21rocsparse_index_base_PKT1_PKT2_PKS2_S2_S3_PS4_PS7_PS2_.num_vgpr, 13
	.set _ZN9rocsparseL33bsr2csr_block_per_row_8_32_kernelILj1024ELj32EfilEEv20rocsparse_direction_T3_S2_21rocsparse_index_base_PKT1_PKT2_PKS2_S2_S3_PS4_PS7_PS2_.num_agpr, 0
	.set _ZN9rocsparseL33bsr2csr_block_per_row_8_32_kernelILj1024ELj32EfilEEv20rocsparse_direction_T3_S2_21rocsparse_index_base_PKT1_PKT2_PKS2_S2_S3_PS4_PS7_PS2_.numbered_sgpr, 19
	.set _ZN9rocsparseL33bsr2csr_block_per_row_8_32_kernelILj1024ELj32EfilEEv20rocsparse_direction_T3_S2_21rocsparse_index_base_PKT1_PKT2_PKS2_S2_S3_PS4_PS7_PS2_.num_named_barrier, 0
	.set _ZN9rocsparseL33bsr2csr_block_per_row_8_32_kernelILj1024ELj32EfilEEv20rocsparse_direction_T3_S2_21rocsparse_index_base_PKT1_PKT2_PKS2_S2_S3_PS4_PS7_PS2_.private_seg_size, 0
	.set _ZN9rocsparseL33bsr2csr_block_per_row_8_32_kernelILj1024ELj32EfilEEv20rocsparse_direction_T3_S2_21rocsparse_index_base_PKT1_PKT2_PKS2_S2_S3_PS4_PS7_PS2_.uses_vcc, 1
	.set _ZN9rocsparseL33bsr2csr_block_per_row_8_32_kernelILj1024ELj32EfilEEv20rocsparse_direction_T3_S2_21rocsparse_index_base_PKT1_PKT2_PKS2_S2_S3_PS4_PS7_PS2_.uses_flat_scratch, 0
	.set _ZN9rocsparseL33bsr2csr_block_per_row_8_32_kernelILj1024ELj32EfilEEv20rocsparse_direction_T3_S2_21rocsparse_index_base_PKT1_PKT2_PKS2_S2_S3_PS4_PS7_PS2_.has_dyn_sized_stack, 0
	.set _ZN9rocsparseL33bsr2csr_block_per_row_8_32_kernelILj1024ELj32EfilEEv20rocsparse_direction_T3_S2_21rocsparse_index_base_PKT1_PKT2_PKS2_S2_S3_PS4_PS7_PS2_.has_recursion, 0
	.set _ZN9rocsparseL33bsr2csr_block_per_row_8_32_kernelILj1024ELj32EfilEEv20rocsparse_direction_T3_S2_21rocsparse_index_base_PKT1_PKT2_PKS2_S2_S3_PS4_PS7_PS2_.has_indirect_call, 0
	.section	.AMDGPU.csdata,"",@progbits
; Kernel info:
; codeLenInByte = 756
; TotalNumSgprs: 21
; NumVgprs: 13
; ScratchSize: 0
; MemoryBound: 0
; FloatMode: 240
; IeeeMode: 1
; LDSByteSize: 0 bytes/workgroup (compile time only)
; SGPRBlocks: 0
; VGPRBlocks: 1
; NumSGPRsForWavesPerEU: 21
; NumVGPRsForWavesPerEU: 13
; Occupancy: 16
; WaveLimiterHint : 0
; COMPUTE_PGM_RSRC2:SCRATCH_EN: 0
; COMPUTE_PGM_RSRC2:USER_SGPR: 6
; COMPUTE_PGM_RSRC2:TRAP_HANDLER: 0
; COMPUTE_PGM_RSRC2:TGID_X_EN: 1
; COMPUTE_PGM_RSRC2:TGID_Y_EN: 0
; COMPUTE_PGM_RSRC2:TGID_Z_EN: 0
; COMPUTE_PGM_RSRC2:TIDIG_COMP_CNT: 0
	.section	.text._ZN9rocsparseL35bsr2csr_block_per_row_33_256_kernelILj1024ELj64ELj32EfilEEv20rocsparse_direction_T4_S2_21rocsparse_index_base_PKT2_PKT3_PKS2_S2_S3_PS4_PS7_PS2_,"axG",@progbits,_ZN9rocsparseL35bsr2csr_block_per_row_33_256_kernelILj1024ELj64ELj32EfilEEv20rocsparse_direction_T4_S2_21rocsparse_index_base_PKT2_PKT3_PKS2_S2_S3_PS4_PS7_PS2_,comdat
	.globl	_ZN9rocsparseL35bsr2csr_block_per_row_33_256_kernelILj1024ELj64ELj32EfilEEv20rocsparse_direction_T4_S2_21rocsparse_index_base_PKT2_PKT3_PKS2_S2_S3_PS4_PS7_PS2_ ; -- Begin function _ZN9rocsparseL35bsr2csr_block_per_row_33_256_kernelILj1024ELj64ELj32EfilEEv20rocsparse_direction_T4_S2_21rocsparse_index_base_PKT2_PKT3_PKS2_S2_S3_PS4_PS7_PS2_
	.p2align	8
	.type	_ZN9rocsparseL35bsr2csr_block_per_row_33_256_kernelILj1024ELj64ELj32EfilEEv20rocsparse_direction_T4_S2_21rocsparse_index_base_PKT2_PKT3_PKS2_S2_S3_PS4_PS7_PS2_,@function
_ZN9rocsparseL35bsr2csr_block_per_row_33_256_kernelILj1024ELj64ELj32EfilEEv20rocsparse_direction_T4_S2_21rocsparse_index_base_PKT2_PKT3_PKS2_S2_S3_PS4_PS7_PS2_: ; @_ZN9rocsparseL35bsr2csr_block_per_row_33_256_kernelILj1024ELj64ELj32EfilEEv20rocsparse_direction_T4_S2_21rocsparse_index_base_PKT2_PKT3_PKS2_S2_S3_PS4_PS7_PS2_
; %bb.0:
	s_load_dwordx2 s[0:1], s[4:5], 0x28
	s_mov_b32 s7, 0
	s_clause 0x1
	s_load_dword s16, s[4:5], 0x40
	s_load_dwordx2 s[12:13], s[4:5], 0x50
	s_lshl_b64 s[2:3], s[6:7], 2
	v_or_b32_e32 v1, s6, v0
	s_waitcnt lgkmcnt(0)
	s_add_u32 s0, s0, s2
	s_addc_u32 s1, s1, s3
	s_load_dwordx2 s[2:3], s[0:1], 0x0
	s_mov_b32 s0, exec_lo
	v_cmpx_eq_u32_e32 0, v1
	s_cbranch_execz .LBB140_2
; %bb.1:
	v_mov_b32_e32 v1, 0
	v_mov_b32_e32 v2, s16
	global_store_dword v1, v2, s[12:13]
.LBB140_2:
	s_or_b32 exec_lo, exec_lo, s0
	s_clause 0x1
	s_load_dword s17, s[4:5], 0x18
	s_load_dwordx2 s[8:9], s[4:5], 0x38
	v_mov_b32_e32 v5, 0
	v_lshrrev_b32_e32 v4, 5, v0
	v_lshlrev_b32_e32 v9, 2, v4
	s_waitcnt lgkmcnt(0)
	s_sub_i32 s10, s2, s17
	s_sub_i32 s18, s3, s17
	s_mul_i32 s7, s8, s9
	s_mul_hi_u32 s1, s8, s8
	s_mul_i32 s15, s9, s6
	s_mul_hi_u32 s19, s8, s6
	s_mul_i32 s0, s8, s6
	s_add_i32 s6, s1, s7
	s_sub_i32 s22, s18, s10
	s_add_i32 s1, s19, s15
	s_add_i32 s15, s6, s7
	s_mul_i32 s19, s8, s22
	s_lshl_b64 s[6:7], s[0:1], 2
	v_cmp_gt_i64_e64 s0, s[8:9], v[4:5]
	s_mul_i32 s14, s8, s8
	s_add_i32 s20, s16, s19
	s_add_u32 s6, s12, s6
	s_mul_i32 s11, s14, s10
	s_addc_u32 s7, s13, s7
	s_and_saveexec_b32 s1, s0
	s_cbranch_execz .LBB140_4
; %bb.3:
	v_mul_lo_u32 v1, v4, s19
	v_add3_u32 v1, s20, s11, v1
	global_store_dword v9, v1, s[6:7] offset:4
.LBB140_4:
	s_or_b32 exec_lo, exec_lo, s1
	v_or_b32_e32 v6, 32, v4
	v_mov_b32_e32 v7, v5
	v_cmp_gt_i64_e64 s1, s[8:9], v[6:7]
	s_and_saveexec_b32 s12, s1
	s_cbranch_execz .LBB140_6
; %bb.5:
	v_mul_lo_u32 v1, v6, s19
	v_add3_u32 v1, s20, s11, v1
	global_store_dword v9, v1, s[6:7] offset:132
.LBB140_6:
	s_or_b32 exec_lo, exec_lo, s12
	s_cmp_lt_i32 s2, s3
	s_cbranch_scc0 .LBB140_17
; %bb.7:
	s_clause 0x2
	s_load_dwordx2 s[12:13], s[4:5], 0x30
	s_load_dwordx2 s[6:7], s[4:5], 0x48
	s_load_dword s11, s[4:5], 0x0
	v_and_b32_e32 v0, 31, v0
	v_mov_b32_e32 v1, 0
	s_mul_hi_u32 s23, s8, s10
	s_mul_i32 s24, s8, s10
	s_mul_i32 s25, s9, s10
	v_or_b32_e32 v2, 32, v0
	v_mov_b32_e32 v3, v1
	v_cmp_gt_i64_e64 s2, s[8:9], v[0:1]
	v_mad_u64_u32 v[11:12], null, v6, s22, s[24:25]
	v_mad_u64_u32 v[13:14], null, v4, s22, s[24:25]
	v_cmp_gt_i64_e64 s3, s[8:9], v[2:3]
	v_lshlrev_b32_e32 v5, 2, v0
	v_mov_b32_e32 v10, v1
	v_mov_b32_e32 v6, v1
	v_mul_lo_u32 v11, s8, v11
	v_mul_lo_u32 v13, s8, v13
	s_waitcnt lgkmcnt(0)
	s_cmp_eq_u32 s11, 0
	s_cselect_b32 vcc_lo, -1, 0
	s_ashr_i32 s11, s10, 31
	s_and_b32 s19, s0, s2
	s_and_b32 s20, s0, s3
	s_and_b32 s21, s1, s2
	s_and_b32 s1, s1, s3
	s_lshl_b64 s[2:3], s[10:11], 3
	s_mul_i32 s0, s8, s11
	s_add_u32 s2, s12, s2
	s_addc_u32 s3, s13, s3
	s_add_i32 s0, s23, s0
	s_load_dwordx2 s[12:13], s[4:5], 0x20
	s_add_i32 s25, s0, s25
	s_load_dwordx2 s[4:5], s[4:5], 0x58
	s_lshl_b64 s[22:23], s[24:25], 2
	s_mov_b32 s11, s8
	v_add_co_u32 v7, s0, s22, v9
	v_add_co_ci_u32_e64 v8, null, s23, 0, s0
	s_lshl_b64 s[14:15], s[14:15], 2
	v_add_co_u32 v3, s0, 0x80, v7
	v_add_co_ci_u32_e64 v4, null, 0, v8, s0
	v_add_co_u32 v12, s0, s22, v5
	v_add_co_ci_u32_e64 v16, null, s23, 0, s0
	v_mul_lo_u32 v14, s8, v4
	v_add_co_u32 v17, s0, 0x80, v12
	v_add_co_ci_u32_e64 v18, null, 0, v16, s0
	v_mul_lo_u32 v15, s9, v3
	v_mad_u64_u32 v[3:4], null, s8, v3, v[5:6]
	v_mul_lo_u32 v19, s8, v8
	v_mul_lo_u32 v20, s9, v7
	v_mad_u64_u32 v[5:6], null, s8, v7, v[5:6]
	v_mul_lo_u32 v18, s8, v18
	;; [unrolled: 3-line block ×3, first 2 shown]
	v_mul_lo_u32 v17, s9, v12
	v_mad_u64_u32 v[9:10], null, s8, v12, v[9:10]
	v_mov_b32_e32 v12, v0
	v_add3_u32 v4, v15, v4, v14
	v_add3_u32 v6, v20, v6, v19
	;; [unrolled: 1-line block ×4, first 2 shown]
	s_branch .LBB140_9
.LBB140_8:                              ;   in Loop: Header=BB140_9 Depth=1
	s_or_b32 exec_lo, exec_lo, s24
	s_add_i32 s10, s10, 1
	v_add_co_u32 v1, s0, v1, 0
	s_add_u32 s2, s2, 8
	v_add_co_ci_u32_e64 v12, null, s11, v12, s0
	s_addc_u32 s3, s3, 0
	s_add_u32 s12, s12, s14
	s_addc_u32 s13, s13, s15
	s_cmp_ge_i32 s10, s18
	s_cbranch_scc1 .LBB140_17
.LBB140_9:                              ; =>This Inner Loop Header: Depth=1
	s_load_dwordx2 s[22:23], s[2:3], 0x0
	s_waitcnt lgkmcnt(0)
	s_sub_u32 s0, s22, s17
	s_subb_u32 s23, s23, 0
	s_mul_i32 s22, s0, s9
	s_mul_hi_u32 s24, s0, s8
	s_mul_i32 s23, s23, s8
	s_add_i32 s22, s24, s22
	s_mul_i32 s0, s0, s8
	s_add_i32 s23, s22, s23
	s_add_u32 s22, s0, s16
	s_addc_u32 s23, s23, 0
	s_and_saveexec_b32 s24, s19
	s_cbranch_execnz .LBB140_13
; %bb.10:                               ;   in Loop: Header=BB140_9 Depth=1
	s_or_b32 exec_lo, exec_lo, s24
	s_and_saveexec_b32 s24, s20
	s_cbranch_execnz .LBB140_14
.LBB140_11:                             ;   in Loop: Header=BB140_9 Depth=1
	s_or_b32 exec_lo, exec_lo, s24
	s_and_saveexec_b32 s24, s21
	s_cbranch_execnz .LBB140_15
.LBB140_12:                             ;   in Loop: Header=BB140_9 Depth=1
	s_or_b32 exec_lo, exec_lo, s24
	s_and_saveexec_b32 s24, s1
	s_cbranch_execz .LBB140_8
	s_branch .LBB140_16
.LBB140_13:                             ;   in Loop: Header=BB140_9 Depth=1
	v_add_co_u32 v14, s0, s12, v5
	v_add_co_ci_u32_e64 v15, null, s13, v6, s0
	v_add_co_u32 v16, s0, s12, v9
	v_add_co_ci_u32_e64 v17, null, s13, v10, s0
	v_cndmask_b32_e32 v14, v16, v14, vcc_lo
	v_cndmask_b32_e32 v15, v17, v15, vcc_lo
	global_load_dword v20, v[14:15], off
	v_add_co_u32 v14, s0, 0, v1
	v_add_co_ci_u32_e64 v15, null, v13, v12, s0
	v_add_co_u32 v18, s0, s22, v0
	v_add_co_ci_u32_e64 v19, null, s23, 0, s0
	v_ashrrev_i64 v[16:17], 29, v[14:15]
	v_ashrrev_i64 v[14:15], 30, v[14:15]
	v_add_co_u32 v16, s0, s4, v16
	v_add_co_ci_u32_e64 v17, null, s5, v17, s0
	v_add_co_u32 v14, s0, s6, v14
	v_add_co_ci_u32_e64 v15, null, s7, v15, s0
	global_store_dwordx2 v[16:17], v[18:19], off
	s_waitcnt vmcnt(0)
	global_store_dword v[14:15], v20, off
	s_or_b32 exec_lo, exec_lo, s24
	s_and_saveexec_b32 s24, s20
	s_cbranch_execz .LBB140_11
.LBB140_14:                             ;   in Loop: Header=BB140_9 Depth=1
	v_add_co_u32 v14, s0, s12, v5
	v_add_co_ci_u32_e64 v15, null, s13, v6, s0
	v_add_co_u32 v14, s0, 0x80, v14
	v_add_co_ci_u32_e64 v15, null, 0, v15, s0
	;; [unrolled: 2-line block ×3, first 2 shown]
	v_cndmask_b32_e32 v14, v16, v14, vcc_lo
	v_cndmask_b32_e32 v15, v17, v15, vcc_lo
	global_load_dword v20, v[14:15], off
	v_add_co_u32 v14, s0, 0, v1
	v_add_co_ci_u32_e64 v15, null, v13, v12, s0
	v_add_co_u32 v18, s0, s22, v2
	v_add_co_ci_u32_e64 v19, null, s23, 0, s0
	v_add_nc_u32_e32 v15, 32, v15
	v_ashrrev_i64 v[16:17], 29, v[14:15]
	v_ashrrev_i64 v[14:15], 30, v[14:15]
	v_add_co_u32 v16, s0, s4, v16
	v_add_co_ci_u32_e64 v17, null, s5, v17, s0
	v_add_co_u32 v14, s0, s6, v14
	v_add_co_ci_u32_e64 v15, null, s7, v15, s0
	global_store_dwordx2 v[16:17], v[18:19], off
	s_waitcnt vmcnt(0)
	global_store_dword v[14:15], v20, off
	s_or_b32 exec_lo, exec_lo, s24
	s_and_saveexec_b32 s24, s21
	s_cbranch_execz .LBB140_12
.LBB140_15:                             ;   in Loop: Header=BB140_9 Depth=1
	v_add_co_u32 v14, s0, s12, v9
	v_add_co_ci_u32_e64 v15, null, s13, v10, s0
	v_add_co_u32 v16, s0, s12, v3
	v_add_co_ci_u32_e64 v17, null, s13, v4, s0
	;; [unrolled: 2-line block ×3, first 2 shown]
	v_cndmask_b32_e32 v14, v14, v16, vcc_lo
	v_cndmask_b32_e32 v15, v15, v17, vcc_lo
	global_load_dword v20, v[14:15], off
	v_add_co_u32 v14, s0, 0, v1
	v_add_co_ci_u32_e64 v15, null, v11, v12, s0
	v_add_co_u32 v18, s0, s22, v0
	v_add_co_ci_u32_e64 v19, null, s23, 0, s0
	v_ashrrev_i64 v[16:17], 29, v[14:15]
	v_ashrrev_i64 v[14:15], 30, v[14:15]
	v_add_co_u32 v16, s0, s4, v16
	v_add_co_ci_u32_e64 v17, null, s5, v17, s0
	v_add_co_u32 v14, s0, s6, v14
	v_add_co_ci_u32_e64 v15, null, s7, v15, s0
	global_store_dwordx2 v[16:17], v[18:19], off
	s_waitcnt vmcnt(0)
	global_store_dword v[14:15], v20, off
	s_or_b32 exec_lo, exec_lo, s24
	s_and_saveexec_b32 s24, s1
	s_cbranch_execz .LBB140_8
.LBB140_16:                             ;   in Loop: Header=BB140_9 Depth=1
	v_add_co_u32 v14, s0, s12, v3
	v_add_co_ci_u32_e64 v15, null, s13, v4, s0
	v_add_co_u32 v16, s0, s12, v7
	v_add_co_ci_u32_e64 v17, null, s13, v8, s0
	v_cndmask_b32_e32 v14, v16, v14, vcc_lo
	v_cndmask_b32_e32 v15, v17, v15, vcc_lo
	global_load_dword v20, v[14:15], off offset:128
	v_add_co_u32 v14, s0, 0, v1
	v_add_co_ci_u32_e64 v15, null, v11, v12, s0
	v_add_co_u32 v18, s0, s22, v2
	v_add_co_ci_u32_e64 v19, null, s23, 0, s0
	v_add_nc_u32_e32 v15, 32, v15
	v_ashrrev_i64 v[16:17], 29, v[14:15]
	v_ashrrev_i64 v[14:15], 30, v[14:15]
	v_add_co_u32 v16, s0, s4, v16
	v_add_co_ci_u32_e64 v17, null, s5, v17, s0
	v_add_co_u32 v14, s0, s6, v14
	v_add_co_ci_u32_e64 v15, null, s7, v15, s0
	global_store_dwordx2 v[16:17], v[18:19], off
	s_waitcnt vmcnt(0)
	global_store_dword v[14:15], v20, off
	s_branch .LBB140_8
.LBB140_17:
	s_endpgm
	.section	.rodata,"a",@progbits
	.p2align	6, 0x0
	.amdhsa_kernel _ZN9rocsparseL35bsr2csr_block_per_row_33_256_kernelILj1024ELj64ELj32EfilEEv20rocsparse_direction_T4_S2_21rocsparse_index_base_PKT2_PKT3_PKS2_S2_S3_PS4_PS7_PS2_
		.amdhsa_group_segment_fixed_size 0
		.amdhsa_private_segment_fixed_size 0
		.amdhsa_kernarg_size 96
		.amdhsa_user_sgpr_count 6
		.amdhsa_user_sgpr_private_segment_buffer 1
		.amdhsa_user_sgpr_dispatch_ptr 0
		.amdhsa_user_sgpr_queue_ptr 0
		.amdhsa_user_sgpr_kernarg_segment_ptr 1
		.amdhsa_user_sgpr_dispatch_id 0
		.amdhsa_user_sgpr_flat_scratch_init 0
		.amdhsa_user_sgpr_private_segment_size 0
		.amdhsa_wavefront_size32 1
		.amdhsa_uses_dynamic_stack 0
		.amdhsa_system_sgpr_private_segment_wavefront_offset 0
		.amdhsa_system_sgpr_workgroup_id_x 1
		.amdhsa_system_sgpr_workgroup_id_y 0
		.amdhsa_system_sgpr_workgroup_id_z 0
		.amdhsa_system_sgpr_workgroup_info 0
		.amdhsa_system_vgpr_workitem_id 0
		.amdhsa_next_free_vgpr 22
		.amdhsa_next_free_sgpr 26
		.amdhsa_reserve_vcc 1
		.amdhsa_reserve_flat_scratch 0
		.amdhsa_float_round_mode_32 0
		.amdhsa_float_round_mode_16_64 0
		.amdhsa_float_denorm_mode_32 3
		.amdhsa_float_denorm_mode_16_64 3
		.amdhsa_dx10_clamp 1
		.amdhsa_ieee_mode 1
		.amdhsa_fp16_overflow 0
		.amdhsa_workgroup_processor_mode 1
		.amdhsa_memory_ordered 1
		.amdhsa_forward_progress 1
		.amdhsa_shared_vgpr_count 0
		.amdhsa_exception_fp_ieee_invalid_op 0
		.amdhsa_exception_fp_denorm_src 0
		.amdhsa_exception_fp_ieee_div_zero 0
		.amdhsa_exception_fp_ieee_overflow 0
		.amdhsa_exception_fp_ieee_underflow 0
		.amdhsa_exception_fp_ieee_inexact 0
		.amdhsa_exception_int_div_zero 0
	.end_amdhsa_kernel
	.section	.text._ZN9rocsparseL35bsr2csr_block_per_row_33_256_kernelILj1024ELj64ELj32EfilEEv20rocsparse_direction_T4_S2_21rocsparse_index_base_PKT2_PKT3_PKS2_S2_S3_PS4_PS7_PS2_,"axG",@progbits,_ZN9rocsparseL35bsr2csr_block_per_row_33_256_kernelILj1024ELj64ELj32EfilEEv20rocsparse_direction_T4_S2_21rocsparse_index_base_PKT2_PKT3_PKS2_S2_S3_PS4_PS7_PS2_,comdat
.Lfunc_end140:
	.size	_ZN9rocsparseL35bsr2csr_block_per_row_33_256_kernelILj1024ELj64ELj32EfilEEv20rocsparse_direction_T4_S2_21rocsparse_index_base_PKT2_PKT3_PKS2_S2_S3_PS4_PS7_PS2_, .Lfunc_end140-_ZN9rocsparseL35bsr2csr_block_per_row_33_256_kernelILj1024ELj64ELj32EfilEEv20rocsparse_direction_T4_S2_21rocsparse_index_base_PKT2_PKT3_PKS2_S2_S3_PS4_PS7_PS2_
                                        ; -- End function
	.set _ZN9rocsparseL35bsr2csr_block_per_row_33_256_kernelILj1024ELj64ELj32EfilEEv20rocsparse_direction_T4_S2_21rocsparse_index_base_PKT2_PKT3_PKS2_S2_S3_PS4_PS7_PS2_.num_vgpr, 22
	.set _ZN9rocsparseL35bsr2csr_block_per_row_33_256_kernelILj1024ELj64ELj32EfilEEv20rocsparse_direction_T4_S2_21rocsparse_index_base_PKT2_PKT3_PKS2_S2_S3_PS4_PS7_PS2_.num_agpr, 0
	.set _ZN9rocsparseL35bsr2csr_block_per_row_33_256_kernelILj1024ELj64ELj32EfilEEv20rocsparse_direction_T4_S2_21rocsparse_index_base_PKT2_PKT3_PKS2_S2_S3_PS4_PS7_PS2_.numbered_sgpr, 26
	.set _ZN9rocsparseL35bsr2csr_block_per_row_33_256_kernelILj1024ELj64ELj32EfilEEv20rocsparse_direction_T4_S2_21rocsparse_index_base_PKT2_PKT3_PKS2_S2_S3_PS4_PS7_PS2_.num_named_barrier, 0
	.set _ZN9rocsparseL35bsr2csr_block_per_row_33_256_kernelILj1024ELj64ELj32EfilEEv20rocsparse_direction_T4_S2_21rocsparse_index_base_PKT2_PKT3_PKS2_S2_S3_PS4_PS7_PS2_.private_seg_size, 0
	.set _ZN9rocsparseL35bsr2csr_block_per_row_33_256_kernelILj1024ELj64ELj32EfilEEv20rocsparse_direction_T4_S2_21rocsparse_index_base_PKT2_PKT3_PKS2_S2_S3_PS4_PS7_PS2_.uses_vcc, 1
	.set _ZN9rocsparseL35bsr2csr_block_per_row_33_256_kernelILj1024ELj64ELj32EfilEEv20rocsparse_direction_T4_S2_21rocsparse_index_base_PKT2_PKT3_PKS2_S2_S3_PS4_PS7_PS2_.uses_flat_scratch, 0
	.set _ZN9rocsparseL35bsr2csr_block_per_row_33_256_kernelILj1024ELj64ELj32EfilEEv20rocsparse_direction_T4_S2_21rocsparse_index_base_PKT2_PKT3_PKS2_S2_S3_PS4_PS7_PS2_.has_dyn_sized_stack, 0
	.set _ZN9rocsparseL35bsr2csr_block_per_row_33_256_kernelILj1024ELj64ELj32EfilEEv20rocsparse_direction_T4_S2_21rocsparse_index_base_PKT2_PKT3_PKS2_S2_S3_PS4_PS7_PS2_.has_recursion, 0
	.set _ZN9rocsparseL35bsr2csr_block_per_row_33_256_kernelILj1024ELj64ELj32EfilEEv20rocsparse_direction_T4_S2_21rocsparse_index_base_PKT2_PKT3_PKS2_S2_S3_PS4_PS7_PS2_.has_indirect_call, 0
	.section	.AMDGPU.csdata,"",@progbits
; Kernel info:
; codeLenInByte = 1544
; TotalNumSgprs: 28
; NumVgprs: 22
; ScratchSize: 0
; MemoryBound: 0
; FloatMode: 240
; IeeeMode: 1
; LDSByteSize: 0 bytes/workgroup (compile time only)
; SGPRBlocks: 0
; VGPRBlocks: 2
; NumSGPRsForWavesPerEU: 28
; NumVGPRsForWavesPerEU: 22
; Occupancy: 16
; WaveLimiterHint : 1
; COMPUTE_PGM_RSRC2:SCRATCH_EN: 0
; COMPUTE_PGM_RSRC2:USER_SGPR: 6
; COMPUTE_PGM_RSRC2:TRAP_HANDLER: 0
; COMPUTE_PGM_RSRC2:TGID_X_EN: 1
; COMPUTE_PGM_RSRC2:TGID_Y_EN: 0
; COMPUTE_PGM_RSRC2:TGID_Z_EN: 0
; COMPUTE_PGM_RSRC2:TIDIG_COMP_CNT: 0
	.section	.text._ZN9rocsparseL35bsr2csr_block_per_row_33_256_kernelILj1024ELj128ELj32EfilEEv20rocsparse_direction_T4_S2_21rocsparse_index_base_PKT2_PKT3_PKS2_S2_S3_PS4_PS7_PS2_,"axG",@progbits,_ZN9rocsparseL35bsr2csr_block_per_row_33_256_kernelILj1024ELj128ELj32EfilEEv20rocsparse_direction_T4_S2_21rocsparse_index_base_PKT2_PKT3_PKS2_S2_S3_PS4_PS7_PS2_,comdat
	.globl	_ZN9rocsparseL35bsr2csr_block_per_row_33_256_kernelILj1024ELj128ELj32EfilEEv20rocsparse_direction_T4_S2_21rocsparse_index_base_PKT2_PKT3_PKS2_S2_S3_PS4_PS7_PS2_ ; -- Begin function _ZN9rocsparseL35bsr2csr_block_per_row_33_256_kernelILj1024ELj128ELj32EfilEEv20rocsparse_direction_T4_S2_21rocsparse_index_base_PKT2_PKT3_PKS2_S2_S3_PS4_PS7_PS2_
	.p2align	8
	.type	_ZN9rocsparseL35bsr2csr_block_per_row_33_256_kernelILj1024ELj128ELj32EfilEEv20rocsparse_direction_T4_S2_21rocsparse_index_base_PKT2_PKT3_PKS2_S2_S3_PS4_PS7_PS2_,@function
_ZN9rocsparseL35bsr2csr_block_per_row_33_256_kernelILj1024ELj128ELj32EfilEEv20rocsparse_direction_T4_S2_21rocsparse_index_base_PKT2_PKT3_PKS2_S2_S3_PS4_PS7_PS2_: ; @_ZN9rocsparseL35bsr2csr_block_per_row_33_256_kernelILj1024ELj128ELj32EfilEEv20rocsparse_direction_T4_S2_21rocsparse_index_base_PKT2_PKT3_PKS2_S2_S3_PS4_PS7_PS2_
; %bb.0:
	s_load_dwordx2 s[0:1], s[4:5], 0x28
	s_mov_b32 s7, 0
	s_clause 0x1
	s_load_dword s22, s[4:5], 0x40
	s_load_dwordx2 s[2:3], s[4:5], 0x50
	s_lshl_b64 s[8:9], s[6:7], 2
	v_or_b32_e32 v1, s6, v0
	s_waitcnt lgkmcnt(0)
	s_add_u32 s0, s0, s8
	s_addc_u32 s1, s1, s9
	s_load_dwordx2 s[8:9], s[0:1], 0x0
	s_mov_b32 s0, exec_lo
	v_cmpx_eq_u32_e32 0, v1
	s_cbranch_execz .LBB141_2
; %bb.1:
	v_mov_b32_e32 v1, 0
	v_mov_b32_e32 v2, s22
	global_store_dword v1, v2, s[2:3]
.LBB141_2:
	s_or_b32 exec_lo, exec_lo, s0
	s_clause 0x1
	s_load_dword s23, s[4:5], 0x18
	s_load_dwordx2 s[10:11], s[4:5], 0x38
	v_mov_b32_e32 v9, 0
	v_lshrrev_b32_e32 v8, 5, v0
	v_lshlrev_b32_e32 v21, 2, v8
	s_waitcnt lgkmcnt(0)
	s_sub_i32 s12, s8, s23
	s_sub_i32 s24, s9, s23
	s_mul_i32 s7, s10, s11
	s_mul_hi_u32 s1, s10, s10
	s_mul_i32 s14, s11, s6
	s_mul_hi_u32 s15, s10, s6
	s_mul_i32 s0, s10, s6
	s_add_i32 s6, s1, s7
	s_sub_i32 s39, s24, s12
	s_add_i32 s1, s15, s14
	s_add_i32 s19, s6, s7
	s_mul_i32 s14, s10, s39
	s_lshl_b64 s[6:7], s[0:1], 2
	v_cmp_gt_i64_e64 s0, s[10:11], v[8:9]
	s_mul_i32 s18, s10, s10
	s_add_i32 s15, s22, s14
	s_add_u32 s6, s2, s6
	s_mul_i32 s13, s18, s12
	s_addc_u32 s7, s3, s7
	s_and_saveexec_b32 s1, s0
	s_cbranch_execz .LBB141_4
; %bb.3:
	v_mul_lo_u32 v1, v8, s14
	v_add3_u32 v1, s15, s13, v1
	global_store_dword v21, v1, s[6:7] offset:4
.LBB141_4:
	s_or_b32 exec_lo, exec_lo, s1
	v_or_b32_e32 v10, 32, v8
	v_mov_b32_e32 v11, v9
	v_cmp_gt_i64_e64 s2, s[10:11], v[10:11]
	s_and_saveexec_b32 s1, s2
	s_cbranch_execz .LBB141_6
; %bb.5:
	v_mul_lo_u32 v1, v10, s14
	v_add3_u32 v1, s15, s13, v1
	global_store_dword v21, v1, s[6:7] offset:132
.LBB141_6:
	s_or_b32 exec_lo, exec_lo, s1
	v_or_b32_e32 v11, 64, v8
	v_mov_b32_e32 v12, v9
	v_cmp_gt_i64_e64 s1, s[10:11], v[11:12]
	;; [unrolled: 11-line block ×3, first 2 shown]
	s_and_saveexec_b32 s16, s3
	s_cbranch_execz .LBB141_10
; %bb.9:
	v_mul_lo_u32 v1, v12, s14
	v_add3_u32 v1, s15, s13, v1
	global_store_dword v21, v1, s[6:7] offset:388
.LBB141_10:
	s_or_b32 exec_lo, exec_lo, s16
	s_cmp_lt_i32 s8, s9
	s_cbranch_scc0 .LBB141_45
; %bb.11:
	s_clause 0x2
	s_load_dwordx2 s[20:21], s[4:5], 0x30
	s_load_dwordx2 s[14:15], s[4:5], 0x48
	s_load_dword s13, s[4:5], 0x0
	v_and_b32_e32 v0, 31, v0
	v_mov_b32_e32 v1, 0
	s_mul_i32 s40, s10, s12
	s_load_dwordx2 s[16:17], s[4:5], 0x20
	v_mad_u64_u32 v[12:13], null, v12, s39, s[40:41]
	v_or_b32_e32 v2, 32, v0
	v_mov_b32_e32 v3, v1
	v_or_b32_e32 v4, 64, v0
	v_mov_b32_e32 v5, v1
	;; [unrolled: 2-line block ×3, first 2 shown]
	v_cmp_gt_i64_e64 s6, s[10:11], v[0:1]
	v_cmp_gt_i64_e64 s7, s[10:11], v[2:3]
	;; [unrolled: 1-line block ×3, first 2 shown]
	v_mad_u64_u32 v[12:13], null, s10, v12, 0x60
	v_cmp_gt_i64_e64 s9, s[10:11], v[6:7]
	v_mad_u64_u32 v[13:14], null, v11, s39, s[40:41]
	s_waitcnt lgkmcnt(0)
	s_cmp_eq_u32 s13, 0
	v_mad_u64_u32 v[9:10], null, v10, s39, s[40:41]
	s_cselect_b32 vcc_lo, -1, 0
	s_ashr_i32 s13, s12, 31
	s_and_b32 s27, s0, s8
	s_and_b32 s28, s0, s9
	;; [unrolled: 1-line block ×14, first 2 shown]
	s_lshl_b64 s[2:3], s[12:13], 3
	s_and_b32 s25, s0, s6
	s_and_b32 s26, s0, s7
	s_mul_hi_u32 s0, s10, s12
	s_mul_i32 s6, s10, s13
	s_add_u32 s2, s20, s2
	s_addc_u32 s3, s21, s3
	s_add_i32 s0, s0, s6
	s_mul_i32 s6, s11, s12
	v_mad_u64_u32 v[7:8], null, v8, s39, s[40:41]
	s_add_i32 s41, s0, s6
	v_mul_lo_u32 v24, s10, v13
	s_lshl_b64 s[6:7], s[40:41], 2
	v_lshlrev_b32_e32 v13, 2, v0
	v_add_co_u32 v15, s0, s6, v21
	v_add_co_ci_u32_e64 v16, null, s7, 0, s0
	v_mul_lo_u32 v28, s10, v7
	v_add_co_u32 v7, s0, 0x180, v15
	v_mul_lo_u32 v26, s10, v9
	v_add_co_ci_u32_e64 v8, null, 0, v16, s0
	v_add_co_u32 v9, s0, 0x100, v15
	v_add_co_ci_u32_e64 v10, null, 0, v16, s0
	v_add_co_u32 v11, s0, 0x80, v15
	v_mov_b32_e32 v23, v12
	v_add_co_ci_u32_e64 v12, null, 0, v16, s0
	v_add_co_u32 v35, s0, s6, v13
	v_add_co_ci_u32_e64 v36, null, s7, 0, s0
	v_mov_b32_e32 v14, v1
	v_mov_b32_e32 v22, v1
	v_add_co_u32 v17, s0, 0x180, v35
	v_add_co_ci_u32_e64 v18, null, 0, v36, s0
	v_mov_b32_e32 v25, v1
	v_mov_b32_e32 v27, v1
	;; [unrolled: 1-line block ×3, first 2 shown]
	v_mul_lo_u32 v1, s10, v8
	v_mul_lo_u32 v30, s11, v7
	v_mad_u64_u32 v[7:8], null, s10, v7, v[13:14]
	v_mul_lo_u32 v31, s10, v10
	v_mul_lo_u32 v32, s11, v9
	v_mad_u64_u32 v[9:10], null, s10, v9, v[13:14]
	;; [unrolled: 3-line block ×4, first 2 shown]
	v_mul_lo_u32 v40, s11, v17
	v_mad_u64_u32 v[15:16], null, s10, v17, v[21:22]
	v_add_co_u32 v17, s0, 0x100, v35
	s_load_dwordx2 s[4:5], s[4:5], 0x58
	v_mul_lo_u32 v39, s10, v18
	v_add_co_ci_u32_e64 v18, null, 0, v36, s0
	v_add_co_u32 v19, s0, 0x80, v35
	v_add_co_ci_u32_e64 v20, null, 0, v36, s0
	v_mul_lo_u32 v41, s10, v18
	v_mul_lo_u32 v42, s11, v17
	v_mad_u64_u32 v[17:18], null, s10, v17, v[21:22]
	v_mul_lo_u32 v43, s10, v20
	v_mul_lo_u32 v44, s11, v19
	v_mad_u64_u32 v[19:20], null, s10, v19, v[21:22]
	;; [unrolled: 3-line block ×3, first 2 shown]
	v_mov_b32_e32 v3, v0
	v_add3_u32 v8, v30, v8, v1
	v_add3_u32 v10, v32, v10, v31
	;; [unrolled: 1-line block ×8, first 2 shown]
	s_mov_b32 s13, s10
	s_lshl_b64 s[6:7], s[18:19], 2
	s_branch .LBB141_13
.LBB141_12:                             ;   in Loop: Header=BB141_13 Depth=1
	s_or_b32 exec_lo, exec_lo, s20
	v_add_co_u32 v5, s0, v5, 0
	v_add_co_ci_u32_e64 v23, null, s13, v23, s0
	v_add_co_u32 v25, s0, v25, 0
	v_add_co_ci_u32_e64 v24, null, s13, v24, s0
	v_add_co_u32 v27, s0, v27, 0
	s_add_i32 s12, s12, 1
	v_add_co_ci_u32_e64 v26, null, s13, v26, s0
	v_add_co_u32 v29, s0, v29, 0
	s_add_u32 s2, s2, 8
	v_add_co_ci_u32_e64 v28, null, s13, v28, s0
	s_addc_u32 s3, s3, 0
	s_add_u32 s16, s16, s6
	s_addc_u32 s17, s17, s7
	s_cmp_ge_i32 s12, s24
	s_cbranch_scc1 .LBB141_45
.LBB141_13:                             ; =>This Inner Loop Header: Depth=1
	s_load_dwordx2 s[18:19], s[2:3], 0x0
	s_waitcnt lgkmcnt(0)
	s_sub_u32 s0, s18, s23
	s_subb_u32 s19, s19, 0
	s_mul_i32 s18, s0, s11
	s_mul_hi_u32 s20, s0, s10
	s_mul_i32 s19, s19, s10
	s_add_i32 s18, s20, s18
	s_mul_i32 s0, s0, s10
	s_add_i32 s19, s18, s19
	s_add_u32 s18, s0, s22
	s_addc_u32 s19, s19, 0
	s_and_saveexec_b32 s20, s25
	s_cbranch_execnz .LBB141_29
; %bb.14:                               ;   in Loop: Header=BB141_13 Depth=1
	s_or_b32 exec_lo, exec_lo, s20
	s_and_saveexec_b32 s20, s26
	s_cbranch_execnz .LBB141_30
.LBB141_15:                             ;   in Loop: Header=BB141_13 Depth=1
	s_or_b32 exec_lo, exec_lo, s20
	s_and_saveexec_b32 s20, s27
	s_cbranch_execnz .LBB141_31
.LBB141_16:                             ;   in Loop: Header=BB141_13 Depth=1
	s_or_b32 exec_lo, exec_lo, s20
	s_and_saveexec_b32 s20, s28
	s_cbranch_execnz .LBB141_32
.LBB141_17:                             ;   in Loop: Header=BB141_13 Depth=1
	s_or_b32 exec_lo, exec_lo, s20
	s_and_saveexec_b32 s20, s29
	s_cbranch_execnz .LBB141_33
.LBB141_18:                             ;   in Loop: Header=BB141_13 Depth=1
	s_or_b32 exec_lo, exec_lo, s20
	s_and_saveexec_b32 s20, s30
	s_cbranch_execnz .LBB141_34
.LBB141_19:                             ;   in Loop: Header=BB141_13 Depth=1
	s_or_b32 exec_lo, exec_lo, s20
	s_and_saveexec_b32 s20, s31
	s_cbranch_execnz .LBB141_35
.LBB141_20:                             ;   in Loop: Header=BB141_13 Depth=1
	s_or_b32 exec_lo, exec_lo, s20
	s_and_saveexec_b32 s20, s33
	s_cbranch_execnz .LBB141_36
.LBB141_21:                             ;   in Loop: Header=BB141_13 Depth=1
	s_or_b32 exec_lo, exec_lo, s20
	s_and_saveexec_b32 s20, s34
	s_cbranch_execnz .LBB141_37
.LBB141_22:                             ;   in Loop: Header=BB141_13 Depth=1
	s_or_b32 exec_lo, exec_lo, s20
	s_and_saveexec_b32 s20, s35
	s_cbranch_execnz .LBB141_38
.LBB141_23:                             ;   in Loop: Header=BB141_13 Depth=1
	s_or_b32 exec_lo, exec_lo, s20
	s_and_saveexec_b32 s20, s36
	s_cbranch_execnz .LBB141_39
.LBB141_24:                             ;   in Loop: Header=BB141_13 Depth=1
	s_or_b32 exec_lo, exec_lo, s20
	s_and_saveexec_b32 s20, s1
	s_cbranch_execnz .LBB141_40
.LBB141_25:                             ;   in Loop: Header=BB141_13 Depth=1
	s_or_b32 exec_lo, exec_lo, s20
	s_and_saveexec_b32 s20, s37
	s_cbranch_execnz .LBB141_41
.LBB141_26:                             ;   in Loop: Header=BB141_13 Depth=1
	s_or_b32 exec_lo, exec_lo, s20
	s_and_saveexec_b32 s20, s38
	s_cbranch_execnz .LBB141_42
.LBB141_27:                             ;   in Loop: Header=BB141_13 Depth=1
	s_or_b32 exec_lo, exec_lo, s20
	s_and_saveexec_b32 s20, s8
	s_cbranch_execnz .LBB141_43
.LBB141_28:                             ;   in Loop: Header=BB141_13 Depth=1
	s_or_b32 exec_lo, exec_lo, s20
	s_and_saveexec_b32 s20, s9
	s_cbranch_execz .LBB141_12
	s_branch .LBB141_44
.LBB141_29:                             ;   in Loop: Header=BB141_13 Depth=1
	v_add_co_u32 v1, s0, s16, v13
	v_add_co_ci_u32_e64 v30, null, s17, v14, s0
	v_add_co_u32 v32, s0, s16, v21
	v_add_co_ci_u32_e64 v31, null, s17, v22, s0
	v_cndmask_b32_e32 v31, v31, v30, vcc_lo
	v_cndmask_b32_e32 v30, v32, v1, vcc_lo
	global_load_dword v1, v[30:31], off
	v_add_co_u32 v30, s0, 0, v29
	v_add_co_ci_u32_e64 v31, null, v3, v28, s0
	v_add_co_u32 v34, s0, s18, v0
	v_add_co_ci_u32_e64 v35, null, s19, 0, s0
	v_ashrrev_i64 v[32:33], 29, v[30:31]
	v_ashrrev_i64 v[30:31], 30, v[30:31]
	v_add_co_u32 v32, s0, s4, v32
	v_add_co_ci_u32_e64 v33, null, s5, v33, s0
	v_add_co_u32 v30, s0, s14, v30
	v_add_co_ci_u32_e64 v31, null, s15, v31, s0
	global_store_dwordx2 v[32:33], v[34:35], off
	s_waitcnt vmcnt(0)
	global_store_dword v[30:31], v1, off
	s_or_b32 exec_lo, exec_lo, s20
	s_and_saveexec_b32 s20, s26
	s_cbranch_execz .LBB141_15
.LBB141_30:                             ;   in Loop: Header=BB141_13 Depth=1
	v_add_co_u32 v1, s0, s16, v13
	v_add_co_ci_u32_e64 v30, null, s17, v14, s0
	v_add_co_u32 v1, s0, 0x80, v1
	v_add_co_ci_u32_e64 v30, null, 0, v30, s0
	;; [unrolled: 2-line block ×3, first 2 shown]
	v_cndmask_b32_e32 v31, v31, v30, vcc_lo
	v_cndmask_b32_e32 v30, v32, v1, vcc_lo
	global_load_dword v1, v[30:31], off
	v_add_co_u32 v30, s0, 0, v29
	v_add_co_ci_u32_e64 v31, null, v3, v28, s0
	v_add_co_u32 v34, s0, s18, v2
	v_add_co_ci_u32_e64 v35, null, s19, 0, s0
	v_add_nc_u32_e32 v31, 32, v31
	v_ashrrev_i64 v[32:33], 29, v[30:31]
	v_ashrrev_i64 v[30:31], 30, v[30:31]
	v_add_co_u32 v32, s0, s4, v32
	v_add_co_ci_u32_e64 v33, null, s5, v33, s0
	v_add_co_u32 v30, s0, s14, v30
	v_add_co_ci_u32_e64 v31, null, s15, v31, s0
	global_store_dwordx2 v[32:33], v[34:35], off
	s_waitcnt vmcnt(0)
	global_store_dword v[30:31], v1, off
	s_or_b32 exec_lo, exec_lo, s20
	s_and_saveexec_b32 s20, s27
	s_cbranch_execz .LBB141_16
.LBB141_31:                             ;   in Loop: Header=BB141_13 Depth=1
	v_add_co_u32 v1, s0, s16, v13
	v_add_co_ci_u32_e64 v30, null, s17, v14, s0
	v_add_co_u32 v1, s0, 0x100, v1
	v_add_co_ci_u32_e64 v30, null, 0, v30, s0
	;; [unrolled: 2-line block ×3, first 2 shown]
	v_cndmask_b32_e32 v31, v31, v30, vcc_lo
	v_cndmask_b32_e32 v30, v32, v1, vcc_lo
	global_load_dword v1, v[30:31], off
	v_add_co_u32 v30, s0, 0, v29
	v_add_co_ci_u32_e64 v31, null, v3, v28, s0
	v_add_co_u32 v34, s0, s18, v4
	v_add_co_ci_u32_e64 v35, null, s19, 0, s0
	v_add_nc_u32_e32 v31, 64, v31
	v_ashrrev_i64 v[32:33], 29, v[30:31]
	v_ashrrev_i64 v[30:31], 30, v[30:31]
	v_add_co_u32 v32, s0, s4, v32
	v_add_co_ci_u32_e64 v33, null, s5, v33, s0
	v_add_co_u32 v30, s0, s14, v30
	v_add_co_ci_u32_e64 v31, null, s15, v31, s0
	global_store_dwordx2 v[32:33], v[34:35], off
	s_waitcnt vmcnt(0)
	global_store_dword v[30:31], v1, off
	s_or_b32 exec_lo, exec_lo, s20
	s_and_saveexec_b32 s20, s28
	s_cbranch_execz .LBB141_17
.LBB141_32:                             ;   in Loop: Header=BB141_13 Depth=1
	v_add_co_u32 v1, s0, s16, v13
	v_add_co_ci_u32_e64 v30, null, s17, v14, s0
	v_add_co_u32 v1, s0, 0x180, v1
	v_add_co_ci_u32_e64 v30, null, 0, v30, s0
	;; [unrolled: 2-line block ×3, first 2 shown]
	v_cndmask_b32_e32 v31, v31, v30, vcc_lo
	v_cndmask_b32_e32 v30, v32, v1, vcc_lo
	global_load_dword v1, v[30:31], off
	v_add_co_u32 v30, s0, 0, v29
	v_add_co_ci_u32_e64 v31, null, v3, v28, s0
	v_add_co_u32 v34, s0, s18, v6
	v_add_co_ci_u32_e64 v35, null, s19, 0, s0
	v_add_nc_u32_e32 v31, 0x60, v31
	v_ashrrev_i64 v[32:33], 29, v[30:31]
	v_ashrrev_i64 v[30:31], 30, v[30:31]
	v_add_co_u32 v32, s0, s4, v32
	v_add_co_ci_u32_e64 v33, null, s5, v33, s0
	v_add_co_u32 v30, s0, s14, v30
	v_add_co_ci_u32_e64 v31, null, s15, v31, s0
	global_store_dwordx2 v[32:33], v[34:35], off
	s_waitcnt vmcnt(0)
	global_store_dword v[30:31], v1, off
	s_or_b32 exec_lo, exec_lo, s20
	s_and_saveexec_b32 s20, s29
	s_cbranch_execz .LBB141_18
.LBB141_33:                             ;   in Loop: Header=BB141_13 Depth=1
	v_add_co_u32 v1, s0, s16, v21
	v_add_co_ci_u32_e64 v30, null, s17, v22, s0
	v_add_co_u32 v32, s0, s16, v11
	v_add_co_ci_u32_e64 v31, null, s17, v12, s0
	v_add_co_u32 v1, s0, 0x80, v1
	v_add_co_ci_u32_e64 v30, null, 0, v30, s0
	v_cndmask_b32_e32 v31, v30, v31, vcc_lo
	v_cndmask_b32_e32 v30, v1, v32, vcc_lo
	global_load_dword v1, v[30:31], off
	v_add_co_u32 v30, s0, 0, v27
	v_add_co_ci_u32_e64 v31, null, v3, v26, s0
	v_add_co_u32 v34, s0, s18, v0
	v_add_co_ci_u32_e64 v35, null, s19, 0, s0
	v_ashrrev_i64 v[32:33], 29, v[30:31]
	v_ashrrev_i64 v[30:31], 30, v[30:31]
	v_add_co_u32 v32, s0, s4, v32
	v_add_co_ci_u32_e64 v33, null, s5, v33, s0
	v_add_co_u32 v30, s0, s14, v30
	v_add_co_ci_u32_e64 v31, null, s15, v31, s0
	global_store_dwordx2 v[32:33], v[34:35], off
	s_waitcnt vmcnt(0)
	global_store_dword v[30:31], v1, off
	s_or_b32 exec_lo, exec_lo, s20
	s_and_saveexec_b32 s20, s30
	s_cbranch_execz .LBB141_19
.LBB141_34:                             ;   in Loop: Header=BB141_13 Depth=1
	v_add_co_u32 v1, s0, s16, v11
	v_add_co_ci_u32_e64 v30, null, s17, v12, s0
	v_add_co_u32 v32, s0, s16, v19
	v_add_co_ci_u32_e64 v31, null, s17, v20, s0
	v_cndmask_b32_e32 v31, v31, v30, vcc_lo
	v_cndmask_b32_e32 v30, v32, v1, vcc_lo
	global_load_dword v1, v[30:31], off offset:128
	v_add_co_u32 v30, s0, 0, v27
	v_add_co_ci_u32_e64 v31, null, v3, v26, s0
	v_add_co_u32 v34, s0, s18, v2
	v_add_co_ci_u32_e64 v35, null, s19, 0, s0
	v_add_nc_u32_e32 v31, 32, v31
	v_ashrrev_i64 v[32:33], 29, v[30:31]
	v_ashrrev_i64 v[30:31], 30, v[30:31]
	v_add_co_u32 v32, s0, s4, v32
	v_add_co_ci_u32_e64 v33, null, s5, v33, s0
	v_add_co_u32 v30, s0, s14, v30
	v_add_co_ci_u32_e64 v31, null, s15, v31, s0
	global_store_dwordx2 v[32:33], v[34:35], off
	s_waitcnt vmcnt(0)
	global_store_dword v[30:31], v1, off
	s_or_b32 exec_lo, exec_lo, s20
	s_and_saveexec_b32 s20, s31
	s_cbranch_execz .LBB141_20
.LBB141_35:                             ;   in Loop: Header=BB141_13 Depth=1
	v_add_co_u32 v1, s0, s16, v11
	v_add_co_ci_u32_e64 v30, null, s17, v12, s0
	v_add_co_u32 v31, s0, s16, v17
	v_add_co_ci_u32_e64 v32, null, s17, v18, s0
	;; [unrolled: 2-line block ×4, first 2 shown]
	v_cndmask_b32_e32 v31, v31, v30, vcc_lo
	v_cndmask_b32_e32 v30, v33, v1, vcc_lo
	global_load_dword v1, v[30:31], off
	v_add_co_u32 v30, s0, 0, v27
	v_add_co_ci_u32_e64 v31, null, v3, v26, s0
	v_add_co_u32 v34, s0, s18, v4
	v_add_co_ci_u32_e64 v35, null, s19, 0, s0
	v_add_nc_u32_e32 v31, 64, v31
	v_ashrrev_i64 v[32:33], 29, v[30:31]
	v_ashrrev_i64 v[30:31], 30, v[30:31]
	v_add_co_u32 v32, s0, s4, v32
	v_add_co_ci_u32_e64 v33, null, s5, v33, s0
	v_add_co_u32 v30, s0, s14, v30
	v_add_co_ci_u32_e64 v31, null, s15, v31, s0
	global_store_dwordx2 v[32:33], v[34:35], off
	s_waitcnt vmcnt(0)
	global_store_dword v[30:31], v1, off
	s_or_b32 exec_lo, exec_lo, s20
	s_and_saveexec_b32 s20, s33
	s_cbranch_execz .LBB141_21
.LBB141_36:                             ;   in Loop: Header=BB141_13 Depth=1
	v_add_co_u32 v1, s0, s16, v11
	v_add_co_ci_u32_e64 v30, null, s17, v12, s0
	v_add_co_u32 v31, s0, s16, v15
	v_add_co_ci_u32_e64 v32, null, s17, v16, s0
	;; [unrolled: 2-line block ×4, first 2 shown]
	v_cndmask_b32_e32 v31, v31, v30, vcc_lo
	v_cndmask_b32_e32 v30, v33, v1, vcc_lo
	global_load_dword v1, v[30:31], off
	v_add_co_u32 v30, s0, 0, v27
	v_add_co_ci_u32_e64 v31, null, v3, v26, s0
	v_add_co_u32 v34, s0, s18, v6
	v_add_co_ci_u32_e64 v35, null, s19, 0, s0
	v_add_nc_u32_e32 v31, 0x60, v31
	v_ashrrev_i64 v[32:33], 29, v[30:31]
	v_ashrrev_i64 v[30:31], 30, v[30:31]
	v_add_co_u32 v32, s0, s4, v32
	v_add_co_ci_u32_e64 v33, null, s5, v33, s0
	v_add_co_u32 v30, s0, s14, v30
	v_add_co_ci_u32_e64 v31, null, s15, v31, s0
	global_store_dwordx2 v[32:33], v[34:35], off
	s_waitcnt vmcnt(0)
	global_store_dword v[30:31], v1, off
	s_or_b32 exec_lo, exec_lo, s20
	s_and_saveexec_b32 s20, s34
	s_cbranch_execz .LBB141_22
.LBB141_37:                             ;   in Loop: Header=BB141_13 Depth=1
	v_add_co_u32 v1, s0, s16, v21
	v_add_co_ci_u32_e64 v30, null, s17, v22, s0
	v_add_co_u32 v32, s0, s16, v9
	v_add_co_ci_u32_e64 v31, null, s17, v10, s0
	;; [unrolled: 2-line block ×3, first 2 shown]
	v_cndmask_b32_e32 v31, v30, v31, vcc_lo
	v_cndmask_b32_e32 v30, v1, v32, vcc_lo
	global_load_dword v1, v[30:31], off
	v_add_co_u32 v30, s0, 0, v25
	v_add_co_ci_u32_e64 v31, null, v3, v24, s0
	v_add_co_u32 v34, s0, s18, v0
	v_add_co_ci_u32_e64 v35, null, s19, 0, s0
	v_ashrrev_i64 v[32:33], 29, v[30:31]
	v_ashrrev_i64 v[30:31], 30, v[30:31]
	v_add_co_u32 v32, s0, s4, v32
	v_add_co_ci_u32_e64 v33, null, s5, v33, s0
	v_add_co_u32 v30, s0, s14, v30
	v_add_co_ci_u32_e64 v31, null, s15, v31, s0
	global_store_dwordx2 v[32:33], v[34:35], off
	s_waitcnt vmcnt(0)
	global_store_dword v[30:31], v1, off
	s_or_b32 exec_lo, exec_lo, s20
	s_and_saveexec_b32 s20, s35
	s_cbranch_execz .LBB141_23
.LBB141_38:                             ;   in Loop: Header=BB141_13 Depth=1
	v_add_co_u32 v1, s0, s16, v9
	v_add_co_ci_u32_e64 v30, null, s17, v10, s0
	v_add_co_u32 v31, s0, s16, v19
	v_add_co_ci_u32_e64 v32, null, s17, v20, s0
	v_add_co_u32 v1, s0, 0x80, v1
	v_add_co_ci_u32_e64 v30, null, 0, v30, s0
	v_add_co_u32 v33, s0, 0x100, v31
	v_add_co_ci_u32_e64 v31, null, 0, v32, s0
	v_cndmask_b32_e32 v31, v31, v30, vcc_lo
	v_cndmask_b32_e32 v30, v33, v1, vcc_lo
	global_load_dword v1, v[30:31], off
	v_add_co_u32 v30, s0, 0, v25
	v_add_co_ci_u32_e64 v31, null, v3, v24, s0
	v_add_co_u32 v34, s0, s18, v2
	v_add_co_ci_u32_e64 v35, null, s19, 0, s0
	v_add_nc_u32_e32 v31, 32, v31
	v_ashrrev_i64 v[32:33], 29, v[30:31]
	v_ashrrev_i64 v[30:31], 30, v[30:31]
	v_add_co_u32 v32, s0, s4, v32
	v_add_co_ci_u32_e64 v33, null, s5, v33, s0
	v_add_co_u32 v30, s0, s14, v30
	v_add_co_ci_u32_e64 v31, null, s15, v31, s0
	global_store_dwordx2 v[32:33], v[34:35], off
	s_waitcnt vmcnt(0)
	global_store_dword v[30:31], v1, off
	s_or_b32 exec_lo, exec_lo, s20
	s_and_saveexec_b32 s20, s36
	s_cbranch_execz .LBB141_24
.LBB141_39:                             ;   in Loop: Header=BB141_13 Depth=1
	v_add_co_u32 v1, s0, s16, v9
	v_add_co_ci_u32_e64 v30, null, s17, v10, s0
	v_add_co_u32 v32, s0, s16, v17
	v_add_co_ci_u32_e64 v31, null, s17, v18, s0
	v_cndmask_b32_e32 v31, v31, v30, vcc_lo
	v_cndmask_b32_e32 v30, v32, v1, vcc_lo
	global_load_dword v1, v[30:31], off offset:256
	v_add_co_u32 v30, s0, 0, v25
	v_add_co_ci_u32_e64 v31, null, v3, v24, s0
	v_add_co_u32 v34, s0, s18, v4
	v_add_co_ci_u32_e64 v35, null, s19, 0, s0
	v_add_nc_u32_e32 v31, 64, v31
	v_ashrrev_i64 v[32:33], 29, v[30:31]
	v_ashrrev_i64 v[30:31], 30, v[30:31]
	v_add_co_u32 v32, s0, s4, v32
	v_add_co_ci_u32_e64 v33, null, s5, v33, s0
	v_add_co_u32 v30, s0, s14, v30
	v_add_co_ci_u32_e64 v31, null, s15, v31, s0
	global_store_dwordx2 v[32:33], v[34:35], off
	s_waitcnt vmcnt(0)
	global_store_dword v[30:31], v1, off
	s_or_b32 exec_lo, exec_lo, s20
	s_and_saveexec_b32 s20, s1
	s_cbranch_execz .LBB141_25
.LBB141_40:                             ;   in Loop: Header=BB141_13 Depth=1
	v_add_co_u32 v1, s0, s16, v9
	v_add_co_ci_u32_e64 v30, null, s17, v10, s0
	v_add_co_u32 v31, s0, s16, v15
	v_add_co_ci_u32_e64 v32, null, s17, v16, s0
	;; [unrolled: 2-line block ×4, first 2 shown]
	v_cndmask_b32_e32 v31, v31, v30, vcc_lo
	v_cndmask_b32_e32 v30, v33, v1, vcc_lo
	global_load_dword v1, v[30:31], off
	v_add_co_u32 v30, s0, 0, v25
	v_add_co_ci_u32_e64 v31, null, v3, v24, s0
	v_add_co_u32 v34, s0, s18, v6
	v_add_co_ci_u32_e64 v35, null, s19, 0, s0
	v_add_nc_u32_e32 v31, 0x60, v31
	v_ashrrev_i64 v[32:33], 29, v[30:31]
	v_ashrrev_i64 v[30:31], 30, v[30:31]
	v_add_co_u32 v32, s0, s4, v32
	v_add_co_ci_u32_e64 v33, null, s5, v33, s0
	v_add_co_u32 v30, s0, s14, v30
	v_add_co_ci_u32_e64 v31, null, s15, v31, s0
	global_store_dwordx2 v[32:33], v[34:35], off
	s_waitcnt vmcnt(0)
	global_store_dword v[30:31], v1, off
	s_or_b32 exec_lo, exec_lo, s20
	s_and_saveexec_b32 s20, s37
	s_cbranch_execz .LBB141_26
.LBB141_41:                             ;   in Loop: Header=BB141_13 Depth=1
	v_add_co_u32 v1, s0, s16, v21
	v_add_co_ci_u32_e64 v30, null, s17, v22, s0
	v_add_co_u32 v32, s0, s16, v7
	v_add_co_ci_u32_e64 v31, null, s17, v8, s0
	;; [unrolled: 2-line block ×3, first 2 shown]
	v_cndmask_b32_e32 v31, v30, v31, vcc_lo
	v_cndmask_b32_e32 v30, v1, v32, vcc_lo
	global_load_dword v1, v[30:31], off
	v_add_co_u32 v30, s0, 0, v5
	v_add_co_ci_u32_e64 v31, null, v3, v23, s0
	v_add_co_u32 v34, s0, s18, v0
	v_add_co_ci_u32_e64 v35, null, s19, 0, s0
	v_add_nc_u32_e32 v31, 0xffffffa0, v31
	v_ashrrev_i64 v[32:33], 29, v[30:31]
	v_ashrrev_i64 v[30:31], 30, v[30:31]
	v_add_co_u32 v32, s0, s4, v32
	v_add_co_ci_u32_e64 v33, null, s5, v33, s0
	v_add_co_u32 v30, s0, s14, v30
	v_add_co_ci_u32_e64 v31, null, s15, v31, s0
	global_store_dwordx2 v[32:33], v[34:35], off
	s_waitcnt vmcnt(0)
	global_store_dword v[30:31], v1, off
	s_or_b32 exec_lo, exec_lo, s20
	s_and_saveexec_b32 s20, s38
	s_cbranch_execz .LBB141_27
.LBB141_42:                             ;   in Loop: Header=BB141_13 Depth=1
	v_add_co_u32 v1, s0, s16, v7
	v_add_co_ci_u32_e64 v30, null, s17, v8, s0
	v_add_co_u32 v31, s0, s16, v19
	v_add_co_ci_u32_e64 v32, null, s17, v20, s0
	;; [unrolled: 2-line block ×4, first 2 shown]
	v_cndmask_b32_e32 v31, v31, v30, vcc_lo
	v_cndmask_b32_e32 v30, v33, v1, vcc_lo
	global_load_dword v1, v[30:31], off
	v_add_co_u32 v30, s0, 0, v5
	v_add_co_ci_u32_e64 v31, null, v3, v23, s0
	v_add_co_u32 v34, s0, s18, v2
	v_add_co_ci_u32_e64 v35, null, s19, 0, s0
	v_subrev_nc_u32_e32 v31, 64, v31
	v_ashrrev_i64 v[32:33], 29, v[30:31]
	v_ashrrev_i64 v[30:31], 30, v[30:31]
	v_add_co_u32 v32, s0, s4, v32
	v_add_co_ci_u32_e64 v33, null, s5, v33, s0
	v_add_co_u32 v30, s0, s14, v30
	v_add_co_ci_u32_e64 v31, null, s15, v31, s0
	global_store_dwordx2 v[32:33], v[34:35], off
	s_waitcnt vmcnt(0)
	global_store_dword v[30:31], v1, off
	s_or_b32 exec_lo, exec_lo, s20
	s_and_saveexec_b32 s20, s8
	s_cbranch_execz .LBB141_28
.LBB141_43:                             ;   in Loop: Header=BB141_13 Depth=1
	v_add_co_u32 v1, s0, s16, v7
	v_add_co_ci_u32_e64 v30, null, s17, v8, s0
	v_add_co_u32 v31, s0, s16, v17
	v_add_co_ci_u32_e64 v32, null, s17, v18, s0
	;; [unrolled: 2-line block ×4, first 2 shown]
	v_cndmask_b32_e32 v31, v31, v30, vcc_lo
	v_cndmask_b32_e32 v30, v33, v1, vcc_lo
	global_load_dword v1, v[30:31], off
	v_add_co_u32 v30, s0, 0, v5
	v_add_co_ci_u32_e64 v31, null, v3, v23, s0
	v_add_co_u32 v34, s0, s18, v4
	v_add_co_ci_u32_e64 v35, null, s19, 0, s0
	v_subrev_nc_u32_e32 v31, 32, v31
	v_ashrrev_i64 v[32:33], 29, v[30:31]
	v_ashrrev_i64 v[30:31], 30, v[30:31]
	v_add_co_u32 v32, s0, s4, v32
	v_add_co_ci_u32_e64 v33, null, s5, v33, s0
	v_add_co_u32 v30, s0, s14, v30
	v_add_co_ci_u32_e64 v31, null, s15, v31, s0
	global_store_dwordx2 v[32:33], v[34:35], off
	s_waitcnt vmcnt(0)
	global_store_dword v[30:31], v1, off
	s_or_b32 exec_lo, exec_lo, s20
	s_and_saveexec_b32 s20, s9
	s_cbranch_execz .LBB141_12
.LBB141_44:                             ;   in Loop: Header=BB141_13 Depth=1
	v_add_co_u32 v1, s0, s16, v7
	v_add_co_ci_u32_e64 v30, null, s17, v8, s0
	v_add_co_u32 v32, s0, s16, v15
	v_add_co_ci_u32_e64 v31, null, s17, v16, s0
	v_cndmask_b32_e32 v31, v31, v30, vcc_lo
	v_cndmask_b32_e32 v30, v32, v1, vcc_lo
	global_load_dword v1, v[30:31], off offset:384
	v_add_co_u32 v30, s0, 0, v5
	v_add_co_ci_u32_e64 v31, null, v3, v23, s0
	v_add_co_u32 v34, s0, s18, v6
	v_add_co_ci_u32_e64 v35, null, s19, 0, s0
	v_ashrrev_i64 v[32:33], 29, v[30:31]
	v_ashrrev_i64 v[30:31], 30, v[30:31]
	v_add_co_u32 v32, s0, s4, v32
	v_add_co_ci_u32_e64 v33, null, s5, v33, s0
	v_add_co_u32 v30, s0, s14, v30
	v_add_co_ci_u32_e64 v31, null, s15, v31, s0
	global_store_dwordx2 v[32:33], v[34:35], off
	s_waitcnt vmcnt(0)
	global_store_dword v[30:31], v1, off
	s_branch .LBB141_12
.LBB141_45:
	s_endpgm
	.section	.rodata,"a",@progbits
	.p2align	6, 0x0
	.amdhsa_kernel _ZN9rocsparseL35bsr2csr_block_per_row_33_256_kernelILj1024ELj128ELj32EfilEEv20rocsparse_direction_T4_S2_21rocsparse_index_base_PKT2_PKT3_PKS2_S2_S3_PS4_PS7_PS2_
		.amdhsa_group_segment_fixed_size 0
		.amdhsa_private_segment_fixed_size 0
		.amdhsa_kernarg_size 96
		.amdhsa_user_sgpr_count 6
		.amdhsa_user_sgpr_private_segment_buffer 1
		.amdhsa_user_sgpr_dispatch_ptr 0
		.amdhsa_user_sgpr_queue_ptr 0
		.amdhsa_user_sgpr_kernarg_segment_ptr 1
		.amdhsa_user_sgpr_dispatch_id 0
		.amdhsa_user_sgpr_flat_scratch_init 0
		.amdhsa_user_sgpr_private_segment_size 0
		.amdhsa_wavefront_size32 1
		.amdhsa_uses_dynamic_stack 0
		.amdhsa_system_sgpr_private_segment_wavefront_offset 0
		.amdhsa_system_sgpr_workgroup_id_x 1
		.amdhsa_system_sgpr_workgroup_id_y 0
		.amdhsa_system_sgpr_workgroup_id_z 0
		.amdhsa_system_sgpr_workgroup_info 0
		.amdhsa_system_vgpr_workitem_id 0
		.amdhsa_next_free_vgpr 46
		.amdhsa_next_free_sgpr 42
		.amdhsa_reserve_vcc 1
		.amdhsa_reserve_flat_scratch 0
		.amdhsa_float_round_mode_32 0
		.amdhsa_float_round_mode_16_64 0
		.amdhsa_float_denorm_mode_32 3
		.amdhsa_float_denorm_mode_16_64 3
		.amdhsa_dx10_clamp 1
		.amdhsa_ieee_mode 1
		.amdhsa_fp16_overflow 0
		.amdhsa_workgroup_processor_mode 1
		.amdhsa_memory_ordered 1
		.amdhsa_forward_progress 1
		.amdhsa_shared_vgpr_count 0
		.amdhsa_exception_fp_ieee_invalid_op 0
		.amdhsa_exception_fp_denorm_src 0
		.amdhsa_exception_fp_ieee_div_zero 0
		.amdhsa_exception_fp_ieee_overflow 0
		.amdhsa_exception_fp_ieee_underflow 0
		.amdhsa_exception_fp_ieee_inexact 0
		.amdhsa_exception_int_div_zero 0
	.end_amdhsa_kernel
	.section	.text._ZN9rocsparseL35bsr2csr_block_per_row_33_256_kernelILj1024ELj128ELj32EfilEEv20rocsparse_direction_T4_S2_21rocsparse_index_base_PKT2_PKT3_PKS2_S2_S3_PS4_PS7_PS2_,"axG",@progbits,_ZN9rocsparseL35bsr2csr_block_per_row_33_256_kernelILj1024ELj128ELj32EfilEEv20rocsparse_direction_T4_S2_21rocsparse_index_base_PKT2_PKT3_PKS2_S2_S3_PS4_PS7_PS2_,comdat
.Lfunc_end141:
	.size	_ZN9rocsparseL35bsr2csr_block_per_row_33_256_kernelILj1024ELj128ELj32EfilEEv20rocsparse_direction_T4_S2_21rocsparse_index_base_PKT2_PKT3_PKS2_S2_S3_PS4_PS7_PS2_, .Lfunc_end141-_ZN9rocsparseL35bsr2csr_block_per_row_33_256_kernelILj1024ELj128ELj32EfilEEv20rocsparse_direction_T4_S2_21rocsparse_index_base_PKT2_PKT3_PKS2_S2_S3_PS4_PS7_PS2_
                                        ; -- End function
	.set _ZN9rocsparseL35bsr2csr_block_per_row_33_256_kernelILj1024ELj128ELj32EfilEEv20rocsparse_direction_T4_S2_21rocsparse_index_base_PKT2_PKT3_PKS2_S2_S3_PS4_PS7_PS2_.num_vgpr, 46
	.set _ZN9rocsparseL35bsr2csr_block_per_row_33_256_kernelILj1024ELj128ELj32EfilEEv20rocsparse_direction_T4_S2_21rocsparse_index_base_PKT2_PKT3_PKS2_S2_S3_PS4_PS7_PS2_.num_agpr, 0
	.set _ZN9rocsparseL35bsr2csr_block_per_row_33_256_kernelILj1024ELj128ELj32EfilEEv20rocsparse_direction_T4_S2_21rocsparse_index_base_PKT2_PKT3_PKS2_S2_S3_PS4_PS7_PS2_.numbered_sgpr, 42
	.set _ZN9rocsparseL35bsr2csr_block_per_row_33_256_kernelILj1024ELj128ELj32EfilEEv20rocsparse_direction_T4_S2_21rocsparse_index_base_PKT2_PKT3_PKS2_S2_S3_PS4_PS7_PS2_.num_named_barrier, 0
	.set _ZN9rocsparseL35bsr2csr_block_per_row_33_256_kernelILj1024ELj128ELj32EfilEEv20rocsparse_direction_T4_S2_21rocsparse_index_base_PKT2_PKT3_PKS2_S2_S3_PS4_PS7_PS2_.private_seg_size, 0
	.set _ZN9rocsparseL35bsr2csr_block_per_row_33_256_kernelILj1024ELj128ELj32EfilEEv20rocsparse_direction_T4_S2_21rocsparse_index_base_PKT2_PKT3_PKS2_S2_S3_PS4_PS7_PS2_.uses_vcc, 1
	.set _ZN9rocsparseL35bsr2csr_block_per_row_33_256_kernelILj1024ELj128ELj32EfilEEv20rocsparse_direction_T4_S2_21rocsparse_index_base_PKT2_PKT3_PKS2_S2_S3_PS4_PS7_PS2_.uses_flat_scratch, 0
	.set _ZN9rocsparseL35bsr2csr_block_per_row_33_256_kernelILj1024ELj128ELj32EfilEEv20rocsparse_direction_T4_S2_21rocsparse_index_base_PKT2_PKT3_PKS2_S2_S3_PS4_PS7_PS2_.has_dyn_sized_stack, 0
	.set _ZN9rocsparseL35bsr2csr_block_per_row_33_256_kernelILj1024ELj128ELj32EfilEEv20rocsparse_direction_T4_S2_21rocsparse_index_base_PKT2_PKT3_PKS2_S2_S3_PS4_PS7_PS2_.has_recursion, 0
	.set _ZN9rocsparseL35bsr2csr_block_per_row_33_256_kernelILj1024ELj128ELj32EfilEEv20rocsparse_direction_T4_S2_21rocsparse_index_base_PKT2_PKT3_PKS2_S2_S3_PS4_PS7_PS2_.has_indirect_call, 0
	.section	.AMDGPU.csdata,"",@progbits
; Kernel info:
; codeLenInByte = 4484
; TotalNumSgprs: 44
; NumVgprs: 46
; ScratchSize: 0
; MemoryBound: 0
; FloatMode: 240
; IeeeMode: 1
; LDSByteSize: 0 bytes/workgroup (compile time only)
; SGPRBlocks: 0
; VGPRBlocks: 5
; NumSGPRsForWavesPerEU: 44
; NumVGPRsForWavesPerEU: 46
; Occupancy: 16
; WaveLimiterHint : 1
; COMPUTE_PGM_RSRC2:SCRATCH_EN: 0
; COMPUTE_PGM_RSRC2:USER_SGPR: 6
; COMPUTE_PGM_RSRC2:TRAP_HANDLER: 0
; COMPUTE_PGM_RSRC2:TGID_X_EN: 1
; COMPUTE_PGM_RSRC2:TGID_Y_EN: 0
; COMPUTE_PGM_RSRC2:TGID_Z_EN: 0
; COMPUTE_PGM_RSRC2:TIDIG_COMP_CNT: 0
	.section	.text._ZN9rocsparseL35bsr2csr_block_per_row_33_256_kernelILj1024ELj256ELj32EfilEEv20rocsparse_direction_T4_S2_21rocsparse_index_base_PKT2_PKT3_PKS2_S2_S3_PS4_PS7_PS2_,"axG",@progbits,_ZN9rocsparseL35bsr2csr_block_per_row_33_256_kernelILj1024ELj256ELj32EfilEEv20rocsparse_direction_T4_S2_21rocsparse_index_base_PKT2_PKT3_PKS2_S2_S3_PS4_PS7_PS2_,comdat
	.globl	_ZN9rocsparseL35bsr2csr_block_per_row_33_256_kernelILj1024ELj256ELj32EfilEEv20rocsparse_direction_T4_S2_21rocsparse_index_base_PKT2_PKT3_PKS2_S2_S3_PS4_PS7_PS2_ ; -- Begin function _ZN9rocsparseL35bsr2csr_block_per_row_33_256_kernelILj1024ELj256ELj32EfilEEv20rocsparse_direction_T4_S2_21rocsparse_index_base_PKT2_PKT3_PKS2_S2_S3_PS4_PS7_PS2_
	.p2align	8
	.type	_ZN9rocsparseL35bsr2csr_block_per_row_33_256_kernelILj1024ELj256ELj32EfilEEv20rocsparse_direction_T4_S2_21rocsparse_index_base_PKT2_PKT3_PKS2_S2_S3_PS4_PS7_PS2_,@function
_ZN9rocsparseL35bsr2csr_block_per_row_33_256_kernelILj1024ELj256ELj32EfilEEv20rocsparse_direction_T4_S2_21rocsparse_index_base_PKT2_PKT3_PKS2_S2_S3_PS4_PS7_PS2_: ; @_ZN9rocsparseL35bsr2csr_block_per_row_33_256_kernelILj1024ELj256ELj32EfilEEv20rocsparse_direction_T4_S2_21rocsparse_index_base_PKT2_PKT3_PKS2_S2_S3_PS4_PS7_PS2_
; %bb.0:
	s_load_dwordx2 s[0:1], s[4:5], 0x28
	s_mov_b32 s7, 0
	s_clause 0x1
	s_load_dword s30, s[4:5], 0x40
	s_load_dwordx2 s[2:3], s[4:5], 0x50
	s_lshl_b64 s[8:9], s[6:7], 2
	v_or_b32_e32 v1, s6, v0
	s_waitcnt lgkmcnt(0)
	s_add_u32 s0, s0, s8
	s_addc_u32 s1, s1, s9
	s_load_dwordx2 s[10:11], s[0:1], 0x0
	s_mov_b32 s0, exec_lo
	v_cmpx_eq_u32_e32 0, v1
	s_cbranch_execz .LBB142_2
; %bb.1:
	v_mov_b32_e32 v1, 0
	v_mov_b32_e32 v2, s30
	global_store_dword v1, v2, s[2:3]
.LBB142_2:
	s_or_b32 exec_lo, exec_lo, s0
	s_clause 0x1
	s_load_dword s31, s[4:5], 0x18
	s_load_dwordx2 s[18:19], s[4:5], 0x38
	v_mov_b32_e32 v17, 0
	v_lshrrev_b32_e32 v16, 5, v0
	v_lshlrev_b32_e32 v45, 2, v16
	s_waitcnt lgkmcnt(0)
	s_sub_i32 s20, s10, s31
	s_sub_i32 s33, s11, s31
	s_mul_i32 s7, s18, s19
	s_mul_hi_u32 s1, s18, s18
	s_mul_i32 s8, s19, s6
	s_mul_hi_u32 s9, s18, s6
	s_mul_i32 s0, s18, s6
	s_add_i32 s6, s1, s7
	s_sub_i32 s88, s33, s20
	s_add_i32 s1, s9, s8
	s_add_i32 s27, s6, s7
	s_mul_i32 s15, s18, s88
	s_lshl_b64 s[6:7], s[0:1], 2
	v_cmp_gt_i64_e64 s0, s[18:19], v[16:17]
	s_mul_i32 s26, s18, s18
	s_add_i32 s16, s30, s15
	s_add_u32 s12, s2, s6
	s_mul_i32 s14, s26, s20
	s_addc_u32 s13, s3, s7
	s_and_saveexec_b32 s1, s0
	s_cbranch_execz .LBB142_4
; %bb.3:
	v_mul_lo_u32 v1, v16, s15
	v_add3_u32 v1, s16, s14, v1
	global_store_dword v45, v1, s[12:13] offset:4
.LBB142_4:
	s_or_b32 exec_lo, exec_lo, s1
	v_or_b32_e32 v18, 32, v16
	v_mov_b32_e32 v19, v17
	v_cmp_gt_i64_e64 s1, s[18:19], v[18:19]
	s_and_saveexec_b32 s2, s1
	s_cbranch_execz .LBB142_6
; %bb.5:
	v_mul_lo_u32 v1, v18, s15
	v_add3_u32 v1, s16, s14, v1
	global_store_dword v45, v1, s[12:13] offset:132
.LBB142_6:
	s_or_b32 exec_lo, exec_lo, s2
	v_or_b32_e32 v19, 64, v16
	v_mov_b32_e32 v20, v17
	v_cmp_gt_i64_e64 s2, s[18:19], v[19:20]
	;; [unrolled: 11-line block ×7, first 2 shown]
	s_and_saveexec_b32 s17, s9
	s_cbranch_execz .LBB142_18
; %bb.17:
	v_mul_lo_u32 v1, v24, s15
	v_add3_u32 v1, s16, s14, v1
	global_store_dword v45, v1, s[12:13] offset:900
.LBB142_18:
	s_or_b32 exec_lo, exec_lo, s17
	s_cmp_lt_i32 s10, s11
	s_cbranch_scc0 .LBB142_149
; %bb.19:
	s_load_dword s12, s[4:5], 0x0
	v_and_b32_e32 v0, 31, v0
	v_mov_b32_e32 v1, 0
	s_clause 0x3
	s_load_dwordx2 s[28:29], s[4:5], 0x30
	s_load_dwordx2 s[22:23], s[4:5], 0x48
	;; [unrolled: 1-line block ×4, first 2 shown]
	v_or_b32_e32 v2, 32, v0
	v_mov_b32_e32 v3, v1
	v_or_b32_e32 v4, 64, v0
	v_mov_b32_e32 v5, v1
	;; [unrolled: 2-line block ×7, first 2 shown]
	v_cmp_gt_i64_e64 s10, s[18:19], v[0:1]
	v_cmp_gt_i64_e64 s11, s[18:19], v[2:3]
	s_waitcnt lgkmcnt(0)
	s_cmp_eq_u32 s12, 0
	v_cmp_gt_i64_e64 s12, s[18:19], v[4:5]
	v_cmp_gt_i64_e64 s13, s[18:19], v[6:7]
	;; [unrolled: 1-line block ×6, first 2 shown]
	s_cselect_b32 vcc_lo, -1, 0
	s_and_b32 s65, s6, s10
	s_and_b32 s66, s6, s11
	s_and_b32 s67, s6, s12
	s_and_b32 s68, s6, s13
	s_and_b32 s69, s6, s14
	s_and_b32 s70, s6, s15
	s_and_b32 s71, s6, s16
	s_and_b32 s72, s6, s17
	s_mul_i32 s6, s18, s20
	s_ashr_i32 s21, s20, 31
	v_mad_u64_u32 v[47:48], null, v24, s88, s[6:7]
	v_mad_u64_u32 v[48:49], null, v23, s88, s[6:7]
	;; [unrolled: 1-line block ×5, first 2 shown]
	s_and_b32 s49, s2, s10
	s_and_b32 s50, s2, s11
	;; [unrolled: 1-line block ×16, first 2 shown]
	v_mad_u64_u32 v[52:53], null, v19, s88, s[6:7]
	s_lshl_b64 s[2:3], s[20:21], 3
	s_and_b32 s34, s0, s10
	s_and_b32 s35, s0, s11
	;; [unrolled: 1-line block ×40, first 2 shown]
	v_mad_u64_u32 v[53:54], null, v18, s88, s[6:7]
	s_mul_hi_u32 s0, s18, s20
	s_mul_i32 s7, s18, s21
	s_add_u32 s2, s28, s2
	s_addc_u32 s3, s29, s3
	s_add_i32 s0, s0, s7
	s_mul_i32 s7, s19, s20
	v_lshlrev_b32_e32 v29, 2, v0
	v_mad_u64_u32 v[54:55], null, v16, s88, s[6:7]
	s_add_i32 s7, s0, s7
	v_mov_b32_e32 v30, v1
	s_lshl_b64 s[6:7], s[6:7], 2
	v_mov_b32_e32 v46, v1
	v_add_co_u32 v3, s0, s6, v45
	v_add_co_ci_u32_e64 v5, null, s7, 0, s0
	v_mul_lo_u32 v63, s18, v52
	v_add_co_u32 v7, s0, 0x380, v3
	v_add_co_ci_u32_e64 v9, null, 0, v5, s0
	v_mul_lo_u32 v65, s18, v53
	v_mul_lo_u32 v11, s19, v7
	v_mad_u64_u32 v[15:16], null, s18, v7, v[29:30]
	v_add_co_u32 v7, s0, 0x300, v3
	v_add_co_ci_u32_e64 v13, null, 0, v5, s0
	v_add_co_u32 v19, s0, 0x280, v3
	v_add_co_ci_u32_e64 v20, null, 0, v5, s0
	v_mul_lo_u32 v21, s19, v7
	v_mad_u64_u32 v[17:18], null, s18, v7, v[29:30]
	v_mul_lo_u32 v7, s18, v20
	v_mul_lo_u32 v22, s19, v19
	v_mad_u64_u32 v[19:20], null, s18, v19, v[29:30]
	v_mul_lo_u32 v9, s18, v9
	v_mul_lo_u32 v13, s18, v13
	;; [unrolled: 1-line block ×3, first 2 shown]
	v_mov_b32_e32 v64, v1
	v_mov_b32_e32 v66, v1
	;; [unrolled: 1-line block ×3, first 2 shown]
	v_add3_u32 v20, v22, v20, v7
	v_add_co_u32 v7, s0, 0x200, v3
	v_add3_u32 v16, v11, v16, v9
	v_add_co_ci_u32_e64 v9, null, 0, v5, s0
	v_add_co_u32 v11, s0, 0x180, v3
	v_add3_u32 v18, v21, v18, v13
	v_add_co_ci_u32_e64 v13, null, 0, v5, s0
	v_mul_lo_u32 v31, s19, v7
	v_mad_u64_u32 v[21:22], null, s18, v7, v[29:30]
	v_mul_lo_u32 v7, s18, v13
	v_mul_lo_u32 v13, s19, v11
	v_mad_u64_u32 v[23:24], null, s18, v11, v[29:30]
	v_mul_lo_u32 v9, s18, v9
	v_add_co_u32 v11, s0, 0x100, v3
	v_add_co_ci_u32_e64 v25, null, 0, v5, s0
	v_add_co_u32 v27, s0, 0x80, v3
	v_add_co_ci_u32_e64 v28, null, 0, v5, s0
	v_add3_u32 v24, v13, v24, v7
	v_add_co_u32 v7, s0, s6, v29
	v_add3_u32 v22, v31, v22, v9
	v_add_co_ci_u32_e64 v9, null, s7, 0, s0
	v_mul_lo_u32 v33, s18, v25
	v_mul_lo_u32 v34, s19, v11
	v_mad_u64_u32 v[25:26], null, s18, v11, v[29:30]
	v_mul_lo_u32 v11, s18, v28
	v_mul_lo_u32 v35, s19, v27
	v_mad_u64_u32 v[27:28], null, s18, v27, v[29:30]
	v_mul_lo_u32 v13, s19, v3
	v_mad_u64_u32 v[29:30], null, s18, v3, v[29:30]
	v_mul_lo_u32 v3, s18, v9
	v_mul_lo_u32 v38, s19, v7
	v_mad_u64_u32 v[31:32], null, s18, v7, v[45:46]
	v_mul_lo_u32 v5, s18, v5
	v_add_co_u32 v36, s0, 0x80, v7
	v_add_co_ci_u32_e64 v37, null, 0, v9, s0
	v_add3_u32 v26, v34, v26, v33
	v_add3_u32 v32, v38, v32, v3
	v_add_co_u32 v3, s0, 0x100, v7
	v_mul_lo_u32 v37, s18, v37
	v_mul_lo_u32 v39, s19, v36
	v_mad_u64_u32 v[33:34], null, s18, v36, v[45:46]
	v_add3_u32 v28, v35, v28, v11
	v_add3_u32 v30, v13, v30, v5
	v_add_co_ci_u32_e64 v5, null, 0, v9, s0
	v_add_co_u32 v11, s0, 0x180, v7
	v_add_co_ci_u32_e64 v13, null, 0, v9, s0
	v_add3_u32 v34, v39, v34, v37
	v_mul_lo_u32 v55, s19, v3
	v_mad_u64_u32 v[35:36], null, s18, v3, v[45:46]
	v_mul_lo_u32 v3, s18, v13
	v_mul_lo_u32 v13, s19, v11
	v_mad_u64_u32 v[37:38], null, s18, v11, v[45:46]
	v_add_co_u32 v11, s0, 0x200, v7
	v_add_co_ci_u32_e64 v39, null, 0, v9, s0
	v_add_co_u32 v41, s0, 0x280, v7
	v_add_co_ci_u32_e64 v42, null, 0, v9, s0
	;; [unrolled: 2-line block ×4, first 2 shown]
	v_mul_lo_u32 v5, s18, v5
	v_mul_lo_u32 v56, s18, v39
	;; [unrolled: 1-line block ×3, first 2 shown]
	v_mad_u64_u32 v[39:40], null, s18, v11, v[45:46]
	v_mul_lo_u32 v11, s18, v42
	v_mul_lo_u32 v58, s19, v41
	v_mad_u64_u32 v[41:42], null, s18, v41, v[45:46]
	v_mul_lo_u32 v59, s18, v44
	v_mul_lo_u32 v60, s19, v43
	v_mad_u64_u32 v[43:44], null, s18, v43, v[45:46]
	v_mul_lo_u32 v9, s18, v9
	v_mad_u64_u32 v[45:46], null, s18, v7, v[45:46]
	v_mul_lo_u32 v7, s19, v7
	v_add3_u32 v36, v55, v36, v5
	v_add3_u32 v38, v13, v38, v3
	;; [unrolled: 1-line block ×3, first 2 shown]
	v_mul_lo_u32 v3, s18, v47
	v_mul_lo_u32 v5, s18, v48
	;; [unrolled: 1-line block ×3, first 2 shown]
	v_add3_u32 v40, v57, v40, v56
	v_add3_u32 v46, v7, v46, v9
	v_mul_lo_u32 v7, s18, v49
	v_mul_lo_u32 v9, s18, v50
	v_add3_u32 v44, v60, v44, v59
	v_mov_b32_e32 v13, v0
	v_mov_b32_e32 v69, v1
	;; [unrolled: 1-line block ×5, first 2 shown]
	s_mov_b32 s17, s18
	s_lshl_b64 s[6:7], s[26:27], 2
	s_branch .LBB142_21
.LBB142_20:                             ;   in Loop: Header=BB142_21 Depth=1
	s_or_b32 exec_lo, exec_lo, s21
	v_add_co_u32 v64, s0, v64, 0
	v_add_co_ci_u32_e64 v3, null, s17, v3, s0
	v_add_co_u32 v66, s0, v66, 0
	v_add_co_ci_u32_e64 v5, null, s17, v5, s0
	;; [unrolled: 2-line block ×6, first 2 shown]
	v_add_co_u32 v72, s0, v72, 0
	s_add_i32 s20, s20, 1
	v_add_co_ci_u32_e64 v65, null, s17, v65, s0
	v_add_co_u32 v1, s0, v1, 0
	s_add_u32 s2, s2, 8
	v_add_co_ci_u32_e64 v67, null, s17, v67, s0
	s_addc_u32 s3, s3, 0
	s_add_u32 s24, s24, s6
	s_addc_u32 s25, s25, s7
	s_cmp_ge_i32 s20, s33
	s_cbranch_scc1 .LBB142_149
.LBB142_21:                             ; =>This Inner Loop Header: Depth=1
	s_load_dwordx2 s[26:27], s[2:3], 0x0
	s_waitcnt lgkmcnt(0)
	s_sub_u32 s0, s26, s31
	s_subb_u32 s21, s27, 0
	s_mul_i32 s26, s0, s19
	s_mul_hi_u32 s27, s0, s18
	s_mul_i32 s21, s21, s18
	s_add_i32 s26, s27, s26
	s_mul_i32 s0, s0, s18
	s_add_i32 s26, s26, s21
	s_add_u32 s21, s0, s30
	s_addc_u32 s26, s26, 0
	v_add_co_u32 v59, s0, s21, v0
	v_add_co_ci_u32_e64 v60, null, s26, 0, s0
	s_and_saveexec_b32 s27, s34
	s_cbranch_execz .LBB142_23
; %bb.22:                               ;   in Loop: Header=BB142_21 Depth=1
	v_add_co_u32 v47, s0, s24, v29
	v_add_co_ci_u32_e64 v48, null, s25, v30, s0
	v_add_co_u32 v49, s0, s24, v31
	v_add_co_ci_u32_e64 v50, null, s25, v32, s0
	v_cndmask_b32_e32 v47, v49, v47, vcc_lo
	v_cndmask_b32_e32 v48, v50, v48, vcc_lo
	global_load_dword v51, v[47:48], off
	v_add_co_u32 v47, s0, 0, v1
	v_add_co_ci_u32_e64 v48, null, v13, v67, s0
	v_ashrrev_i64 v[49:50], 29, v[47:48]
	v_ashrrev_i64 v[47:48], 30, v[47:48]
	v_add_co_u32 v49, s0, s4, v49
	v_add_co_ci_u32_e64 v50, null, s5, v50, s0
	v_add_co_u32 v47, s0, s22, v47
	v_add_co_ci_u32_e64 v48, null, s23, v48, s0
	global_store_dwordx2 v[49:50], v[59:60], off
	s_waitcnt vmcnt(0)
	global_store_dword v[47:48], v51, off
.LBB142_23:                             ;   in Loop: Header=BB142_21 Depth=1
	s_or_b32 exec_lo, exec_lo, s27
	v_add_co_u32 v47, s0, s21, v2
	v_add_co_ci_u32_e64 v48, null, s26, 0, s0
	s_and_saveexec_b32 s27, s35
	s_cbranch_execz .LBB142_25
; %bb.24:                               ;   in Loop: Header=BB142_21 Depth=1
	v_add_co_u32 v49, s0, s24, v29
	v_add_co_ci_u32_e64 v50, null, s25, v30, s0
	v_add_co_u32 v49, s0, 0x80, v49
	v_add_co_ci_u32_e64 v50, null, 0, v50, s0
	v_add_co_u32 v51, s0, s24, v33
	v_add_co_ci_u32_e64 v52, null, s25, v34, s0
	v_cndmask_b32_e32 v49, v51, v49, vcc_lo
	v_cndmask_b32_e32 v50, v52, v50, vcc_lo
	global_load_dword v53, v[49:50], off
	v_add_co_u32 v49, s0, 0, v1
	v_add_co_ci_u32_e64 v50, null, v13, v67, s0
	v_add_nc_u32_e32 v50, 32, v50
	v_ashrrev_i64 v[51:52], 29, v[49:50]
	v_ashrrev_i64 v[49:50], 30, v[49:50]
	v_add_co_u32 v51, s0, s4, v51
	v_add_co_ci_u32_e64 v52, null, s5, v52, s0
	v_add_co_u32 v49, s0, s22, v49
	v_add_co_ci_u32_e64 v50, null, s23, v50, s0
	global_store_dwordx2 v[51:52], v[47:48], off
	s_waitcnt vmcnt(0)
	global_store_dword v[49:50], v53, off
.LBB142_25:                             ;   in Loop: Header=BB142_21 Depth=1
	s_or_b32 exec_lo, exec_lo, s27
	v_add_co_u32 v49, s0, s21, v4
	v_add_co_ci_u32_e64 v50, null, s26, 0, s0
	s_and_saveexec_b32 s27, s36
	s_cbranch_execz .LBB142_27
; %bb.26:                               ;   in Loop: Header=BB142_21 Depth=1
	v_add_co_u32 v51, s0, s24, v29
	v_add_co_ci_u32_e64 v52, null, s25, v30, s0
	v_add_co_u32 v51, s0, 0x100, v51
	v_add_co_ci_u32_e64 v52, null, 0, v52, s0
	v_add_co_u32 v53, s0, s24, v35
	v_add_co_ci_u32_e64 v54, null, s25, v36, s0
	v_cndmask_b32_e32 v51, v53, v51, vcc_lo
	v_cndmask_b32_e32 v52, v54, v52, vcc_lo
	global_load_dword v55, v[51:52], off
	v_add_co_u32 v51, s0, 0, v1
	v_add_co_ci_u32_e64 v52, null, v13, v67, s0
	v_add_nc_u32_e32 v52, 64, v52
	v_ashrrev_i64 v[53:54], 29, v[51:52]
	v_ashrrev_i64 v[51:52], 30, v[51:52]
	v_add_co_u32 v53, s0, s4, v53
	v_add_co_ci_u32_e64 v54, null, s5, v54, s0
	v_add_co_u32 v51, s0, s22, v51
	v_add_co_ci_u32_e64 v52, null, s23, v52, s0
	global_store_dwordx2 v[53:54], v[49:50], off
	s_waitcnt vmcnt(0)
	global_store_dword v[51:52], v55, off
.LBB142_27:                             ;   in Loop: Header=BB142_21 Depth=1
	s_or_b32 exec_lo, exec_lo, s27
	v_add_co_u32 v51, s0, s21, v6
	v_add_co_ci_u32_e64 v52, null, s26, 0, s0
	s_and_saveexec_b32 s27, s37
	s_cbranch_execz .LBB142_29
; %bb.28:                               ;   in Loop: Header=BB142_21 Depth=1
	v_add_co_u32 v53, s0, s24, v29
	v_add_co_ci_u32_e64 v54, null, s25, v30, s0
	v_add_co_u32 v53, s0, 0x180, v53
	v_add_co_ci_u32_e64 v54, null, 0, v54, s0
	v_add_co_u32 v55, s0, s24, v37
	v_add_co_ci_u32_e64 v56, null, s25, v38, s0
	v_cndmask_b32_e32 v53, v55, v53, vcc_lo
	v_cndmask_b32_e32 v54, v56, v54, vcc_lo
	global_load_dword v57, v[53:54], off
	v_add_co_u32 v53, s0, 0, v1
	v_add_co_ci_u32_e64 v54, null, v13, v67, s0
	v_add_nc_u32_e32 v54, 0x60, v54
	v_ashrrev_i64 v[55:56], 29, v[53:54]
	v_ashrrev_i64 v[53:54], 30, v[53:54]
	v_add_co_u32 v55, s0, s4, v55
	v_add_co_ci_u32_e64 v56, null, s5, v56, s0
	v_add_co_u32 v53, s0, s22, v53
	v_add_co_ci_u32_e64 v54, null, s23, v54, s0
	global_store_dwordx2 v[55:56], v[51:52], off
	s_waitcnt vmcnt(0)
	global_store_dword v[53:54], v57, off
.LBB142_29:                             ;   in Loop: Header=BB142_21 Depth=1
	s_or_b32 exec_lo, exec_lo, s27
	v_add_co_u32 v53, s0, s21, v8
	v_add_co_ci_u32_e64 v54, null, s26, 0, s0
	s_and_saveexec_b32 s27, s38
	s_cbranch_execz .LBB142_31
; %bb.30:                               ;   in Loop: Header=BB142_21 Depth=1
	v_add_co_u32 v55, s0, s24, v29
	v_add_co_ci_u32_e64 v56, null, s25, v30, s0
	v_add_co_u32 v55, s0, 0x200, v55
	v_add_co_ci_u32_e64 v56, null, 0, v56, s0
	v_add_co_u32 v57, s0, s24, v39
	v_add_co_ci_u32_e64 v58, null, s25, v40, s0
	v_cndmask_b32_e32 v55, v57, v55, vcc_lo
	v_cndmask_b32_e32 v56, v58, v56, vcc_lo
	global_load_dword v61, v[55:56], off
	v_add_co_u32 v55, s0, 0, v1
	v_add_co_ci_u32_e64 v56, null, v13, v67, s0
	v_add_nc_u32_e32 v56, 0x80, v56
	v_ashrrev_i64 v[57:58], 29, v[55:56]
	v_ashrrev_i64 v[55:56], 30, v[55:56]
	v_add_co_u32 v57, s0, s4, v57
	v_add_co_ci_u32_e64 v58, null, s5, v58, s0
	v_add_co_u32 v55, s0, s22, v55
	v_add_co_ci_u32_e64 v56, null, s23, v56, s0
	global_store_dwordx2 v[57:58], v[53:54], off
	s_waitcnt vmcnt(0)
	global_store_dword v[55:56], v61, off
.LBB142_31:                             ;   in Loop: Header=BB142_21 Depth=1
	s_or_b32 exec_lo, exec_lo, s27
	v_add_co_u32 v55, s0, s21, v10
	v_add_co_ci_u32_e64 v56, null, s26, 0, s0
	s_and_saveexec_b32 s27, s39
	s_cbranch_execz .LBB142_33
; %bb.32:                               ;   in Loop: Header=BB142_21 Depth=1
	v_add_co_u32 v57, s0, s24, v29
	v_add_co_ci_u32_e64 v58, null, s25, v30, s0
	v_add_co_u32 v57, s0, 0x280, v57
	v_add_co_ci_u32_e64 v58, null, 0, v58, s0
	v_add_co_u32 v61, s0, s24, v41
	v_add_co_ci_u32_e64 v62, null, s25, v42, s0
	v_cndmask_b32_e32 v57, v61, v57, vcc_lo
	v_cndmask_b32_e32 v58, v62, v58, vcc_lo
	global_load_dword v73, v[57:58], off
	v_add_co_u32 v57, s0, 0, v1
	v_add_co_ci_u32_e64 v58, null, v13, v67, s0
	v_add_nc_u32_e32 v58, 0xa0, v58
	v_ashrrev_i64 v[61:62], 29, v[57:58]
	v_ashrrev_i64 v[57:58], 30, v[57:58]
	v_add_co_u32 v61, s0, s4, v61
	v_add_co_ci_u32_e64 v62, null, s5, v62, s0
	v_add_co_u32 v57, s0, s22, v57
	v_add_co_ci_u32_e64 v58, null, s23, v58, s0
	global_store_dwordx2 v[61:62], v[55:56], off
	s_waitcnt vmcnt(0)
	global_store_dword v[57:58], v73, off
.LBB142_33:                             ;   in Loop: Header=BB142_21 Depth=1
	s_or_b32 exec_lo, exec_lo, s27
	v_add_co_u32 v57, s0, s21, v12
	v_add_co_ci_u32_e64 v58, null, s26, 0, s0
	s_and_saveexec_b32 s27, s40
	s_cbranch_execz .LBB142_35
; %bb.34:                               ;   in Loop: Header=BB142_21 Depth=1
	v_add_co_u32 v61, s0, s24, v29
	v_add_co_ci_u32_e64 v62, null, s25, v30, s0
	v_add_co_u32 v61, s0, 0x300, v61
	v_add_co_ci_u32_e64 v62, null, 0, v62, s0
	v_add_co_u32 v73, s0, s24, v43
	v_add_co_ci_u32_e64 v74, null, s25, v44, s0
	v_cndmask_b32_e32 v61, v73, v61, vcc_lo
	v_cndmask_b32_e32 v62, v74, v62, vcc_lo
	global_load_dword v75, v[61:62], off
	v_add_co_u32 v61, s0, 0, v1
	v_add_co_ci_u32_e64 v62, null, v13, v67, s0
	v_add_nc_u32_e32 v62, 0xc0, v62
	v_ashrrev_i64 v[73:74], 29, v[61:62]
	v_ashrrev_i64 v[61:62], 30, v[61:62]
	v_add_co_u32 v73, s0, s4, v73
	v_add_co_ci_u32_e64 v74, null, s5, v74, s0
	v_add_co_u32 v61, s0, s22, v61
	v_add_co_ci_u32_e64 v62, null, s23, v62, s0
	global_store_dwordx2 v[73:74], v[57:58], off
	s_waitcnt vmcnt(0)
	global_store_dword v[61:62], v75, off
.LBB142_35:                             ;   in Loop: Header=BB142_21 Depth=1
	s_or_b32 exec_lo, exec_lo, s27
	v_add_co_u32 v61, s0, s21, v14
	v_add_co_ci_u32_e64 v62, null, s26, 0, s0
	s_and_saveexec_b32 s21, s41
	s_cbranch_execnz .LBB142_92
; %bb.36:                               ;   in Loop: Header=BB142_21 Depth=1
	s_or_b32 exec_lo, exec_lo, s21
	s_and_saveexec_b32 s21, s42
	s_cbranch_execnz .LBB142_93
.LBB142_37:                             ;   in Loop: Header=BB142_21 Depth=1
	s_or_b32 exec_lo, exec_lo, s21
	s_and_saveexec_b32 s21, s43
	s_cbranch_execnz .LBB142_94
.LBB142_38:                             ;   in Loop: Header=BB142_21 Depth=1
	s_or_b32 exec_lo, exec_lo, s21
	s_and_saveexec_b32 s21, s44
	s_cbranch_execnz .LBB142_95
.LBB142_39:                             ;   in Loop: Header=BB142_21 Depth=1
	s_or_b32 exec_lo, exec_lo, s21
	s_and_saveexec_b32 s21, s45
	s_cbranch_execnz .LBB142_96
.LBB142_40:                             ;   in Loop: Header=BB142_21 Depth=1
	s_or_b32 exec_lo, exec_lo, s21
	s_and_saveexec_b32 s21, s46
	s_cbranch_execnz .LBB142_97
.LBB142_41:                             ;   in Loop: Header=BB142_21 Depth=1
	s_or_b32 exec_lo, exec_lo, s21
	s_and_saveexec_b32 s21, s47
	s_cbranch_execnz .LBB142_98
.LBB142_42:                             ;   in Loop: Header=BB142_21 Depth=1
	s_or_b32 exec_lo, exec_lo, s21
	s_and_saveexec_b32 s21, s48
	s_cbranch_execnz .LBB142_99
.LBB142_43:                             ;   in Loop: Header=BB142_21 Depth=1
	s_or_b32 exec_lo, exec_lo, s21
	s_and_saveexec_b32 s21, s1
	s_cbranch_execnz .LBB142_100
.LBB142_44:                             ;   in Loop: Header=BB142_21 Depth=1
	s_or_b32 exec_lo, exec_lo, s21
	s_and_saveexec_b32 s21, s49
	s_cbranch_execnz .LBB142_101
.LBB142_45:                             ;   in Loop: Header=BB142_21 Depth=1
	s_or_b32 exec_lo, exec_lo, s21
	s_and_saveexec_b32 s21, s50
	s_cbranch_execnz .LBB142_102
.LBB142_46:                             ;   in Loop: Header=BB142_21 Depth=1
	s_or_b32 exec_lo, exec_lo, s21
	s_and_saveexec_b32 s21, s51
	s_cbranch_execnz .LBB142_103
.LBB142_47:                             ;   in Loop: Header=BB142_21 Depth=1
	s_or_b32 exec_lo, exec_lo, s21
	s_and_saveexec_b32 s21, s52
	s_cbranch_execnz .LBB142_104
.LBB142_48:                             ;   in Loop: Header=BB142_21 Depth=1
	s_or_b32 exec_lo, exec_lo, s21
	s_and_saveexec_b32 s21, s53
	s_cbranch_execnz .LBB142_105
.LBB142_49:                             ;   in Loop: Header=BB142_21 Depth=1
	s_or_b32 exec_lo, exec_lo, s21
	s_and_saveexec_b32 s21, s54
	s_cbranch_execnz .LBB142_106
.LBB142_50:                             ;   in Loop: Header=BB142_21 Depth=1
	s_or_b32 exec_lo, exec_lo, s21
	s_and_saveexec_b32 s21, s55
	s_cbranch_execnz .LBB142_107
.LBB142_51:                             ;   in Loop: Header=BB142_21 Depth=1
	s_or_b32 exec_lo, exec_lo, s21
	s_and_saveexec_b32 s21, s56
	s_cbranch_execnz .LBB142_108
.LBB142_52:                             ;   in Loop: Header=BB142_21 Depth=1
	s_or_b32 exec_lo, exec_lo, s21
	s_and_saveexec_b32 s21, s57
	s_cbranch_execnz .LBB142_109
.LBB142_53:                             ;   in Loop: Header=BB142_21 Depth=1
	s_or_b32 exec_lo, exec_lo, s21
	s_and_saveexec_b32 s21, s58
	s_cbranch_execnz .LBB142_110
.LBB142_54:                             ;   in Loop: Header=BB142_21 Depth=1
	s_or_b32 exec_lo, exec_lo, s21
	s_and_saveexec_b32 s21, s59
	s_cbranch_execnz .LBB142_111
.LBB142_55:                             ;   in Loop: Header=BB142_21 Depth=1
	s_or_b32 exec_lo, exec_lo, s21
	s_and_saveexec_b32 s21, s60
	s_cbranch_execnz .LBB142_112
.LBB142_56:                             ;   in Loop: Header=BB142_21 Depth=1
	s_or_b32 exec_lo, exec_lo, s21
	s_and_saveexec_b32 s21, s61
	s_cbranch_execnz .LBB142_113
.LBB142_57:                             ;   in Loop: Header=BB142_21 Depth=1
	s_or_b32 exec_lo, exec_lo, s21
	s_and_saveexec_b32 s21, s62
	s_cbranch_execnz .LBB142_114
.LBB142_58:                             ;   in Loop: Header=BB142_21 Depth=1
	s_or_b32 exec_lo, exec_lo, s21
	s_and_saveexec_b32 s21, s63
	s_cbranch_execnz .LBB142_115
.LBB142_59:                             ;   in Loop: Header=BB142_21 Depth=1
	s_or_b32 exec_lo, exec_lo, s21
	s_and_saveexec_b32 s21, s64
	s_cbranch_execnz .LBB142_116
.LBB142_60:                             ;   in Loop: Header=BB142_21 Depth=1
	s_or_b32 exec_lo, exec_lo, s21
	s_and_saveexec_b32 s21, s65
	s_cbranch_execnz .LBB142_117
.LBB142_61:                             ;   in Loop: Header=BB142_21 Depth=1
	s_or_b32 exec_lo, exec_lo, s21
	s_and_saveexec_b32 s21, s66
	s_cbranch_execnz .LBB142_118
.LBB142_62:                             ;   in Loop: Header=BB142_21 Depth=1
	s_or_b32 exec_lo, exec_lo, s21
	s_and_saveexec_b32 s21, s67
	s_cbranch_execnz .LBB142_119
.LBB142_63:                             ;   in Loop: Header=BB142_21 Depth=1
	s_or_b32 exec_lo, exec_lo, s21
	s_and_saveexec_b32 s21, s68
	s_cbranch_execnz .LBB142_120
.LBB142_64:                             ;   in Loop: Header=BB142_21 Depth=1
	s_or_b32 exec_lo, exec_lo, s21
	s_and_saveexec_b32 s21, s69
	s_cbranch_execnz .LBB142_121
.LBB142_65:                             ;   in Loop: Header=BB142_21 Depth=1
	s_or_b32 exec_lo, exec_lo, s21
	s_and_saveexec_b32 s21, s70
	s_cbranch_execnz .LBB142_122
.LBB142_66:                             ;   in Loop: Header=BB142_21 Depth=1
	s_or_b32 exec_lo, exec_lo, s21
	s_and_saveexec_b32 s21, s71
	s_cbranch_execnz .LBB142_123
.LBB142_67:                             ;   in Loop: Header=BB142_21 Depth=1
	s_or_b32 exec_lo, exec_lo, s21
	s_and_saveexec_b32 s21, s72
	s_cbranch_execnz .LBB142_124
.LBB142_68:                             ;   in Loop: Header=BB142_21 Depth=1
	s_or_b32 exec_lo, exec_lo, s21
	s_and_saveexec_b32 s21, s73
	s_cbranch_execnz .LBB142_125
.LBB142_69:                             ;   in Loop: Header=BB142_21 Depth=1
	s_or_b32 exec_lo, exec_lo, s21
	s_and_saveexec_b32 s21, s74
	s_cbranch_execnz .LBB142_126
.LBB142_70:                             ;   in Loop: Header=BB142_21 Depth=1
	s_or_b32 exec_lo, exec_lo, s21
	s_and_saveexec_b32 s21, s75
	s_cbranch_execnz .LBB142_127
.LBB142_71:                             ;   in Loop: Header=BB142_21 Depth=1
	s_or_b32 exec_lo, exec_lo, s21
	s_and_saveexec_b32 s21, s76
	s_cbranch_execnz .LBB142_128
.LBB142_72:                             ;   in Loop: Header=BB142_21 Depth=1
	s_or_b32 exec_lo, exec_lo, s21
	s_and_saveexec_b32 s21, s77
	s_cbranch_execnz .LBB142_129
.LBB142_73:                             ;   in Loop: Header=BB142_21 Depth=1
	s_or_b32 exec_lo, exec_lo, s21
	s_and_saveexec_b32 s21, s78
	s_cbranch_execnz .LBB142_130
.LBB142_74:                             ;   in Loop: Header=BB142_21 Depth=1
	s_or_b32 exec_lo, exec_lo, s21
	s_and_saveexec_b32 s21, s79
	s_cbranch_execnz .LBB142_131
.LBB142_75:                             ;   in Loop: Header=BB142_21 Depth=1
	s_or_b32 exec_lo, exec_lo, s21
	s_and_saveexec_b32 s21, s80
	s_cbranch_execnz .LBB142_132
.LBB142_76:                             ;   in Loop: Header=BB142_21 Depth=1
	s_or_b32 exec_lo, exec_lo, s21
	s_and_saveexec_b32 s21, s81
	s_cbranch_execnz .LBB142_133
.LBB142_77:                             ;   in Loop: Header=BB142_21 Depth=1
	s_or_b32 exec_lo, exec_lo, s21
	s_and_saveexec_b32 s21, s82
	s_cbranch_execnz .LBB142_134
.LBB142_78:                             ;   in Loop: Header=BB142_21 Depth=1
	s_or_b32 exec_lo, exec_lo, s21
	s_and_saveexec_b32 s21, s83
	s_cbranch_execnz .LBB142_135
.LBB142_79:                             ;   in Loop: Header=BB142_21 Depth=1
	s_or_b32 exec_lo, exec_lo, s21
	s_and_saveexec_b32 s21, s84
	s_cbranch_execnz .LBB142_136
.LBB142_80:                             ;   in Loop: Header=BB142_21 Depth=1
	s_or_b32 exec_lo, exec_lo, s21
	s_and_saveexec_b32 s21, s85
	s_cbranch_execnz .LBB142_137
.LBB142_81:                             ;   in Loop: Header=BB142_21 Depth=1
	s_or_b32 exec_lo, exec_lo, s21
	s_and_saveexec_b32 s21, s86
	s_cbranch_execnz .LBB142_138
.LBB142_82:                             ;   in Loop: Header=BB142_21 Depth=1
	s_or_b32 exec_lo, exec_lo, s21
	s_and_saveexec_b32 s21, s87
	s_cbranch_execnz .LBB142_139
.LBB142_83:                             ;   in Loop: Header=BB142_21 Depth=1
	s_or_b32 exec_lo, exec_lo, s21
	s_and_saveexec_b32 s21, s8
	s_cbranch_execnz .LBB142_140
.LBB142_84:                             ;   in Loop: Header=BB142_21 Depth=1
	s_or_b32 exec_lo, exec_lo, s21
	s_and_saveexec_b32 s21, s10
	s_cbranch_execnz .LBB142_141
.LBB142_85:                             ;   in Loop: Header=BB142_21 Depth=1
	s_or_b32 exec_lo, exec_lo, s21
	s_and_saveexec_b32 s21, s11
	s_cbranch_execnz .LBB142_142
.LBB142_86:                             ;   in Loop: Header=BB142_21 Depth=1
	s_or_b32 exec_lo, exec_lo, s21
	s_and_saveexec_b32 s21, s12
	s_cbranch_execnz .LBB142_143
.LBB142_87:                             ;   in Loop: Header=BB142_21 Depth=1
	s_or_b32 exec_lo, exec_lo, s21
	s_and_saveexec_b32 s21, s13
	s_cbranch_execnz .LBB142_144
.LBB142_88:                             ;   in Loop: Header=BB142_21 Depth=1
	s_or_b32 exec_lo, exec_lo, s21
	s_and_saveexec_b32 s21, s14
	s_cbranch_execnz .LBB142_145
.LBB142_89:                             ;   in Loop: Header=BB142_21 Depth=1
	s_or_b32 exec_lo, exec_lo, s21
	s_and_saveexec_b32 s21, s15
	s_cbranch_execnz .LBB142_146
.LBB142_90:                             ;   in Loop: Header=BB142_21 Depth=1
	s_or_b32 exec_lo, exec_lo, s21
	s_and_saveexec_b32 s21, s16
	s_cbranch_execnz .LBB142_147
.LBB142_91:                             ;   in Loop: Header=BB142_21 Depth=1
	s_or_b32 exec_lo, exec_lo, s21
	s_and_saveexec_b32 s21, s9
	s_cbranch_execz .LBB142_20
	s_branch .LBB142_148
.LBB142_92:                             ;   in Loop: Header=BB142_21 Depth=1
	v_add_co_u32 v73, s0, s24, v29
	v_add_co_ci_u32_e64 v74, null, s25, v30, s0
	v_add_co_u32 v73, s0, 0x380, v73
	v_add_co_ci_u32_e64 v74, null, 0, v74, s0
	;; [unrolled: 2-line block ×3, first 2 shown]
	v_cndmask_b32_e32 v73, v75, v73, vcc_lo
	v_cndmask_b32_e32 v74, v76, v74, vcc_lo
	global_load_dword v77, v[73:74], off
	v_add_co_u32 v73, s0, 0, v1
	v_add_co_ci_u32_e64 v74, null, v13, v67, s0
	v_add_nc_u32_e32 v74, 0xe0, v74
	v_ashrrev_i64 v[75:76], 29, v[73:74]
	v_ashrrev_i64 v[73:74], 30, v[73:74]
	v_add_co_u32 v75, s0, s4, v75
	v_add_co_ci_u32_e64 v76, null, s5, v76, s0
	v_add_co_u32 v73, s0, s22, v73
	v_add_co_ci_u32_e64 v74, null, s23, v74, s0
	global_store_dwordx2 v[75:76], v[61:62], off
	s_waitcnt vmcnt(0)
	global_store_dword v[73:74], v77, off
	s_or_b32 exec_lo, exec_lo, s21
	s_and_saveexec_b32 s21, s42
	s_cbranch_execz .LBB142_37
.LBB142_93:                             ;   in Loop: Header=BB142_21 Depth=1
	v_add_co_u32 v73, s0, s24, v31
	v_add_co_ci_u32_e64 v74, null, s25, v32, s0
	v_add_co_u32 v75, s0, s24, v27
	v_add_co_ci_u32_e64 v76, null, s25, v28, s0
	;; [unrolled: 2-line block ×3, first 2 shown]
	v_cndmask_b32_e32 v73, v73, v75, vcc_lo
	v_cndmask_b32_e32 v74, v74, v76, vcc_lo
	global_load_dword v77, v[73:74], off
	v_add_co_u32 v73, s0, 0, v72
	v_add_co_ci_u32_e64 v74, null, v13, v65, s0
	v_ashrrev_i64 v[75:76], 29, v[73:74]
	v_ashrrev_i64 v[73:74], 30, v[73:74]
	v_add_co_u32 v75, s0, s4, v75
	v_add_co_ci_u32_e64 v76, null, s5, v76, s0
	v_add_co_u32 v73, s0, s22, v73
	v_add_co_ci_u32_e64 v74, null, s23, v74, s0
	global_store_dwordx2 v[75:76], v[59:60], off
	s_waitcnt vmcnt(0)
	global_store_dword v[73:74], v77, off
	s_or_b32 exec_lo, exec_lo, s21
	s_and_saveexec_b32 s21, s43
	s_cbranch_execz .LBB142_38
.LBB142_94:                             ;   in Loop: Header=BB142_21 Depth=1
	v_add_co_u32 v73, s0, s24, v27
	v_add_co_ci_u32_e64 v74, null, s25, v28, s0
	v_add_co_u32 v75, s0, s24, v33
	v_add_co_ci_u32_e64 v76, null, s25, v34, s0
	v_cndmask_b32_e32 v73, v75, v73, vcc_lo
	v_cndmask_b32_e32 v74, v76, v74, vcc_lo
	global_load_dword v77, v[73:74], off offset:128
	v_add_co_u32 v73, s0, 0, v72
	v_add_co_ci_u32_e64 v74, null, v13, v65, s0
	v_add_nc_u32_e32 v74, 32, v74
	v_ashrrev_i64 v[75:76], 29, v[73:74]
	v_ashrrev_i64 v[73:74], 30, v[73:74]
	v_add_co_u32 v75, s0, s4, v75
	v_add_co_ci_u32_e64 v76, null, s5, v76, s0
	v_add_co_u32 v73, s0, s22, v73
	v_add_co_ci_u32_e64 v74, null, s23, v74, s0
	global_store_dwordx2 v[75:76], v[47:48], off
	s_waitcnt vmcnt(0)
	global_store_dword v[73:74], v77, off
	s_or_b32 exec_lo, exec_lo, s21
	s_and_saveexec_b32 s21, s44
	s_cbranch_execz .LBB142_39
.LBB142_95:                             ;   in Loop: Header=BB142_21 Depth=1
	v_add_co_u32 v73, s0, s24, v27
	v_add_co_ci_u32_e64 v74, null, s25, v28, s0
	v_add_co_u32 v75, s0, s24, v35
	v_add_co_ci_u32_e64 v76, null, s25, v36, s0
	;; [unrolled: 2-line block ×4, first 2 shown]
	v_cndmask_b32_e32 v73, v75, v73, vcc_lo
	v_cndmask_b32_e32 v74, v76, v74, vcc_lo
	global_load_dword v77, v[73:74], off
	v_add_co_u32 v73, s0, 0, v72
	v_add_co_ci_u32_e64 v74, null, v13, v65, s0
	v_add_nc_u32_e32 v74, 64, v74
	v_ashrrev_i64 v[75:76], 29, v[73:74]
	v_ashrrev_i64 v[73:74], 30, v[73:74]
	v_add_co_u32 v75, s0, s4, v75
	v_add_co_ci_u32_e64 v76, null, s5, v76, s0
	v_add_co_u32 v73, s0, s22, v73
	v_add_co_ci_u32_e64 v74, null, s23, v74, s0
	global_store_dwordx2 v[75:76], v[49:50], off
	s_waitcnt vmcnt(0)
	global_store_dword v[73:74], v77, off
	s_or_b32 exec_lo, exec_lo, s21
	s_and_saveexec_b32 s21, s45
	s_cbranch_execz .LBB142_40
.LBB142_96:                             ;   in Loop: Header=BB142_21 Depth=1
	v_add_co_u32 v73, s0, s24, v27
	v_add_co_ci_u32_e64 v74, null, s25, v28, s0
	v_add_co_u32 v75, s0, s24, v37
	v_add_co_ci_u32_e64 v76, null, s25, v38, s0
	;; [unrolled: 2-line block ×4, first 2 shown]
	v_cndmask_b32_e32 v73, v75, v73, vcc_lo
	v_cndmask_b32_e32 v74, v76, v74, vcc_lo
	global_load_dword v77, v[73:74], off
	v_add_co_u32 v73, s0, 0, v72
	v_add_co_ci_u32_e64 v74, null, v13, v65, s0
	v_add_nc_u32_e32 v74, 0x60, v74
	v_ashrrev_i64 v[75:76], 29, v[73:74]
	v_ashrrev_i64 v[73:74], 30, v[73:74]
	v_add_co_u32 v75, s0, s4, v75
	v_add_co_ci_u32_e64 v76, null, s5, v76, s0
	v_add_co_u32 v73, s0, s22, v73
	v_add_co_ci_u32_e64 v74, null, s23, v74, s0
	global_store_dwordx2 v[75:76], v[51:52], off
	s_waitcnt vmcnt(0)
	global_store_dword v[73:74], v77, off
	s_or_b32 exec_lo, exec_lo, s21
	s_and_saveexec_b32 s21, s46
	s_cbranch_execz .LBB142_41
.LBB142_97:                             ;   in Loop: Header=BB142_21 Depth=1
	v_add_co_u32 v73, s0, s24, v27
	v_add_co_ci_u32_e64 v74, null, s25, v28, s0
	v_add_co_u32 v75, s0, s24, v39
	v_add_co_ci_u32_e64 v76, null, s25, v40, s0
	;; [unrolled: 2-line block ×4, first 2 shown]
	v_cndmask_b32_e32 v73, v75, v73, vcc_lo
	v_cndmask_b32_e32 v74, v76, v74, vcc_lo
	global_load_dword v77, v[73:74], off
	v_add_co_u32 v73, s0, 0, v72
	v_add_co_ci_u32_e64 v74, null, v13, v65, s0
	v_add_nc_u32_e32 v74, 0x80, v74
	v_ashrrev_i64 v[75:76], 29, v[73:74]
	v_ashrrev_i64 v[73:74], 30, v[73:74]
	v_add_co_u32 v75, s0, s4, v75
	v_add_co_ci_u32_e64 v76, null, s5, v76, s0
	v_add_co_u32 v73, s0, s22, v73
	v_add_co_ci_u32_e64 v74, null, s23, v74, s0
	global_store_dwordx2 v[75:76], v[53:54], off
	s_waitcnt vmcnt(0)
	global_store_dword v[73:74], v77, off
	s_or_b32 exec_lo, exec_lo, s21
	s_and_saveexec_b32 s21, s47
	s_cbranch_execz .LBB142_42
.LBB142_98:                             ;   in Loop: Header=BB142_21 Depth=1
	v_add_co_u32 v73, s0, s24, v27
	v_add_co_ci_u32_e64 v74, null, s25, v28, s0
	v_add_co_u32 v75, s0, s24, v41
	v_add_co_ci_u32_e64 v76, null, s25, v42, s0
	;; [unrolled: 2-line block ×4, first 2 shown]
	v_cndmask_b32_e32 v73, v75, v73, vcc_lo
	v_cndmask_b32_e32 v74, v76, v74, vcc_lo
	global_load_dword v77, v[73:74], off
	v_add_co_u32 v73, s0, 0, v72
	v_add_co_ci_u32_e64 v74, null, v13, v65, s0
	v_add_nc_u32_e32 v74, 0xa0, v74
	v_ashrrev_i64 v[75:76], 29, v[73:74]
	v_ashrrev_i64 v[73:74], 30, v[73:74]
	v_add_co_u32 v75, s0, s4, v75
	v_add_co_ci_u32_e64 v76, null, s5, v76, s0
	v_add_co_u32 v73, s0, s22, v73
	v_add_co_ci_u32_e64 v74, null, s23, v74, s0
	global_store_dwordx2 v[75:76], v[55:56], off
	s_waitcnt vmcnt(0)
	global_store_dword v[73:74], v77, off
	s_or_b32 exec_lo, exec_lo, s21
	s_and_saveexec_b32 s21, s48
	s_cbranch_execz .LBB142_43
.LBB142_99:                             ;   in Loop: Header=BB142_21 Depth=1
	v_add_co_u32 v73, s0, s24, v27
	v_add_co_ci_u32_e64 v74, null, s25, v28, s0
	v_add_co_u32 v75, s0, s24, v43
	v_add_co_ci_u32_e64 v76, null, s25, v44, s0
	;; [unrolled: 2-line block ×4, first 2 shown]
	v_cndmask_b32_e32 v73, v75, v73, vcc_lo
	v_cndmask_b32_e32 v74, v76, v74, vcc_lo
	global_load_dword v77, v[73:74], off
	v_add_co_u32 v73, s0, 0, v72
	v_add_co_ci_u32_e64 v74, null, v13, v65, s0
	v_add_nc_u32_e32 v74, 0xc0, v74
	v_ashrrev_i64 v[75:76], 29, v[73:74]
	v_ashrrev_i64 v[73:74], 30, v[73:74]
	v_add_co_u32 v75, s0, s4, v75
	v_add_co_ci_u32_e64 v76, null, s5, v76, s0
	v_add_co_u32 v73, s0, s22, v73
	v_add_co_ci_u32_e64 v74, null, s23, v74, s0
	global_store_dwordx2 v[75:76], v[57:58], off
	s_waitcnt vmcnt(0)
	global_store_dword v[73:74], v77, off
	s_or_b32 exec_lo, exec_lo, s21
	s_and_saveexec_b32 s21, s1
	s_cbranch_execz .LBB142_44
.LBB142_100:                            ;   in Loop: Header=BB142_21 Depth=1
	v_add_co_u32 v73, s0, s24, v27
	v_add_co_ci_u32_e64 v74, null, s25, v28, s0
	v_add_co_u32 v75, s0, s24, v45
	v_add_co_ci_u32_e64 v76, null, s25, v46, s0
	;; [unrolled: 2-line block ×4, first 2 shown]
	v_cndmask_b32_e32 v73, v75, v73, vcc_lo
	v_cndmask_b32_e32 v74, v76, v74, vcc_lo
	global_load_dword v77, v[73:74], off
	v_add_co_u32 v73, s0, 0, v72
	v_add_co_ci_u32_e64 v74, null, v13, v65, s0
	v_add_nc_u32_e32 v74, 0xe0, v74
	v_ashrrev_i64 v[75:76], 29, v[73:74]
	v_ashrrev_i64 v[73:74], 30, v[73:74]
	v_add_co_u32 v75, s0, s4, v75
	v_add_co_ci_u32_e64 v76, null, s5, v76, s0
	v_add_co_u32 v73, s0, s22, v73
	v_add_co_ci_u32_e64 v74, null, s23, v74, s0
	global_store_dwordx2 v[75:76], v[61:62], off
	s_waitcnt vmcnt(0)
	global_store_dword v[73:74], v77, off
	s_or_b32 exec_lo, exec_lo, s21
	s_and_saveexec_b32 s21, s49
	s_cbranch_execz .LBB142_45
.LBB142_101:                            ;   in Loop: Header=BB142_21 Depth=1
	v_add_co_u32 v73, s0, s24, v31
	v_add_co_ci_u32_e64 v74, null, s25, v32, s0
	v_add_co_u32 v75, s0, s24, v25
	v_add_co_ci_u32_e64 v76, null, s25, v26, s0
	;; [unrolled: 2-line block ×3, first 2 shown]
	v_cndmask_b32_e32 v73, v73, v75, vcc_lo
	v_cndmask_b32_e32 v74, v74, v76, vcc_lo
	global_load_dword v77, v[73:74], off
	v_add_co_u32 v73, s0, 0, v71
	v_add_co_ci_u32_e64 v74, null, v13, v63, s0
	v_ashrrev_i64 v[75:76], 29, v[73:74]
	v_ashrrev_i64 v[73:74], 30, v[73:74]
	v_add_co_u32 v75, s0, s4, v75
	v_add_co_ci_u32_e64 v76, null, s5, v76, s0
	v_add_co_u32 v73, s0, s22, v73
	v_add_co_ci_u32_e64 v74, null, s23, v74, s0
	global_store_dwordx2 v[75:76], v[59:60], off
	s_waitcnt vmcnt(0)
	global_store_dword v[73:74], v77, off
	s_or_b32 exec_lo, exec_lo, s21
	s_and_saveexec_b32 s21, s50
	s_cbranch_execz .LBB142_46
.LBB142_102:                            ;   in Loop: Header=BB142_21 Depth=1
	v_add_co_u32 v73, s0, s24, v25
	v_add_co_ci_u32_e64 v74, null, s25, v26, s0
	v_add_co_u32 v75, s0, s24, v33
	v_add_co_ci_u32_e64 v76, null, s25, v34, s0
	;; [unrolled: 2-line block ×4, first 2 shown]
	v_cndmask_b32_e32 v73, v75, v73, vcc_lo
	v_cndmask_b32_e32 v74, v76, v74, vcc_lo
	global_load_dword v77, v[73:74], off
	v_add_co_u32 v73, s0, 0, v71
	v_add_co_ci_u32_e64 v74, null, v13, v63, s0
	v_add_nc_u32_e32 v74, 32, v74
	v_ashrrev_i64 v[75:76], 29, v[73:74]
	v_ashrrev_i64 v[73:74], 30, v[73:74]
	v_add_co_u32 v75, s0, s4, v75
	v_add_co_ci_u32_e64 v76, null, s5, v76, s0
	v_add_co_u32 v73, s0, s22, v73
	v_add_co_ci_u32_e64 v74, null, s23, v74, s0
	global_store_dwordx2 v[75:76], v[47:48], off
	s_waitcnt vmcnt(0)
	global_store_dword v[73:74], v77, off
	s_or_b32 exec_lo, exec_lo, s21
	s_and_saveexec_b32 s21, s51
	s_cbranch_execz .LBB142_47
.LBB142_103:                            ;   in Loop: Header=BB142_21 Depth=1
	v_add_co_u32 v73, s0, s24, v25
	v_add_co_ci_u32_e64 v74, null, s25, v26, s0
	v_add_co_u32 v75, s0, s24, v35
	v_add_co_ci_u32_e64 v76, null, s25, v36, s0
	v_cndmask_b32_e32 v73, v75, v73, vcc_lo
	v_cndmask_b32_e32 v74, v76, v74, vcc_lo
	global_load_dword v77, v[73:74], off offset:256
	v_add_co_u32 v73, s0, 0, v71
	v_add_co_ci_u32_e64 v74, null, v13, v63, s0
	v_add_nc_u32_e32 v74, 64, v74
	v_ashrrev_i64 v[75:76], 29, v[73:74]
	v_ashrrev_i64 v[73:74], 30, v[73:74]
	v_add_co_u32 v75, s0, s4, v75
	v_add_co_ci_u32_e64 v76, null, s5, v76, s0
	v_add_co_u32 v73, s0, s22, v73
	v_add_co_ci_u32_e64 v74, null, s23, v74, s0
	global_store_dwordx2 v[75:76], v[49:50], off
	s_waitcnt vmcnt(0)
	global_store_dword v[73:74], v77, off
	s_or_b32 exec_lo, exec_lo, s21
	s_and_saveexec_b32 s21, s52
	s_cbranch_execz .LBB142_48
.LBB142_104:                            ;   in Loop: Header=BB142_21 Depth=1
	v_add_co_u32 v73, s0, s24, v25
	v_add_co_ci_u32_e64 v74, null, s25, v26, s0
	v_add_co_u32 v75, s0, s24, v37
	v_add_co_ci_u32_e64 v76, null, s25, v38, s0
	;; [unrolled: 2-line block ×4, first 2 shown]
	v_cndmask_b32_e32 v73, v75, v73, vcc_lo
	v_cndmask_b32_e32 v74, v76, v74, vcc_lo
	global_load_dword v77, v[73:74], off
	v_add_co_u32 v73, s0, 0, v71
	v_add_co_ci_u32_e64 v74, null, v13, v63, s0
	v_add_nc_u32_e32 v74, 0x60, v74
	v_ashrrev_i64 v[75:76], 29, v[73:74]
	v_ashrrev_i64 v[73:74], 30, v[73:74]
	v_add_co_u32 v75, s0, s4, v75
	v_add_co_ci_u32_e64 v76, null, s5, v76, s0
	v_add_co_u32 v73, s0, s22, v73
	v_add_co_ci_u32_e64 v74, null, s23, v74, s0
	global_store_dwordx2 v[75:76], v[51:52], off
	s_waitcnt vmcnt(0)
	global_store_dword v[73:74], v77, off
	s_or_b32 exec_lo, exec_lo, s21
	s_and_saveexec_b32 s21, s53
	s_cbranch_execz .LBB142_49
.LBB142_105:                            ;   in Loop: Header=BB142_21 Depth=1
	v_add_co_u32 v73, s0, s24, v25
	v_add_co_ci_u32_e64 v74, null, s25, v26, s0
	v_add_co_u32 v75, s0, s24, v39
	v_add_co_ci_u32_e64 v76, null, s25, v40, s0
	;; [unrolled: 2-line block ×4, first 2 shown]
	v_cndmask_b32_e32 v73, v75, v73, vcc_lo
	v_cndmask_b32_e32 v74, v76, v74, vcc_lo
	global_load_dword v77, v[73:74], off
	v_add_co_u32 v73, s0, 0, v71
	v_add_co_ci_u32_e64 v74, null, v13, v63, s0
	v_add_nc_u32_e32 v74, 0x80, v74
	v_ashrrev_i64 v[75:76], 29, v[73:74]
	v_ashrrev_i64 v[73:74], 30, v[73:74]
	v_add_co_u32 v75, s0, s4, v75
	v_add_co_ci_u32_e64 v76, null, s5, v76, s0
	v_add_co_u32 v73, s0, s22, v73
	v_add_co_ci_u32_e64 v74, null, s23, v74, s0
	global_store_dwordx2 v[75:76], v[53:54], off
	s_waitcnt vmcnt(0)
	global_store_dword v[73:74], v77, off
	s_or_b32 exec_lo, exec_lo, s21
	s_and_saveexec_b32 s21, s54
	s_cbranch_execz .LBB142_50
.LBB142_106:                            ;   in Loop: Header=BB142_21 Depth=1
	v_add_co_u32 v73, s0, s24, v25
	v_add_co_ci_u32_e64 v74, null, s25, v26, s0
	v_add_co_u32 v75, s0, s24, v41
	v_add_co_ci_u32_e64 v76, null, s25, v42, s0
	;; [unrolled: 2-line block ×4, first 2 shown]
	v_cndmask_b32_e32 v73, v75, v73, vcc_lo
	v_cndmask_b32_e32 v74, v76, v74, vcc_lo
	global_load_dword v77, v[73:74], off
	v_add_co_u32 v73, s0, 0, v71
	v_add_co_ci_u32_e64 v74, null, v13, v63, s0
	v_add_nc_u32_e32 v74, 0xa0, v74
	v_ashrrev_i64 v[75:76], 29, v[73:74]
	v_ashrrev_i64 v[73:74], 30, v[73:74]
	v_add_co_u32 v75, s0, s4, v75
	v_add_co_ci_u32_e64 v76, null, s5, v76, s0
	v_add_co_u32 v73, s0, s22, v73
	v_add_co_ci_u32_e64 v74, null, s23, v74, s0
	global_store_dwordx2 v[75:76], v[55:56], off
	s_waitcnt vmcnt(0)
	global_store_dword v[73:74], v77, off
	s_or_b32 exec_lo, exec_lo, s21
	s_and_saveexec_b32 s21, s55
	s_cbranch_execz .LBB142_51
.LBB142_107:                            ;   in Loop: Header=BB142_21 Depth=1
	v_add_co_u32 v73, s0, s24, v25
	v_add_co_ci_u32_e64 v74, null, s25, v26, s0
	v_add_co_u32 v75, s0, s24, v43
	v_add_co_ci_u32_e64 v76, null, s25, v44, s0
	;; [unrolled: 2-line block ×4, first 2 shown]
	v_cndmask_b32_e32 v73, v75, v73, vcc_lo
	v_cndmask_b32_e32 v74, v76, v74, vcc_lo
	global_load_dword v77, v[73:74], off
	v_add_co_u32 v73, s0, 0, v71
	v_add_co_ci_u32_e64 v74, null, v13, v63, s0
	v_add_nc_u32_e32 v74, 0xc0, v74
	v_ashrrev_i64 v[75:76], 29, v[73:74]
	v_ashrrev_i64 v[73:74], 30, v[73:74]
	v_add_co_u32 v75, s0, s4, v75
	v_add_co_ci_u32_e64 v76, null, s5, v76, s0
	v_add_co_u32 v73, s0, s22, v73
	v_add_co_ci_u32_e64 v74, null, s23, v74, s0
	global_store_dwordx2 v[75:76], v[57:58], off
	s_waitcnt vmcnt(0)
	global_store_dword v[73:74], v77, off
	s_or_b32 exec_lo, exec_lo, s21
	s_and_saveexec_b32 s21, s56
	s_cbranch_execz .LBB142_52
.LBB142_108:                            ;   in Loop: Header=BB142_21 Depth=1
	v_add_co_u32 v73, s0, s24, v25
	v_add_co_ci_u32_e64 v74, null, s25, v26, s0
	v_add_co_u32 v75, s0, s24, v45
	v_add_co_ci_u32_e64 v76, null, s25, v46, s0
	;; [unrolled: 2-line block ×4, first 2 shown]
	v_cndmask_b32_e32 v73, v75, v73, vcc_lo
	v_cndmask_b32_e32 v74, v76, v74, vcc_lo
	global_load_dword v77, v[73:74], off
	v_add_co_u32 v73, s0, 0, v71
	v_add_co_ci_u32_e64 v74, null, v13, v63, s0
	v_add_nc_u32_e32 v74, 0xe0, v74
	v_ashrrev_i64 v[75:76], 29, v[73:74]
	v_ashrrev_i64 v[73:74], 30, v[73:74]
	v_add_co_u32 v75, s0, s4, v75
	v_add_co_ci_u32_e64 v76, null, s5, v76, s0
	v_add_co_u32 v73, s0, s22, v73
	v_add_co_ci_u32_e64 v74, null, s23, v74, s0
	global_store_dwordx2 v[75:76], v[61:62], off
	s_waitcnt vmcnt(0)
	global_store_dword v[73:74], v77, off
	s_or_b32 exec_lo, exec_lo, s21
	s_and_saveexec_b32 s21, s57
	s_cbranch_execz .LBB142_53
.LBB142_109:                            ;   in Loop: Header=BB142_21 Depth=1
	v_add_co_u32 v73, s0, s24, v31
	v_add_co_ci_u32_e64 v74, null, s25, v32, s0
	v_add_co_u32 v75, s0, s24, v23
	v_add_co_ci_u32_e64 v76, null, s25, v24, s0
	;; [unrolled: 2-line block ×3, first 2 shown]
	v_cndmask_b32_e32 v73, v73, v75, vcc_lo
	v_cndmask_b32_e32 v74, v74, v76, vcc_lo
	global_load_dword v77, v[73:74], off
	v_add_co_u32 v73, s0, 0, v70
	v_add_co_ci_u32_e64 v74, null, v13, v11, s0
	v_ashrrev_i64 v[75:76], 29, v[73:74]
	v_ashrrev_i64 v[73:74], 30, v[73:74]
	v_add_co_u32 v75, s0, s4, v75
	v_add_co_ci_u32_e64 v76, null, s5, v76, s0
	v_add_co_u32 v73, s0, s22, v73
	v_add_co_ci_u32_e64 v74, null, s23, v74, s0
	global_store_dwordx2 v[75:76], v[59:60], off
	s_waitcnt vmcnt(0)
	global_store_dword v[73:74], v77, off
	s_or_b32 exec_lo, exec_lo, s21
	s_and_saveexec_b32 s21, s58
	s_cbranch_execz .LBB142_54
.LBB142_110:                            ;   in Loop: Header=BB142_21 Depth=1
	v_add_co_u32 v73, s0, s24, v23
	v_add_co_ci_u32_e64 v74, null, s25, v24, s0
	v_add_co_u32 v75, s0, s24, v33
	v_add_co_ci_u32_e64 v76, null, s25, v34, s0
	;; [unrolled: 2-line block ×4, first 2 shown]
	v_cndmask_b32_e32 v73, v75, v73, vcc_lo
	v_cndmask_b32_e32 v74, v76, v74, vcc_lo
	global_load_dword v77, v[73:74], off
	v_add_co_u32 v73, s0, 0, v70
	v_add_co_ci_u32_e64 v74, null, v13, v11, s0
	v_add_nc_u32_e32 v74, 32, v74
	v_ashrrev_i64 v[75:76], 29, v[73:74]
	v_ashrrev_i64 v[73:74], 30, v[73:74]
	v_add_co_u32 v75, s0, s4, v75
	v_add_co_ci_u32_e64 v76, null, s5, v76, s0
	v_add_co_u32 v73, s0, s22, v73
	v_add_co_ci_u32_e64 v74, null, s23, v74, s0
	global_store_dwordx2 v[75:76], v[47:48], off
	s_waitcnt vmcnt(0)
	global_store_dword v[73:74], v77, off
	s_or_b32 exec_lo, exec_lo, s21
	s_and_saveexec_b32 s21, s59
	s_cbranch_execz .LBB142_55
.LBB142_111:                            ;   in Loop: Header=BB142_21 Depth=1
	v_add_co_u32 v73, s0, s24, v23
	v_add_co_ci_u32_e64 v74, null, s25, v24, s0
	v_add_co_u32 v75, s0, s24, v35
	v_add_co_ci_u32_e64 v76, null, s25, v36, s0
	;; [unrolled: 2-line block ×4, first 2 shown]
	v_cndmask_b32_e32 v73, v75, v73, vcc_lo
	v_cndmask_b32_e32 v74, v76, v74, vcc_lo
	global_load_dword v77, v[73:74], off
	v_add_co_u32 v73, s0, 0, v70
	v_add_co_ci_u32_e64 v74, null, v13, v11, s0
	v_add_nc_u32_e32 v74, 64, v74
	v_ashrrev_i64 v[75:76], 29, v[73:74]
	v_ashrrev_i64 v[73:74], 30, v[73:74]
	v_add_co_u32 v75, s0, s4, v75
	v_add_co_ci_u32_e64 v76, null, s5, v76, s0
	v_add_co_u32 v73, s0, s22, v73
	v_add_co_ci_u32_e64 v74, null, s23, v74, s0
	global_store_dwordx2 v[75:76], v[49:50], off
	s_waitcnt vmcnt(0)
	global_store_dword v[73:74], v77, off
	s_or_b32 exec_lo, exec_lo, s21
	s_and_saveexec_b32 s21, s60
	s_cbranch_execz .LBB142_56
.LBB142_112:                            ;   in Loop: Header=BB142_21 Depth=1
	v_add_co_u32 v73, s0, s24, v23
	v_add_co_ci_u32_e64 v74, null, s25, v24, s0
	v_add_co_u32 v75, s0, s24, v37
	v_add_co_ci_u32_e64 v76, null, s25, v38, s0
	v_cndmask_b32_e32 v73, v75, v73, vcc_lo
	v_cndmask_b32_e32 v74, v76, v74, vcc_lo
	global_load_dword v77, v[73:74], off offset:384
	v_add_co_u32 v73, s0, 0, v70
	v_add_co_ci_u32_e64 v74, null, v13, v11, s0
	v_add_nc_u32_e32 v74, 0x60, v74
	v_ashrrev_i64 v[75:76], 29, v[73:74]
	v_ashrrev_i64 v[73:74], 30, v[73:74]
	v_add_co_u32 v75, s0, s4, v75
	v_add_co_ci_u32_e64 v76, null, s5, v76, s0
	v_add_co_u32 v73, s0, s22, v73
	v_add_co_ci_u32_e64 v74, null, s23, v74, s0
	global_store_dwordx2 v[75:76], v[51:52], off
	s_waitcnt vmcnt(0)
	global_store_dword v[73:74], v77, off
	s_or_b32 exec_lo, exec_lo, s21
	s_and_saveexec_b32 s21, s61
	s_cbranch_execz .LBB142_57
.LBB142_113:                            ;   in Loop: Header=BB142_21 Depth=1
	v_add_co_u32 v73, s0, s24, v23
	v_add_co_ci_u32_e64 v74, null, s25, v24, s0
	v_add_co_u32 v75, s0, s24, v39
	v_add_co_ci_u32_e64 v76, null, s25, v40, s0
	;; [unrolled: 2-line block ×4, first 2 shown]
	v_cndmask_b32_e32 v73, v75, v73, vcc_lo
	v_cndmask_b32_e32 v74, v76, v74, vcc_lo
	global_load_dword v77, v[73:74], off
	v_add_co_u32 v73, s0, 0, v70
	v_add_co_ci_u32_e64 v74, null, v13, v11, s0
	v_add_nc_u32_e32 v74, 0x80, v74
	v_ashrrev_i64 v[75:76], 29, v[73:74]
	v_ashrrev_i64 v[73:74], 30, v[73:74]
	v_add_co_u32 v75, s0, s4, v75
	v_add_co_ci_u32_e64 v76, null, s5, v76, s0
	v_add_co_u32 v73, s0, s22, v73
	v_add_co_ci_u32_e64 v74, null, s23, v74, s0
	global_store_dwordx2 v[75:76], v[53:54], off
	s_waitcnt vmcnt(0)
	global_store_dword v[73:74], v77, off
	s_or_b32 exec_lo, exec_lo, s21
	s_and_saveexec_b32 s21, s62
	s_cbranch_execz .LBB142_58
.LBB142_114:                            ;   in Loop: Header=BB142_21 Depth=1
	v_add_co_u32 v73, s0, s24, v23
	v_add_co_ci_u32_e64 v74, null, s25, v24, s0
	v_add_co_u32 v75, s0, s24, v41
	v_add_co_ci_u32_e64 v76, null, s25, v42, s0
	;; [unrolled: 2-line block ×4, first 2 shown]
	v_cndmask_b32_e32 v73, v75, v73, vcc_lo
	v_cndmask_b32_e32 v74, v76, v74, vcc_lo
	global_load_dword v77, v[73:74], off
	v_add_co_u32 v73, s0, 0, v70
	v_add_co_ci_u32_e64 v74, null, v13, v11, s0
	v_add_nc_u32_e32 v74, 0xa0, v74
	v_ashrrev_i64 v[75:76], 29, v[73:74]
	v_ashrrev_i64 v[73:74], 30, v[73:74]
	v_add_co_u32 v75, s0, s4, v75
	v_add_co_ci_u32_e64 v76, null, s5, v76, s0
	v_add_co_u32 v73, s0, s22, v73
	v_add_co_ci_u32_e64 v74, null, s23, v74, s0
	global_store_dwordx2 v[75:76], v[55:56], off
	s_waitcnt vmcnt(0)
	global_store_dword v[73:74], v77, off
	s_or_b32 exec_lo, exec_lo, s21
	s_and_saveexec_b32 s21, s63
	s_cbranch_execz .LBB142_59
.LBB142_115:                            ;   in Loop: Header=BB142_21 Depth=1
	v_add_co_u32 v73, s0, s24, v23
	v_add_co_ci_u32_e64 v74, null, s25, v24, s0
	v_add_co_u32 v75, s0, s24, v43
	v_add_co_ci_u32_e64 v76, null, s25, v44, s0
	v_add_co_u32 v73, s0, 0x300, v73
	v_add_co_ci_u32_e64 v74, null, 0, v74, s0
	v_add_co_u32 v75, s0, 0x180, v75
	v_add_co_ci_u32_e64 v76, null, 0, v76, s0
	v_cndmask_b32_e32 v73, v75, v73, vcc_lo
	v_cndmask_b32_e32 v74, v76, v74, vcc_lo
	global_load_dword v77, v[73:74], off
	v_add_co_u32 v73, s0, 0, v70
	v_add_co_ci_u32_e64 v74, null, v13, v11, s0
	v_add_nc_u32_e32 v74, 0xc0, v74
	v_ashrrev_i64 v[75:76], 29, v[73:74]
	v_ashrrev_i64 v[73:74], 30, v[73:74]
	v_add_co_u32 v75, s0, s4, v75
	v_add_co_ci_u32_e64 v76, null, s5, v76, s0
	v_add_co_u32 v73, s0, s22, v73
	v_add_co_ci_u32_e64 v74, null, s23, v74, s0
	global_store_dwordx2 v[75:76], v[57:58], off
	s_waitcnt vmcnt(0)
	global_store_dword v[73:74], v77, off
	s_or_b32 exec_lo, exec_lo, s21
	s_and_saveexec_b32 s21, s64
	s_cbranch_execz .LBB142_60
.LBB142_116:                            ;   in Loop: Header=BB142_21 Depth=1
	v_add_co_u32 v73, s0, s24, v23
	v_add_co_ci_u32_e64 v74, null, s25, v24, s0
	v_add_co_u32 v75, s0, s24, v45
	v_add_co_ci_u32_e64 v76, null, s25, v46, s0
	;; [unrolled: 2-line block ×4, first 2 shown]
	v_cndmask_b32_e32 v73, v75, v73, vcc_lo
	v_cndmask_b32_e32 v74, v76, v74, vcc_lo
	global_load_dword v77, v[73:74], off
	v_add_co_u32 v73, s0, 0, v70
	v_add_co_ci_u32_e64 v74, null, v13, v11, s0
	v_add_nc_u32_e32 v74, 0xe0, v74
	v_ashrrev_i64 v[75:76], 29, v[73:74]
	v_ashrrev_i64 v[73:74], 30, v[73:74]
	v_add_co_u32 v75, s0, s4, v75
	v_add_co_ci_u32_e64 v76, null, s5, v76, s0
	v_add_co_u32 v73, s0, s22, v73
	v_add_co_ci_u32_e64 v74, null, s23, v74, s0
	global_store_dwordx2 v[75:76], v[61:62], off
	s_waitcnt vmcnt(0)
	global_store_dword v[73:74], v77, off
	s_or_b32 exec_lo, exec_lo, s21
	s_and_saveexec_b32 s21, s65
	s_cbranch_execz .LBB142_61
.LBB142_117:                            ;   in Loop: Header=BB142_21 Depth=1
	v_add_co_u32 v73, s0, s24, v31
	v_add_co_ci_u32_e64 v74, null, s25, v32, s0
	v_add_co_u32 v75, s0, s24, v21
	v_add_co_ci_u32_e64 v76, null, s25, v22, s0
	;; [unrolled: 2-line block ×3, first 2 shown]
	v_cndmask_b32_e32 v73, v73, v75, vcc_lo
	v_cndmask_b32_e32 v74, v74, v76, vcc_lo
	global_load_dword v77, v[73:74], off
	v_add_co_u32 v73, s0, 0, v69
	v_add_co_ci_u32_e64 v74, null, v13, v9, s0
	v_ashrrev_i64 v[75:76], 29, v[73:74]
	v_ashrrev_i64 v[73:74], 30, v[73:74]
	v_add_co_u32 v75, s0, s4, v75
	v_add_co_ci_u32_e64 v76, null, s5, v76, s0
	v_add_co_u32 v73, s0, s22, v73
	v_add_co_ci_u32_e64 v74, null, s23, v74, s0
	global_store_dwordx2 v[75:76], v[59:60], off
	s_waitcnt vmcnt(0)
	global_store_dword v[73:74], v77, off
	s_or_b32 exec_lo, exec_lo, s21
	s_and_saveexec_b32 s21, s66
	s_cbranch_execz .LBB142_62
.LBB142_118:                            ;   in Loop: Header=BB142_21 Depth=1
	v_add_co_u32 v73, s0, s24, v21
	v_add_co_ci_u32_e64 v74, null, s25, v22, s0
	v_add_co_u32 v75, s0, s24, v33
	v_add_co_ci_u32_e64 v76, null, s25, v34, s0
	v_add_co_u32 v73, s0, 0x80, v73
	v_add_co_ci_u32_e64 v74, null, 0, v74, s0
	v_add_co_u32 v75, s0, 0x200, v75
	v_add_co_ci_u32_e64 v76, null, 0, v76, s0
	v_cndmask_b32_e32 v73, v75, v73, vcc_lo
	v_cndmask_b32_e32 v74, v76, v74, vcc_lo
	global_load_dword v77, v[73:74], off
	v_add_co_u32 v73, s0, 0, v69
	v_add_co_ci_u32_e64 v74, null, v13, v9, s0
	v_add_nc_u32_e32 v74, 32, v74
	v_ashrrev_i64 v[75:76], 29, v[73:74]
	v_ashrrev_i64 v[73:74], 30, v[73:74]
	v_add_co_u32 v75, s0, s4, v75
	v_add_co_ci_u32_e64 v76, null, s5, v76, s0
	v_add_co_u32 v73, s0, s22, v73
	v_add_co_ci_u32_e64 v74, null, s23, v74, s0
	global_store_dwordx2 v[75:76], v[47:48], off
	s_waitcnt vmcnt(0)
	global_store_dword v[73:74], v77, off
	s_or_b32 exec_lo, exec_lo, s21
	s_and_saveexec_b32 s21, s67
	s_cbranch_execz .LBB142_63
.LBB142_119:                            ;   in Loop: Header=BB142_21 Depth=1
	v_add_co_u32 v73, s0, s24, v21
	v_add_co_ci_u32_e64 v74, null, s25, v22, s0
	v_add_co_u32 v75, s0, s24, v35
	v_add_co_ci_u32_e64 v76, null, s25, v36, s0
	;; [unrolled: 2-line block ×4, first 2 shown]
	v_cndmask_b32_e32 v73, v75, v73, vcc_lo
	v_cndmask_b32_e32 v74, v76, v74, vcc_lo
	global_load_dword v77, v[73:74], off
	v_add_co_u32 v73, s0, 0, v69
	v_add_co_ci_u32_e64 v74, null, v13, v9, s0
	v_add_nc_u32_e32 v74, 64, v74
	v_ashrrev_i64 v[75:76], 29, v[73:74]
	v_ashrrev_i64 v[73:74], 30, v[73:74]
	v_add_co_u32 v75, s0, s4, v75
	v_add_co_ci_u32_e64 v76, null, s5, v76, s0
	v_add_co_u32 v73, s0, s22, v73
	v_add_co_ci_u32_e64 v74, null, s23, v74, s0
	global_store_dwordx2 v[75:76], v[49:50], off
	s_waitcnt vmcnt(0)
	global_store_dword v[73:74], v77, off
	s_or_b32 exec_lo, exec_lo, s21
	s_and_saveexec_b32 s21, s68
	s_cbranch_execz .LBB142_64
.LBB142_120:                            ;   in Loop: Header=BB142_21 Depth=1
	v_add_co_u32 v73, s0, s24, v21
	v_add_co_ci_u32_e64 v74, null, s25, v22, s0
	v_add_co_u32 v75, s0, s24, v37
	v_add_co_ci_u32_e64 v76, null, s25, v38, s0
	;; [unrolled: 2-line block ×4, first 2 shown]
	v_cndmask_b32_e32 v73, v75, v73, vcc_lo
	v_cndmask_b32_e32 v74, v76, v74, vcc_lo
	global_load_dword v77, v[73:74], off
	v_add_co_u32 v73, s0, 0, v69
	v_add_co_ci_u32_e64 v74, null, v13, v9, s0
	v_add_nc_u32_e32 v74, 0x60, v74
	v_ashrrev_i64 v[75:76], 29, v[73:74]
	v_ashrrev_i64 v[73:74], 30, v[73:74]
	v_add_co_u32 v75, s0, s4, v75
	v_add_co_ci_u32_e64 v76, null, s5, v76, s0
	v_add_co_u32 v73, s0, s22, v73
	v_add_co_ci_u32_e64 v74, null, s23, v74, s0
	global_store_dwordx2 v[75:76], v[51:52], off
	s_waitcnt vmcnt(0)
	global_store_dword v[73:74], v77, off
	s_or_b32 exec_lo, exec_lo, s21
	s_and_saveexec_b32 s21, s69
	s_cbranch_execz .LBB142_65
.LBB142_121:                            ;   in Loop: Header=BB142_21 Depth=1
	v_add_co_u32 v73, s0, s24, v21
	v_add_co_ci_u32_e64 v74, null, s25, v22, s0
	v_add_co_u32 v75, s0, s24, v39
	v_add_co_ci_u32_e64 v76, null, s25, v40, s0
	v_cndmask_b32_e32 v73, v75, v73, vcc_lo
	v_cndmask_b32_e32 v74, v76, v74, vcc_lo
	global_load_dword v77, v[73:74], off offset:512
	v_add_co_u32 v73, s0, 0, v69
	v_add_co_ci_u32_e64 v74, null, v13, v9, s0
	v_add_nc_u32_e32 v74, 0x80, v74
	v_ashrrev_i64 v[75:76], 29, v[73:74]
	v_ashrrev_i64 v[73:74], 30, v[73:74]
	v_add_co_u32 v75, s0, s4, v75
	v_add_co_ci_u32_e64 v76, null, s5, v76, s0
	v_add_co_u32 v73, s0, s22, v73
	v_add_co_ci_u32_e64 v74, null, s23, v74, s0
	global_store_dwordx2 v[75:76], v[53:54], off
	s_waitcnt vmcnt(0)
	global_store_dword v[73:74], v77, off
	s_or_b32 exec_lo, exec_lo, s21
	s_and_saveexec_b32 s21, s70
	s_cbranch_execz .LBB142_66
.LBB142_122:                            ;   in Loop: Header=BB142_21 Depth=1
	v_add_co_u32 v73, s0, s24, v21
	v_add_co_ci_u32_e64 v74, null, s25, v22, s0
	v_add_co_u32 v75, s0, s24, v41
	v_add_co_ci_u32_e64 v76, null, s25, v42, s0
	;; [unrolled: 2-line block ×4, first 2 shown]
	v_cndmask_b32_e32 v73, v75, v73, vcc_lo
	v_cndmask_b32_e32 v74, v76, v74, vcc_lo
	global_load_dword v77, v[73:74], off
	v_add_co_u32 v73, s0, 0, v69
	v_add_co_ci_u32_e64 v74, null, v13, v9, s0
	v_add_nc_u32_e32 v74, 0xa0, v74
	v_ashrrev_i64 v[75:76], 29, v[73:74]
	v_ashrrev_i64 v[73:74], 30, v[73:74]
	v_add_co_u32 v75, s0, s4, v75
	v_add_co_ci_u32_e64 v76, null, s5, v76, s0
	v_add_co_u32 v73, s0, s22, v73
	v_add_co_ci_u32_e64 v74, null, s23, v74, s0
	global_store_dwordx2 v[75:76], v[55:56], off
	s_waitcnt vmcnt(0)
	global_store_dword v[73:74], v77, off
	s_or_b32 exec_lo, exec_lo, s21
	s_and_saveexec_b32 s21, s71
	s_cbranch_execz .LBB142_67
.LBB142_123:                            ;   in Loop: Header=BB142_21 Depth=1
	v_add_co_u32 v73, s0, s24, v21
	v_add_co_ci_u32_e64 v74, null, s25, v22, s0
	v_add_co_u32 v75, s0, s24, v43
	v_add_co_ci_u32_e64 v76, null, s25, v44, s0
	;; [unrolled: 2-line block ×4, first 2 shown]
	v_cndmask_b32_e32 v73, v75, v73, vcc_lo
	v_cndmask_b32_e32 v74, v76, v74, vcc_lo
	global_load_dword v77, v[73:74], off
	v_add_co_u32 v73, s0, 0, v69
	v_add_co_ci_u32_e64 v74, null, v13, v9, s0
	v_add_nc_u32_e32 v74, 0xc0, v74
	v_ashrrev_i64 v[75:76], 29, v[73:74]
	v_ashrrev_i64 v[73:74], 30, v[73:74]
	v_add_co_u32 v75, s0, s4, v75
	v_add_co_ci_u32_e64 v76, null, s5, v76, s0
	v_add_co_u32 v73, s0, s22, v73
	v_add_co_ci_u32_e64 v74, null, s23, v74, s0
	global_store_dwordx2 v[75:76], v[57:58], off
	s_waitcnt vmcnt(0)
	global_store_dword v[73:74], v77, off
	s_or_b32 exec_lo, exec_lo, s21
	s_and_saveexec_b32 s21, s72
	s_cbranch_execz .LBB142_68
.LBB142_124:                            ;   in Loop: Header=BB142_21 Depth=1
	v_add_co_u32 v73, s0, s24, v21
	v_add_co_ci_u32_e64 v74, null, s25, v22, s0
	v_add_co_u32 v75, s0, s24, v45
	v_add_co_ci_u32_e64 v76, null, s25, v46, s0
	;; [unrolled: 2-line block ×4, first 2 shown]
	v_cndmask_b32_e32 v73, v75, v73, vcc_lo
	v_cndmask_b32_e32 v74, v76, v74, vcc_lo
	global_load_dword v77, v[73:74], off
	v_add_co_u32 v73, s0, 0, v69
	v_add_co_ci_u32_e64 v74, null, v13, v9, s0
	v_add_nc_u32_e32 v74, 0xe0, v74
	v_ashrrev_i64 v[75:76], 29, v[73:74]
	v_ashrrev_i64 v[73:74], 30, v[73:74]
	v_add_co_u32 v75, s0, s4, v75
	v_add_co_ci_u32_e64 v76, null, s5, v76, s0
	v_add_co_u32 v73, s0, s22, v73
	v_add_co_ci_u32_e64 v74, null, s23, v74, s0
	global_store_dwordx2 v[75:76], v[61:62], off
	s_waitcnt vmcnt(0)
	global_store_dword v[73:74], v77, off
	s_or_b32 exec_lo, exec_lo, s21
	s_and_saveexec_b32 s21, s73
	s_cbranch_execz .LBB142_69
.LBB142_125:                            ;   in Loop: Header=BB142_21 Depth=1
	v_add_co_u32 v73, s0, s24, v31
	v_add_co_ci_u32_e64 v74, null, s25, v32, s0
	v_add_co_u32 v75, s0, s24, v19
	v_add_co_ci_u32_e64 v76, null, s25, v20, s0
	;; [unrolled: 2-line block ×3, first 2 shown]
	v_cndmask_b32_e32 v73, v73, v75, vcc_lo
	v_cndmask_b32_e32 v74, v74, v76, vcc_lo
	global_load_dword v77, v[73:74], off
	v_add_co_u32 v73, s0, 0, v68
	v_add_co_ci_u32_e64 v74, null, v13, v7, s0
	v_ashrrev_i64 v[75:76], 29, v[73:74]
	v_ashrrev_i64 v[73:74], 30, v[73:74]
	v_add_co_u32 v75, s0, s4, v75
	v_add_co_ci_u32_e64 v76, null, s5, v76, s0
	v_add_co_u32 v73, s0, s22, v73
	v_add_co_ci_u32_e64 v74, null, s23, v74, s0
	global_store_dwordx2 v[75:76], v[59:60], off
	s_waitcnt vmcnt(0)
	global_store_dword v[73:74], v77, off
	s_or_b32 exec_lo, exec_lo, s21
	s_and_saveexec_b32 s21, s74
	s_cbranch_execz .LBB142_70
.LBB142_126:                            ;   in Loop: Header=BB142_21 Depth=1
	v_add_co_u32 v73, s0, s24, v19
	v_add_co_ci_u32_e64 v74, null, s25, v20, s0
	v_add_co_u32 v75, s0, s24, v33
	v_add_co_ci_u32_e64 v76, null, s25, v34, s0
	;; [unrolled: 2-line block ×4, first 2 shown]
	v_cndmask_b32_e32 v73, v75, v73, vcc_lo
	v_cndmask_b32_e32 v74, v76, v74, vcc_lo
	global_load_dword v77, v[73:74], off
	v_add_co_u32 v73, s0, 0, v68
	v_add_co_ci_u32_e64 v74, null, v13, v7, s0
	v_add_nc_u32_e32 v74, 32, v74
	v_ashrrev_i64 v[75:76], 29, v[73:74]
	v_ashrrev_i64 v[73:74], 30, v[73:74]
	v_add_co_u32 v75, s0, s4, v75
	v_add_co_ci_u32_e64 v76, null, s5, v76, s0
	v_add_co_u32 v73, s0, s22, v73
	v_add_co_ci_u32_e64 v74, null, s23, v74, s0
	global_store_dwordx2 v[75:76], v[47:48], off
	s_waitcnt vmcnt(0)
	global_store_dword v[73:74], v77, off
	s_or_b32 exec_lo, exec_lo, s21
	s_and_saveexec_b32 s21, s75
	s_cbranch_execz .LBB142_71
.LBB142_127:                            ;   in Loop: Header=BB142_21 Depth=1
	v_add_co_u32 v73, s0, s24, v19
	v_add_co_ci_u32_e64 v74, null, s25, v20, s0
	v_add_co_u32 v75, s0, s24, v35
	v_add_co_ci_u32_e64 v76, null, s25, v36, s0
	;; [unrolled: 2-line block ×4, first 2 shown]
	v_cndmask_b32_e32 v73, v75, v73, vcc_lo
	v_cndmask_b32_e32 v74, v76, v74, vcc_lo
	global_load_dword v77, v[73:74], off
	v_add_co_u32 v73, s0, 0, v68
	v_add_co_ci_u32_e64 v74, null, v13, v7, s0
	v_add_nc_u32_e32 v74, 64, v74
	v_ashrrev_i64 v[75:76], 29, v[73:74]
	v_ashrrev_i64 v[73:74], 30, v[73:74]
	v_add_co_u32 v75, s0, s4, v75
	v_add_co_ci_u32_e64 v76, null, s5, v76, s0
	v_add_co_u32 v73, s0, s22, v73
	v_add_co_ci_u32_e64 v74, null, s23, v74, s0
	global_store_dwordx2 v[75:76], v[49:50], off
	s_waitcnt vmcnt(0)
	global_store_dword v[73:74], v77, off
	s_or_b32 exec_lo, exec_lo, s21
	s_and_saveexec_b32 s21, s76
	s_cbranch_execz .LBB142_72
.LBB142_128:                            ;   in Loop: Header=BB142_21 Depth=1
	v_add_co_u32 v73, s0, s24, v19
	v_add_co_ci_u32_e64 v74, null, s25, v20, s0
	v_add_co_u32 v75, s0, s24, v37
	v_add_co_ci_u32_e64 v76, null, s25, v38, s0
	;; [unrolled: 2-line block ×4, first 2 shown]
	v_cndmask_b32_e32 v73, v75, v73, vcc_lo
	v_cndmask_b32_e32 v74, v76, v74, vcc_lo
	global_load_dword v77, v[73:74], off
	v_add_co_u32 v73, s0, 0, v68
	v_add_co_ci_u32_e64 v74, null, v13, v7, s0
	v_add_nc_u32_e32 v74, 0x60, v74
	v_ashrrev_i64 v[75:76], 29, v[73:74]
	v_ashrrev_i64 v[73:74], 30, v[73:74]
	v_add_co_u32 v75, s0, s4, v75
	v_add_co_ci_u32_e64 v76, null, s5, v76, s0
	v_add_co_u32 v73, s0, s22, v73
	v_add_co_ci_u32_e64 v74, null, s23, v74, s0
	global_store_dwordx2 v[75:76], v[51:52], off
	s_waitcnt vmcnt(0)
	global_store_dword v[73:74], v77, off
	s_or_b32 exec_lo, exec_lo, s21
	s_and_saveexec_b32 s21, s77
	s_cbranch_execz .LBB142_73
.LBB142_129:                            ;   in Loop: Header=BB142_21 Depth=1
	v_add_co_u32 v73, s0, s24, v19
	v_add_co_ci_u32_e64 v74, null, s25, v20, s0
	v_add_co_u32 v75, s0, s24, v39
	v_add_co_ci_u32_e64 v76, null, s25, v40, s0
	;; [unrolled: 2-line block ×4, first 2 shown]
	v_cndmask_b32_e32 v73, v75, v73, vcc_lo
	v_cndmask_b32_e32 v74, v76, v74, vcc_lo
	global_load_dword v77, v[73:74], off
	v_add_co_u32 v73, s0, 0, v68
	v_add_co_ci_u32_e64 v74, null, v13, v7, s0
	v_add_nc_u32_e32 v74, 0x80, v74
	v_ashrrev_i64 v[75:76], 29, v[73:74]
	v_ashrrev_i64 v[73:74], 30, v[73:74]
	v_add_co_u32 v75, s0, s4, v75
	v_add_co_ci_u32_e64 v76, null, s5, v76, s0
	v_add_co_u32 v73, s0, s22, v73
	v_add_co_ci_u32_e64 v74, null, s23, v74, s0
	global_store_dwordx2 v[75:76], v[53:54], off
	s_waitcnt vmcnt(0)
	global_store_dword v[73:74], v77, off
	s_or_b32 exec_lo, exec_lo, s21
	s_and_saveexec_b32 s21, s78
	s_cbranch_execz .LBB142_74
.LBB142_130:                            ;   in Loop: Header=BB142_21 Depth=1
	v_add_co_u32 v73, s0, s24, v19
	v_add_co_ci_u32_e64 v74, null, s25, v20, s0
	v_add_co_u32 v75, s0, s24, v41
	v_add_co_ci_u32_e64 v76, null, s25, v42, s0
	v_cndmask_b32_e32 v73, v75, v73, vcc_lo
	v_cndmask_b32_e32 v74, v76, v74, vcc_lo
	global_load_dword v77, v[73:74], off offset:640
	v_add_co_u32 v73, s0, 0, v68
	v_add_co_ci_u32_e64 v74, null, v13, v7, s0
	v_add_nc_u32_e32 v74, 0xa0, v74
	v_ashrrev_i64 v[75:76], 29, v[73:74]
	v_ashrrev_i64 v[73:74], 30, v[73:74]
	v_add_co_u32 v75, s0, s4, v75
	v_add_co_ci_u32_e64 v76, null, s5, v76, s0
	v_add_co_u32 v73, s0, s22, v73
	v_add_co_ci_u32_e64 v74, null, s23, v74, s0
	global_store_dwordx2 v[75:76], v[55:56], off
	s_waitcnt vmcnt(0)
	global_store_dword v[73:74], v77, off
	s_or_b32 exec_lo, exec_lo, s21
	s_and_saveexec_b32 s21, s79
	s_cbranch_execz .LBB142_75
.LBB142_131:                            ;   in Loop: Header=BB142_21 Depth=1
	v_add_co_u32 v73, s0, s24, v19
	v_add_co_ci_u32_e64 v74, null, s25, v20, s0
	v_add_co_u32 v75, s0, s24, v43
	v_add_co_ci_u32_e64 v76, null, s25, v44, s0
	;; [unrolled: 2-line block ×4, first 2 shown]
	v_cndmask_b32_e32 v73, v75, v73, vcc_lo
	v_cndmask_b32_e32 v74, v76, v74, vcc_lo
	global_load_dword v77, v[73:74], off
	v_add_co_u32 v73, s0, 0, v68
	v_add_co_ci_u32_e64 v74, null, v13, v7, s0
	v_add_nc_u32_e32 v74, 0xc0, v74
	v_ashrrev_i64 v[75:76], 29, v[73:74]
	v_ashrrev_i64 v[73:74], 30, v[73:74]
	v_add_co_u32 v75, s0, s4, v75
	v_add_co_ci_u32_e64 v76, null, s5, v76, s0
	v_add_co_u32 v73, s0, s22, v73
	v_add_co_ci_u32_e64 v74, null, s23, v74, s0
	global_store_dwordx2 v[75:76], v[57:58], off
	s_waitcnt vmcnt(0)
	global_store_dword v[73:74], v77, off
	s_or_b32 exec_lo, exec_lo, s21
	s_and_saveexec_b32 s21, s80
	s_cbranch_execz .LBB142_76
.LBB142_132:                            ;   in Loop: Header=BB142_21 Depth=1
	v_add_co_u32 v73, s0, s24, v19
	v_add_co_ci_u32_e64 v74, null, s25, v20, s0
	v_add_co_u32 v75, s0, s24, v45
	v_add_co_ci_u32_e64 v76, null, s25, v46, s0
	;; [unrolled: 2-line block ×4, first 2 shown]
	v_cndmask_b32_e32 v73, v75, v73, vcc_lo
	v_cndmask_b32_e32 v74, v76, v74, vcc_lo
	global_load_dword v77, v[73:74], off
	v_add_co_u32 v73, s0, 0, v68
	v_add_co_ci_u32_e64 v74, null, v13, v7, s0
	v_add_nc_u32_e32 v74, 0xe0, v74
	v_ashrrev_i64 v[75:76], 29, v[73:74]
	v_ashrrev_i64 v[73:74], 30, v[73:74]
	v_add_co_u32 v75, s0, s4, v75
	v_add_co_ci_u32_e64 v76, null, s5, v76, s0
	v_add_co_u32 v73, s0, s22, v73
	v_add_co_ci_u32_e64 v74, null, s23, v74, s0
	global_store_dwordx2 v[75:76], v[61:62], off
	s_waitcnt vmcnt(0)
	global_store_dword v[73:74], v77, off
	s_or_b32 exec_lo, exec_lo, s21
	s_and_saveexec_b32 s21, s81
	s_cbranch_execz .LBB142_77
.LBB142_133:                            ;   in Loop: Header=BB142_21 Depth=1
	v_add_co_u32 v73, s0, s24, v31
	v_add_co_ci_u32_e64 v74, null, s25, v32, s0
	v_add_co_u32 v75, s0, s24, v17
	v_add_co_ci_u32_e64 v76, null, s25, v18, s0
	;; [unrolled: 2-line block ×3, first 2 shown]
	v_cndmask_b32_e32 v73, v73, v75, vcc_lo
	v_cndmask_b32_e32 v74, v74, v76, vcc_lo
	global_load_dword v77, v[73:74], off
	v_add_co_u32 v73, s0, 0, v66
	v_add_co_ci_u32_e64 v74, null, v13, v5, s0
	v_ashrrev_i64 v[75:76], 29, v[73:74]
	v_ashrrev_i64 v[73:74], 30, v[73:74]
	v_add_co_u32 v75, s0, s4, v75
	v_add_co_ci_u32_e64 v76, null, s5, v76, s0
	v_add_co_u32 v73, s0, s22, v73
	v_add_co_ci_u32_e64 v74, null, s23, v74, s0
	global_store_dwordx2 v[75:76], v[59:60], off
	s_waitcnt vmcnt(0)
	global_store_dword v[73:74], v77, off
	s_or_b32 exec_lo, exec_lo, s21
	s_and_saveexec_b32 s21, s82
	s_cbranch_execz .LBB142_78
.LBB142_134:                            ;   in Loop: Header=BB142_21 Depth=1
	v_add_co_u32 v73, s0, s24, v17
	v_add_co_ci_u32_e64 v74, null, s25, v18, s0
	v_add_co_u32 v75, s0, s24, v33
	v_add_co_ci_u32_e64 v76, null, s25, v34, s0
	;; [unrolled: 2-line block ×4, first 2 shown]
	v_cndmask_b32_e32 v73, v75, v73, vcc_lo
	v_cndmask_b32_e32 v74, v76, v74, vcc_lo
	global_load_dword v77, v[73:74], off
	v_add_co_u32 v73, s0, 0, v66
	v_add_co_ci_u32_e64 v74, null, v13, v5, s0
	v_add_nc_u32_e32 v74, 32, v74
	v_ashrrev_i64 v[75:76], 29, v[73:74]
	v_ashrrev_i64 v[73:74], 30, v[73:74]
	v_add_co_u32 v75, s0, s4, v75
	v_add_co_ci_u32_e64 v76, null, s5, v76, s0
	v_add_co_u32 v73, s0, s22, v73
	v_add_co_ci_u32_e64 v74, null, s23, v74, s0
	global_store_dwordx2 v[75:76], v[47:48], off
	s_waitcnt vmcnt(0)
	global_store_dword v[73:74], v77, off
	s_or_b32 exec_lo, exec_lo, s21
	s_and_saveexec_b32 s21, s83
	s_cbranch_execz .LBB142_79
.LBB142_135:                            ;   in Loop: Header=BB142_21 Depth=1
	v_add_co_u32 v73, s0, s24, v17
	v_add_co_ci_u32_e64 v74, null, s25, v18, s0
	v_add_co_u32 v75, s0, s24, v35
	v_add_co_ci_u32_e64 v76, null, s25, v36, s0
	;; [unrolled: 2-line block ×4, first 2 shown]
	v_cndmask_b32_e32 v73, v75, v73, vcc_lo
	v_cndmask_b32_e32 v74, v76, v74, vcc_lo
	global_load_dword v77, v[73:74], off
	v_add_co_u32 v73, s0, 0, v66
	v_add_co_ci_u32_e64 v74, null, v13, v5, s0
	v_add_nc_u32_e32 v74, 64, v74
	v_ashrrev_i64 v[75:76], 29, v[73:74]
	v_ashrrev_i64 v[73:74], 30, v[73:74]
	v_add_co_u32 v75, s0, s4, v75
	v_add_co_ci_u32_e64 v76, null, s5, v76, s0
	v_add_co_u32 v73, s0, s22, v73
	v_add_co_ci_u32_e64 v74, null, s23, v74, s0
	global_store_dwordx2 v[75:76], v[49:50], off
	s_waitcnt vmcnt(0)
	global_store_dword v[73:74], v77, off
	s_or_b32 exec_lo, exec_lo, s21
	s_and_saveexec_b32 s21, s84
	s_cbranch_execz .LBB142_80
.LBB142_136:                            ;   in Loop: Header=BB142_21 Depth=1
	v_add_co_u32 v73, s0, s24, v17
	v_add_co_ci_u32_e64 v74, null, s25, v18, s0
	v_add_co_u32 v75, s0, s24, v37
	v_add_co_ci_u32_e64 v76, null, s25, v38, s0
	;; [unrolled: 2-line block ×4, first 2 shown]
	v_cndmask_b32_e32 v73, v75, v73, vcc_lo
	v_cndmask_b32_e32 v74, v76, v74, vcc_lo
	global_load_dword v77, v[73:74], off
	v_add_co_u32 v73, s0, 0, v66
	v_add_co_ci_u32_e64 v74, null, v13, v5, s0
	v_add_nc_u32_e32 v74, 0x60, v74
	v_ashrrev_i64 v[75:76], 29, v[73:74]
	v_ashrrev_i64 v[73:74], 30, v[73:74]
	v_add_co_u32 v75, s0, s4, v75
	v_add_co_ci_u32_e64 v76, null, s5, v76, s0
	v_add_co_u32 v73, s0, s22, v73
	v_add_co_ci_u32_e64 v74, null, s23, v74, s0
	global_store_dwordx2 v[75:76], v[51:52], off
	s_waitcnt vmcnt(0)
	global_store_dword v[73:74], v77, off
	s_or_b32 exec_lo, exec_lo, s21
	s_and_saveexec_b32 s21, s85
	s_cbranch_execz .LBB142_81
.LBB142_137:                            ;   in Loop: Header=BB142_21 Depth=1
	v_add_co_u32 v73, s0, s24, v17
	v_add_co_ci_u32_e64 v74, null, s25, v18, s0
	v_add_co_u32 v75, s0, s24, v39
	v_add_co_ci_u32_e64 v76, null, s25, v40, s0
	;; [unrolled: 2-line block ×4, first 2 shown]
	v_cndmask_b32_e32 v73, v75, v73, vcc_lo
	v_cndmask_b32_e32 v74, v76, v74, vcc_lo
	global_load_dword v77, v[73:74], off
	v_add_co_u32 v73, s0, 0, v66
	v_add_co_ci_u32_e64 v74, null, v13, v5, s0
	v_add_nc_u32_e32 v74, 0x80, v74
	v_ashrrev_i64 v[75:76], 29, v[73:74]
	v_ashrrev_i64 v[73:74], 30, v[73:74]
	v_add_co_u32 v75, s0, s4, v75
	v_add_co_ci_u32_e64 v76, null, s5, v76, s0
	v_add_co_u32 v73, s0, s22, v73
	v_add_co_ci_u32_e64 v74, null, s23, v74, s0
	global_store_dwordx2 v[75:76], v[53:54], off
	s_waitcnt vmcnt(0)
	global_store_dword v[73:74], v77, off
	s_or_b32 exec_lo, exec_lo, s21
	s_and_saveexec_b32 s21, s86
	s_cbranch_execz .LBB142_82
.LBB142_138:                            ;   in Loop: Header=BB142_21 Depth=1
	v_add_co_u32 v73, s0, s24, v17
	v_add_co_ci_u32_e64 v74, null, s25, v18, s0
	v_add_co_u32 v75, s0, s24, v41
	v_add_co_ci_u32_e64 v76, null, s25, v42, s0
	v_add_co_u32 v73, s0, 0x280, v73
	v_add_co_ci_u32_e64 v74, null, 0, v74, s0
	v_add_co_u32 v75, s0, 0x300, v75
	v_add_co_ci_u32_e64 v76, null, 0, v76, s0
	v_cndmask_b32_e32 v73, v75, v73, vcc_lo
	v_cndmask_b32_e32 v74, v76, v74, vcc_lo
	global_load_dword v77, v[73:74], off
	v_add_co_u32 v73, s0, 0, v66
	v_add_co_ci_u32_e64 v74, null, v13, v5, s0
	v_add_nc_u32_e32 v74, 0xa0, v74
	v_ashrrev_i64 v[75:76], 29, v[73:74]
	v_ashrrev_i64 v[73:74], 30, v[73:74]
	v_add_co_u32 v75, s0, s4, v75
	v_add_co_ci_u32_e64 v76, null, s5, v76, s0
	v_add_co_u32 v73, s0, s22, v73
	v_add_co_ci_u32_e64 v74, null, s23, v74, s0
	global_store_dwordx2 v[75:76], v[55:56], off
	s_waitcnt vmcnt(0)
	global_store_dword v[73:74], v77, off
	s_or_b32 exec_lo, exec_lo, s21
	s_and_saveexec_b32 s21, s87
	s_cbranch_execz .LBB142_83
.LBB142_139:                            ;   in Loop: Header=BB142_21 Depth=1
	v_add_co_u32 v73, s0, s24, v17
	v_add_co_ci_u32_e64 v74, null, s25, v18, s0
	v_add_co_u32 v75, s0, s24, v43
	v_add_co_ci_u32_e64 v76, null, s25, v44, s0
	v_cndmask_b32_e32 v73, v75, v73, vcc_lo
	v_cndmask_b32_e32 v74, v76, v74, vcc_lo
	global_load_dword v77, v[73:74], off offset:768
	v_add_co_u32 v73, s0, 0, v66
	v_add_co_ci_u32_e64 v74, null, v13, v5, s0
	v_add_nc_u32_e32 v74, 0xc0, v74
	v_ashrrev_i64 v[75:76], 29, v[73:74]
	v_ashrrev_i64 v[73:74], 30, v[73:74]
	v_add_co_u32 v75, s0, s4, v75
	v_add_co_ci_u32_e64 v76, null, s5, v76, s0
	v_add_co_u32 v73, s0, s22, v73
	v_add_co_ci_u32_e64 v74, null, s23, v74, s0
	global_store_dwordx2 v[75:76], v[57:58], off
	s_waitcnt vmcnt(0)
	global_store_dword v[73:74], v77, off
	s_or_b32 exec_lo, exec_lo, s21
	s_and_saveexec_b32 s21, s8
	s_cbranch_execz .LBB142_84
.LBB142_140:                            ;   in Loop: Header=BB142_21 Depth=1
	v_add_co_u32 v73, s0, s24, v17
	v_add_co_ci_u32_e64 v74, null, s25, v18, s0
	v_add_co_u32 v75, s0, s24, v45
	v_add_co_ci_u32_e64 v76, null, s25, v46, s0
	;; [unrolled: 2-line block ×4, first 2 shown]
	v_cndmask_b32_e32 v73, v75, v73, vcc_lo
	v_cndmask_b32_e32 v74, v76, v74, vcc_lo
	global_load_dword v77, v[73:74], off
	v_add_co_u32 v73, s0, 0, v66
	v_add_co_ci_u32_e64 v74, null, v13, v5, s0
	v_add_nc_u32_e32 v74, 0xe0, v74
	v_ashrrev_i64 v[75:76], 29, v[73:74]
	v_ashrrev_i64 v[73:74], 30, v[73:74]
	v_add_co_u32 v75, s0, s4, v75
	v_add_co_ci_u32_e64 v76, null, s5, v76, s0
	v_add_co_u32 v73, s0, s22, v73
	v_add_co_ci_u32_e64 v74, null, s23, v74, s0
	global_store_dwordx2 v[75:76], v[61:62], off
	s_waitcnt vmcnt(0)
	global_store_dword v[73:74], v77, off
	s_or_b32 exec_lo, exec_lo, s21
	s_and_saveexec_b32 s21, s10
	s_cbranch_execz .LBB142_85
.LBB142_141:                            ;   in Loop: Header=BB142_21 Depth=1
	v_add_co_u32 v73, s0, s24, v31
	v_add_co_ci_u32_e64 v74, null, s25, v32, s0
	v_add_co_u32 v75, s0, s24, v15
	v_add_co_ci_u32_e64 v76, null, s25, v16, s0
	;; [unrolled: 2-line block ×3, first 2 shown]
	v_cndmask_b32_e32 v73, v73, v75, vcc_lo
	v_cndmask_b32_e32 v74, v74, v76, vcc_lo
	global_load_dword v77, v[73:74], off
	v_add_co_u32 v73, s0, 0, v64
	v_add_co_ci_u32_e64 v74, null, v13, v3, s0
	v_ashrrev_i64 v[75:76], 29, v[73:74]
	v_ashrrev_i64 v[73:74], 30, v[73:74]
	v_add_co_u32 v75, s0, s4, v75
	v_add_co_ci_u32_e64 v76, null, s5, v76, s0
	v_add_co_u32 v73, s0, s22, v73
	v_add_co_ci_u32_e64 v74, null, s23, v74, s0
	global_store_dwordx2 v[75:76], v[59:60], off
	s_waitcnt vmcnt(0)
	global_store_dword v[73:74], v77, off
	s_or_b32 exec_lo, exec_lo, s21
	s_and_saveexec_b32 s21, s11
	s_cbranch_execz .LBB142_86
.LBB142_142:                            ;   in Loop: Header=BB142_21 Depth=1
	v_add_co_u32 v59, s0, s24, v15
	v_add_co_ci_u32_e64 v60, null, s25, v16, s0
	v_add_co_u32 v73, s0, s24, v33
	v_add_co_ci_u32_e64 v74, null, s25, v34, s0
	;; [unrolled: 2-line block ×4, first 2 shown]
	v_cndmask_b32_e32 v59, v73, v59, vcc_lo
	v_cndmask_b32_e32 v60, v74, v60, vcc_lo
	global_load_dword v75, v[59:60], off
	v_add_co_u32 v59, s0, 0, v64
	v_add_co_ci_u32_e64 v60, null, v13, v3, s0
	v_add_nc_u32_e32 v60, 32, v60
	v_ashrrev_i64 v[73:74], 29, v[59:60]
	v_ashrrev_i64 v[59:60], 30, v[59:60]
	v_add_co_u32 v73, s0, s4, v73
	v_add_co_ci_u32_e64 v74, null, s5, v74, s0
	v_add_co_u32 v59, s0, s22, v59
	v_add_co_ci_u32_e64 v60, null, s23, v60, s0
	global_store_dwordx2 v[73:74], v[47:48], off
	s_waitcnt vmcnt(0)
	global_store_dword v[59:60], v75, off
	s_or_b32 exec_lo, exec_lo, s21
	s_and_saveexec_b32 s21, s12
	s_cbranch_execz .LBB142_87
.LBB142_143:                            ;   in Loop: Header=BB142_21 Depth=1
	v_add_co_u32 v47, s0, s24, v15
	v_add_co_ci_u32_e64 v48, null, s25, v16, s0
	v_add_co_u32 v59, s0, s24, v35
	v_add_co_ci_u32_e64 v60, null, s25, v36, s0
	;; [unrolled: 2-line block ×4, first 2 shown]
	v_cndmask_b32_e32 v47, v59, v47, vcc_lo
	v_cndmask_b32_e32 v48, v60, v48, vcc_lo
	global_load_dword v73, v[47:48], off
	v_add_co_u32 v47, s0, 0, v64
	v_add_co_ci_u32_e64 v48, null, v13, v3, s0
	v_add_nc_u32_e32 v48, 64, v48
	v_ashrrev_i64 v[59:60], 29, v[47:48]
	v_ashrrev_i64 v[47:48], 30, v[47:48]
	v_add_co_u32 v59, s0, s4, v59
	v_add_co_ci_u32_e64 v60, null, s5, v60, s0
	v_add_co_u32 v47, s0, s22, v47
	v_add_co_ci_u32_e64 v48, null, s23, v48, s0
	global_store_dwordx2 v[59:60], v[49:50], off
	s_waitcnt vmcnt(0)
	global_store_dword v[47:48], v73, off
	s_or_b32 exec_lo, exec_lo, s21
	s_and_saveexec_b32 s21, s13
	s_cbranch_execz .LBB142_88
.LBB142_144:                            ;   in Loop: Header=BB142_21 Depth=1
	v_add_co_u32 v47, s0, s24, v15
	v_add_co_ci_u32_e64 v48, null, s25, v16, s0
	v_add_co_u32 v49, s0, s24, v37
	v_add_co_ci_u32_e64 v50, null, s25, v38, s0
	;; [unrolled: 2-line block ×4, first 2 shown]
	v_cndmask_b32_e32 v47, v49, v47, vcc_lo
	v_cndmask_b32_e32 v48, v50, v48, vcc_lo
	global_load_dword v59, v[47:48], off
	v_add_co_u32 v47, s0, 0, v64
	v_add_co_ci_u32_e64 v48, null, v13, v3, s0
	v_add_nc_u32_e32 v48, 0x60, v48
	v_ashrrev_i64 v[49:50], 29, v[47:48]
	v_ashrrev_i64 v[47:48], 30, v[47:48]
	v_add_co_u32 v49, s0, s4, v49
	v_add_co_ci_u32_e64 v50, null, s5, v50, s0
	v_add_co_u32 v47, s0, s22, v47
	v_add_co_ci_u32_e64 v48, null, s23, v48, s0
	global_store_dwordx2 v[49:50], v[51:52], off
	s_waitcnt vmcnt(0)
	global_store_dword v[47:48], v59, off
	s_or_b32 exec_lo, exec_lo, s21
	s_and_saveexec_b32 s21, s14
	s_cbranch_execz .LBB142_89
.LBB142_145:                            ;   in Loop: Header=BB142_21 Depth=1
	v_add_co_u32 v47, s0, s24, v15
	v_add_co_ci_u32_e64 v48, null, s25, v16, s0
	v_add_co_u32 v49, s0, s24, v39
	v_add_co_ci_u32_e64 v50, null, s25, v40, s0
	;; [unrolled: 2-line block ×4, first 2 shown]
	v_cndmask_b32_e32 v47, v49, v47, vcc_lo
	v_cndmask_b32_e32 v48, v50, v48, vcc_lo
	global_load_dword v51, v[47:48], off
	v_add_co_u32 v47, s0, 0, v64
	v_add_co_ci_u32_e64 v48, null, v13, v3, s0
	v_add_nc_u32_e32 v48, 0x80, v48
	v_ashrrev_i64 v[49:50], 29, v[47:48]
	v_ashrrev_i64 v[47:48], 30, v[47:48]
	v_add_co_u32 v49, s0, s4, v49
	v_add_co_ci_u32_e64 v50, null, s5, v50, s0
	v_add_co_u32 v47, s0, s22, v47
	v_add_co_ci_u32_e64 v48, null, s23, v48, s0
	global_store_dwordx2 v[49:50], v[53:54], off
	s_waitcnt vmcnt(0)
	global_store_dword v[47:48], v51, off
	s_or_b32 exec_lo, exec_lo, s21
	s_and_saveexec_b32 s21, s15
	s_cbranch_execz .LBB142_90
.LBB142_146:                            ;   in Loop: Header=BB142_21 Depth=1
	v_add_co_u32 v47, s0, s24, v15
	v_add_co_ci_u32_e64 v48, null, s25, v16, s0
	v_add_co_u32 v49, s0, s24, v41
	v_add_co_ci_u32_e64 v50, null, s25, v42, s0
	;; [unrolled: 2-line block ×4, first 2 shown]
	v_cndmask_b32_e32 v47, v49, v47, vcc_lo
	v_cndmask_b32_e32 v48, v50, v48, vcc_lo
	global_load_dword v51, v[47:48], off
	v_add_co_u32 v47, s0, 0, v64
	v_add_co_ci_u32_e64 v48, null, v13, v3, s0
	v_add_nc_u32_e32 v48, 0xa0, v48
	v_ashrrev_i64 v[49:50], 29, v[47:48]
	v_ashrrev_i64 v[47:48], 30, v[47:48]
	v_add_co_u32 v49, s0, s4, v49
	v_add_co_ci_u32_e64 v50, null, s5, v50, s0
	v_add_co_u32 v47, s0, s22, v47
	v_add_co_ci_u32_e64 v48, null, s23, v48, s0
	global_store_dwordx2 v[49:50], v[55:56], off
	s_waitcnt vmcnt(0)
	global_store_dword v[47:48], v51, off
	s_or_b32 exec_lo, exec_lo, s21
	s_and_saveexec_b32 s21, s16
	s_cbranch_execz .LBB142_91
.LBB142_147:                            ;   in Loop: Header=BB142_21 Depth=1
	v_add_co_u32 v47, s0, s24, v15
	v_add_co_ci_u32_e64 v48, null, s25, v16, s0
	v_add_co_u32 v49, s0, s24, v43
	v_add_co_ci_u32_e64 v50, null, s25, v44, s0
	;; [unrolled: 2-line block ×4, first 2 shown]
	v_cndmask_b32_e32 v47, v49, v47, vcc_lo
	v_cndmask_b32_e32 v48, v50, v48, vcc_lo
	global_load_dword v51, v[47:48], off
	v_add_co_u32 v47, s0, 0, v64
	v_add_co_ci_u32_e64 v48, null, v13, v3, s0
	v_add_nc_u32_e32 v48, 0xc0, v48
	v_ashrrev_i64 v[49:50], 29, v[47:48]
	v_ashrrev_i64 v[47:48], 30, v[47:48]
	v_add_co_u32 v49, s0, s4, v49
	v_add_co_ci_u32_e64 v50, null, s5, v50, s0
	v_add_co_u32 v47, s0, s22, v47
	v_add_co_ci_u32_e64 v48, null, s23, v48, s0
	global_store_dwordx2 v[49:50], v[57:58], off
	s_waitcnt vmcnt(0)
	global_store_dword v[47:48], v51, off
	s_or_b32 exec_lo, exec_lo, s21
	s_and_saveexec_b32 s21, s9
	s_cbranch_execz .LBB142_20
.LBB142_148:                            ;   in Loop: Header=BB142_21 Depth=1
	v_add_co_u32 v47, s0, s24, v15
	v_add_co_ci_u32_e64 v48, null, s25, v16, s0
	v_add_co_u32 v49, s0, s24, v45
	v_add_co_ci_u32_e64 v50, null, s25, v46, s0
	v_cndmask_b32_e32 v47, v49, v47, vcc_lo
	v_cndmask_b32_e32 v48, v50, v48, vcc_lo
	global_load_dword v51, v[47:48], off offset:896
	v_add_co_u32 v47, s0, 0, v64
	v_add_co_ci_u32_e64 v48, null, v13, v3, s0
	v_add_nc_u32_e32 v48, 0xe0, v48
	v_ashrrev_i64 v[49:50], 29, v[47:48]
	v_ashrrev_i64 v[47:48], 30, v[47:48]
	v_add_co_u32 v49, s0, s4, v49
	v_add_co_ci_u32_e64 v50, null, s5, v50, s0
	v_add_co_u32 v47, s0, s22, v47
	v_add_co_ci_u32_e64 v48, null, s23, v48, s0
	global_store_dwordx2 v[49:50], v[61:62], off
	s_waitcnt vmcnt(0)
	global_store_dword v[47:48], v51, off
	s_branch .LBB142_20
.LBB142_149:
	s_endpgm
	.section	.rodata,"a",@progbits
	.p2align	6, 0x0
	.amdhsa_kernel _ZN9rocsparseL35bsr2csr_block_per_row_33_256_kernelILj1024ELj256ELj32EfilEEv20rocsparse_direction_T4_S2_21rocsparse_index_base_PKT2_PKT3_PKS2_S2_S3_PS4_PS7_PS2_
		.amdhsa_group_segment_fixed_size 0
		.amdhsa_private_segment_fixed_size 0
		.amdhsa_kernarg_size 96
		.amdhsa_user_sgpr_count 6
		.amdhsa_user_sgpr_private_segment_buffer 1
		.amdhsa_user_sgpr_dispatch_ptr 0
		.amdhsa_user_sgpr_queue_ptr 0
		.amdhsa_user_sgpr_kernarg_segment_ptr 1
		.amdhsa_user_sgpr_dispatch_id 0
		.amdhsa_user_sgpr_flat_scratch_init 0
		.amdhsa_user_sgpr_private_segment_size 0
		.amdhsa_wavefront_size32 1
		.amdhsa_uses_dynamic_stack 0
		.amdhsa_system_sgpr_private_segment_wavefront_offset 0
		.amdhsa_system_sgpr_workgroup_id_x 1
		.amdhsa_system_sgpr_workgroup_id_y 0
		.amdhsa_system_sgpr_workgroup_id_z 0
		.amdhsa_system_sgpr_workgroup_info 0
		.amdhsa_system_vgpr_workitem_id 0
		.amdhsa_next_free_vgpr 78
		.amdhsa_next_free_sgpr 89
		.amdhsa_reserve_vcc 1
		.amdhsa_reserve_flat_scratch 0
		.amdhsa_float_round_mode_32 0
		.amdhsa_float_round_mode_16_64 0
		.amdhsa_float_denorm_mode_32 3
		.amdhsa_float_denorm_mode_16_64 3
		.amdhsa_dx10_clamp 1
		.amdhsa_ieee_mode 1
		.amdhsa_fp16_overflow 0
		.amdhsa_workgroup_processor_mode 1
		.amdhsa_memory_ordered 1
		.amdhsa_forward_progress 1
		.amdhsa_shared_vgpr_count 0
		.amdhsa_exception_fp_ieee_invalid_op 0
		.amdhsa_exception_fp_denorm_src 0
		.amdhsa_exception_fp_ieee_div_zero 0
		.amdhsa_exception_fp_ieee_overflow 0
		.amdhsa_exception_fp_ieee_underflow 0
		.amdhsa_exception_fp_ieee_inexact 0
		.amdhsa_exception_int_div_zero 0
	.end_amdhsa_kernel
	.section	.text._ZN9rocsparseL35bsr2csr_block_per_row_33_256_kernelILj1024ELj256ELj32EfilEEv20rocsparse_direction_T4_S2_21rocsparse_index_base_PKT2_PKT3_PKS2_S2_S3_PS4_PS7_PS2_,"axG",@progbits,_ZN9rocsparseL35bsr2csr_block_per_row_33_256_kernelILj1024ELj256ELj32EfilEEv20rocsparse_direction_T4_S2_21rocsparse_index_base_PKT2_PKT3_PKS2_S2_S3_PS4_PS7_PS2_,comdat
.Lfunc_end142:
	.size	_ZN9rocsparseL35bsr2csr_block_per_row_33_256_kernelILj1024ELj256ELj32EfilEEv20rocsparse_direction_T4_S2_21rocsparse_index_base_PKT2_PKT3_PKS2_S2_S3_PS4_PS7_PS2_, .Lfunc_end142-_ZN9rocsparseL35bsr2csr_block_per_row_33_256_kernelILj1024ELj256ELj32EfilEEv20rocsparse_direction_T4_S2_21rocsparse_index_base_PKT2_PKT3_PKS2_S2_S3_PS4_PS7_PS2_
                                        ; -- End function
	.set _ZN9rocsparseL35bsr2csr_block_per_row_33_256_kernelILj1024ELj256ELj32EfilEEv20rocsparse_direction_T4_S2_21rocsparse_index_base_PKT2_PKT3_PKS2_S2_S3_PS4_PS7_PS2_.num_vgpr, 78
	.set _ZN9rocsparseL35bsr2csr_block_per_row_33_256_kernelILj1024ELj256ELj32EfilEEv20rocsparse_direction_T4_S2_21rocsparse_index_base_PKT2_PKT3_PKS2_S2_S3_PS4_PS7_PS2_.num_agpr, 0
	.set _ZN9rocsparseL35bsr2csr_block_per_row_33_256_kernelILj1024ELj256ELj32EfilEEv20rocsparse_direction_T4_S2_21rocsparse_index_base_PKT2_PKT3_PKS2_S2_S3_PS4_PS7_PS2_.numbered_sgpr, 89
	.set _ZN9rocsparseL35bsr2csr_block_per_row_33_256_kernelILj1024ELj256ELj32EfilEEv20rocsparse_direction_T4_S2_21rocsparse_index_base_PKT2_PKT3_PKS2_S2_S3_PS4_PS7_PS2_.num_named_barrier, 0
	.set _ZN9rocsparseL35bsr2csr_block_per_row_33_256_kernelILj1024ELj256ELj32EfilEEv20rocsparse_direction_T4_S2_21rocsparse_index_base_PKT2_PKT3_PKS2_S2_S3_PS4_PS7_PS2_.private_seg_size, 0
	.set _ZN9rocsparseL35bsr2csr_block_per_row_33_256_kernelILj1024ELj256ELj32EfilEEv20rocsparse_direction_T4_S2_21rocsparse_index_base_PKT2_PKT3_PKS2_S2_S3_PS4_PS7_PS2_.uses_vcc, 1
	.set _ZN9rocsparseL35bsr2csr_block_per_row_33_256_kernelILj1024ELj256ELj32EfilEEv20rocsparse_direction_T4_S2_21rocsparse_index_base_PKT2_PKT3_PKS2_S2_S3_PS4_PS7_PS2_.uses_flat_scratch, 0
	.set _ZN9rocsparseL35bsr2csr_block_per_row_33_256_kernelILj1024ELj256ELj32EfilEEv20rocsparse_direction_T4_S2_21rocsparse_index_base_PKT2_PKT3_PKS2_S2_S3_PS4_PS7_PS2_.has_dyn_sized_stack, 0
	.set _ZN9rocsparseL35bsr2csr_block_per_row_33_256_kernelILj1024ELj256ELj32EfilEEv20rocsparse_direction_T4_S2_21rocsparse_index_base_PKT2_PKT3_PKS2_S2_S3_PS4_PS7_PS2_.has_recursion, 0
	.set _ZN9rocsparseL35bsr2csr_block_per_row_33_256_kernelILj1024ELj256ELj32EfilEEv20rocsparse_direction_T4_S2_21rocsparse_index_base_PKT2_PKT3_PKS2_S2_S3_PS4_PS7_PS2_.has_indirect_call, 0
	.section	.AMDGPU.csdata,"",@progbits
; Kernel info:
; codeLenInByte = 14728
; TotalNumSgprs: 91
; NumVgprs: 78
; ScratchSize: 0
; MemoryBound: 0
; FloatMode: 240
; IeeeMode: 1
; LDSByteSize: 0 bytes/workgroup (compile time only)
; SGPRBlocks: 0
; VGPRBlocks: 9
; NumSGPRsForWavesPerEU: 91
; NumVGPRsForWavesPerEU: 78
; Occupancy: 12
; WaveLimiterHint : 1
; COMPUTE_PGM_RSRC2:SCRATCH_EN: 0
; COMPUTE_PGM_RSRC2:USER_SGPR: 6
; COMPUTE_PGM_RSRC2:TRAP_HANDLER: 0
; COMPUTE_PGM_RSRC2:TGID_X_EN: 1
; COMPUTE_PGM_RSRC2:TGID_Y_EN: 0
; COMPUTE_PGM_RSRC2:TGID_Z_EN: 0
; COMPUTE_PGM_RSRC2:TIDIG_COMP_CNT: 0
	.section	.text._ZN9rocsparseL35bsr2csr_block_dim_equals_one_kernelILj1024EfllEEvT2_S1_21rocsparse_index_base_PKT0_PKT1_PKS1_S2_PS3_PS6_PS1_,"axG",@progbits,_ZN9rocsparseL35bsr2csr_block_dim_equals_one_kernelILj1024EfllEEvT2_S1_21rocsparse_index_base_PKT0_PKT1_PKS1_S2_PS3_PS6_PS1_,comdat
	.globl	_ZN9rocsparseL35bsr2csr_block_dim_equals_one_kernelILj1024EfllEEvT2_S1_21rocsparse_index_base_PKT0_PKT1_PKS1_S2_PS3_PS6_PS1_ ; -- Begin function _ZN9rocsparseL35bsr2csr_block_dim_equals_one_kernelILj1024EfllEEvT2_S1_21rocsparse_index_base_PKT0_PKT1_PKS1_S2_PS3_PS6_PS1_
	.p2align	8
	.type	_ZN9rocsparseL35bsr2csr_block_dim_equals_one_kernelILj1024EfllEEvT2_S1_21rocsparse_index_base_PKT0_PKT1_PKS1_S2_PS3_PS6_PS1_,@function
_ZN9rocsparseL35bsr2csr_block_dim_equals_one_kernelILj1024EfllEEvT2_S1_21rocsparse_index_base_PKT0_PKT1_PKS1_S2_PS3_PS6_PS1_: ; @_ZN9rocsparseL35bsr2csr_block_dim_equals_one_kernelILj1024EfllEEvT2_S1_21rocsparse_index_base_PKT0_PKT1_PKS1_S2_PS3_PS6_PS1_
; %bb.0:
	s_clause 0x6
	s_load_dwordx2 s[0:1], s[4:5], 0x0
	s_load_dword s18, s[4:5], 0x10
	s_load_dwordx4 s[8:11], s[4:5], 0x18
	s_load_dwordx2 s[2:3], s[4:5], 0x28
	s_load_dwordx2 s[12:13], s[4:5], 0x48
	s_load_dword s19, s[4:5], 0x30
	s_load_dwordx2 s[14:15], s[4:5], 0x38
	v_lshl_or_b32 v0, s6, 10, v0
	v_mov_b32_e32 v1, 0
	s_mov_b32 s20, exec_lo
	s_waitcnt lgkmcnt(0)
	v_cmpx_gt_i64_e64 s[0:1], v[0:1]
	s_cbranch_execz .LBB143_6
; %bb.1:
	s_load_dwordx2 s[6:7], s[4:5], 0x40
	s_mov_b32 s21, exec_lo
                                        ; implicit-def: $sgpr16_sgpr17
	v_cmpx_ne_u32_e32 0, v0
	s_xor_b32 s21, exec_lo, s21
; %bb.2:
	s_sub_u32 s16, s19, s18
	s_subb_u32 s17, 0, 0
; %bb.3:
	s_or_saveexec_b32 s21, s21
	v_mov_b32_e32 v2, s16
	v_mov_b32_e32 v3, s17
	s_xor_b32 exec_lo, exec_lo, s21
	s_cbranch_execz .LBB143_5
; %bb.4:
	s_load_dwordx2 s[16:17], s[10:11], 0x0
	s_sub_u32 s22, s19, s18
	s_subb_u32 s23, 0, 0
	v_mov_b32_e32 v2, s22
	v_mov_b32_e32 v6, 0
	;; [unrolled: 1-line block ×3, first 2 shown]
	s_waitcnt lgkmcnt(0)
	s_add_u32 s16, s22, s16
	s_addc_u32 s17, s23, s17
	v_mov_b32_e32 v4, s16
	v_mov_b32_e32 v5, s17
	global_store_dwordx2 v6, v[4:5], s[6:7]
.LBB143_5:
	s_or_b32 exec_lo, exec_lo, s21
	v_lshlrev_b64 v[4:5], 3, v[0:1]
	v_add_co_u32 v6, vcc_lo, s10, v4
	v_add_co_ci_u32_e64 v7, null, s11, v5, vcc_lo
	global_load_dwordx2 v[6:7], v[6:7], off offset:8
	s_waitcnt vmcnt(0)
	v_add_co_u32 v2, vcc_lo, v2, v6
	v_add_co_ci_u32_e64 v3, null, v3, v7, vcc_lo
	s_waitcnt lgkmcnt(0)
	v_add_co_u32 v4, vcc_lo, s6, v4
	v_add_co_ci_u32_e64 v5, null, s7, v5, vcc_lo
	global_store_dwordx2 v[4:5], v[2:3], off offset:8
.LBB143_6:
	s_or_b32 exec_lo, exec_lo, s20
	s_lshl_b64 s[0:1], s[0:1], 3
	s_add_u32 s0, s10, s0
	s_addc_u32 s1, s11, s1
	s_clause 0x1
	s_load_dwordx2 s[0:1], s[0:1], 0x0
	s_load_dwordx2 s[6:7], s[10:11], 0x0
	s_waitcnt lgkmcnt(0)
	s_sub_u32 s6, s0, s6
	s_subb_u32 s7, s1, s7
	s_mov_b32 s0, exec_lo
	v_cmpx_gt_i64_e64 s[6:7], v[0:1]
	s_cbranch_execz .LBB143_9
; %bb.7:
	s_load_dword s0, s[4:5], 0x50
	v_lshlrev_b64 v[2:3], 2, v[0:1]
	v_lshlrev_b64 v[4:5], 3, v[0:1]
	s_sub_u32 s18, s19, s18
	s_mov_b32 s5, 0
	s_subb_u32 s19, 0, 0
	s_waitcnt lgkmcnt(0)
	s_lshl_b32 s4, s0, 10
	s_lshl_b64 s[10:11], s[4:5], 2
	s_lshl_b64 s[16:17], s[4:5], 3
	s_inst_prefetch 0x1
	.p2align	6
.LBB143_8:                              ; =>This Inner Loop Header: Depth=1
	v_add_co_u32 v6, vcc_lo, s2, v4
	v_add_co_ci_u32_e64 v7, null, s3, v5, vcc_lo
	v_add_co_u32 v8, vcc_lo, s8, v2
	v_add_co_ci_u32_e64 v9, null, s9, v3, vcc_lo
	global_load_dwordx2 v[6:7], v[6:7], off
	global_load_dword v12, v[8:9], off
	v_add_co_u32 v8, vcc_lo, s12, v4
	v_add_co_ci_u32_e64 v9, null, s13, v5, vcc_lo
	v_add_co_u32 v10, vcc_lo, s14, v2
	v_add_co_ci_u32_e64 v11, null, s15, v3, vcc_lo
	;; [unrolled: 2-line block ×4, first 2 shown]
	v_cmp_le_i64_e64 s0, s[6:7], v[0:1]
	v_add_co_u32 v4, vcc_lo, v4, s16
	v_add_co_ci_u32_e64 v5, null, s17, v5, vcc_lo
	s_or_b32 s5, s0, s5
	s_waitcnt vmcnt(1)
	v_add_co_u32 v6, s1, s18, v6
	v_add_co_ci_u32_e64 v7, null, s19, v7, s1
	s_waitcnt vmcnt(0)
	global_store_dword v[10:11], v12, off
	global_store_dwordx2 v[8:9], v[6:7], off
	s_andn2_b32 exec_lo, exec_lo, s5
	s_cbranch_execnz .LBB143_8
.LBB143_9:
	s_inst_prefetch 0x2
	s_endpgm
	.section	.rodata,"a",@progbits
	.p2align	6, 0x0
	.amdhsa_kernel _ZN9rocsparseL35bsr2csr_block_dim_equals_one_kernelILj1024EfllEEvT2_S1_21rocsparse_index_base_PKT0_PKT1_PKS1_S2_PS3_PS6_PS1_
		.amdhsa_group_segment_fixed_size 0
		.amdhsa_private_segment_fixed_size 0
		.amdhsa_kernarg_size 336
		.amdhsa_user_sgpr_count 6
		.amdhsa_user_sgpr_private_segment_buffer 1
		.amdhsa_user_sgpr_dispatch_ptr 0
		.amdhsa_user_sgpr_queue_ptr 0
		.amdhsa_user_sgpr_kernarg_segment_ptr 1
		.amdhsa_user_sgpr_dispatch_id 0
		.amdhsa_user_sgpr_flat_scratch_init 0
		.amdhsa_user_sgpr_private_segment_size 0
		.amdhsa_wavefront_size32 1
		.amdhsa_uses_dynamic_stack 0
		.amdhsa_system_sgpr_private_segment_wavefront_offset 0
		.amdhsa_system_sgpr_workgroup_id_x 1
		.amdhsa_system_sgpr_workgroup_id_y 0
		.amdhsa_system_sgpr_workgroup_id_z 0
		.amdhsa_system_sgpr_workgroup_info 0
		.amdhsa_system_vgpr_workitem_id 0
		.amdhsa_next_free_vgpr 13
		.amdhsa_next_free_sgpr 24
		.amdhsa_reserve_vcc 1
		.amdhsa_reserve_flat_scratch 0
		.amdhsa_float_round_mode_32 0
		.amdhsa_float_round_mode_16_64 0
		.amdhsa_float_denorm_mode_32 3
		.amdhsa_float_denorm_mode_16_64 3
		.amdhsa_dx10_clamp 1
		.amdhsa_ieee_mode 1
		.amdhsa_fp16_overflow 0
		.amdhsa_workgroup_processor_mode 1
		.amdhsa_memory_ordered 1
		.amdhsa_forward_progress 1
		.amdhsa_shared_vgpr_count 0
		.amdhsa_exception_fp_ieee_invalid_op 0
		.amdhsa_exception_fp_denorm_src 0
		.amdhsa_exception_fp_ieee_div_zero 0
		.amdhsa_exception_fp_ieee_overflow 0
		.amdhsa_exception_fp_ieee_underflow 0
		.amdhsa_exception_fp_ieee_inexact 0
		.amdhsa_exception_int_div_zero 0
	.end_amdhsa_kernel
	.section	.text._ZN9rocsparseL35bsr2csr_block_dim_equals_one_kernelILj1024EfllEEvT2_S1_21rocsparse_index_base_PKT0_PKT1_PKS1_S2_PS3_PS6_PS1_,"axG",@progbits,_ZN9rocsparseL35bsr2csr_block_dim_equals_one_kernelILj1024EfllEEvT2_S1_21rocsparse_index_base_PKT0_PKT1_PKS1_S2_PS3_PS6_PS1_,comdat
.Lfunc_end143:
	.size	_ZN9rocsparseL35bsr2csr_block_dim_equals_one_kernelILj1024EfllEEvT2_S1_21rocsparse_index_base_PKT0_PKT1_PKS1_S2_PS3_PS6_PS1_, .Lfunc_end143-_ZN9rocsparseL35bsr2csr_block_dim_equals_one_kernelILj1024EfllEEvT2_S1_21rocsparse_index_base_PKT0_PKT1_PKS1_S2_PS3_PS6_PS1_
                                        ; -- End function
	.set _ZN9rocsparseL35bsr2csr_block_dim_equals_one_kernelILj1024EfllEEvT2_S1_21rocsparse_index_base_PKT0_PKT1_PKS1_S2_PS3_PS6_PS1_.num_vgpr, 13
	.set _ZN9rocsparseL35bsr2csr_block_dim_equals_one_kernelILj1024EfllEEvT2_S1_21rocsparse_index_base_PKT0_PKT1_PKS1_S2_PS3_PS6_PS1_.num_agpr, 0
	.set _ZN9rocsparseL35bsr2csr_block_dim_equals_one_kernelILj1024EfllEEvT2_S1_21rocsparse_index_base_PKT0_PKT1_PKS1_S2_PS3_PS6_PS1_.numbered_sgpr, 24
	.set _ZN9rocsparseL35bsr2csr_block_dim_equals_one_kernelILj1024EfllEEvT2_S1_21rocsparse_index_base_PKT0_PKT1_PKS1_S2_PS3_PS6_PS1_.num_named_barrier, 0
	.set _ZN9rocsparseL35bsr2csr_block_dim_equals_one_kernelILj1024EfllEEvT2_S1_21rocsparse_index_base_PKT0_PKT1_PKS1_S2_PS3_PS6_PS1_.private_seg_size, 0
	.set _ZN9rocsparseL35bsr2csr_block_dim_equals_one_kernelILj1024EfllEEvT2_S1_21rocsparse_index_base_PKT0_PKT1_PKS1_S2_PS3_PS6_PS1_.uses_vcc, 1
	.set _ZN9rocsparseL35bsr2csr_block_dim_equals_one_kernelILj1024EfllEEvT2_S1_21rocsparse_index_base_PKT0_PKT1_PKS1_S2_PS3_PS6_PS1_.uses_flat_scratch, 0
	.set _ZN9rocsparseL35bsr2csr_block_dim_equals_one_kernelILj1024EfllEEvT2_S1_21rocsparse_index_base_PKT0_PKT1_PKS1_S2_PS3_PS6_PS1_.has_dyn_sized_stack, 0
	.set _ZN9rocsparseL35bsr2csr_block_dim_equals_one_kernelILj1024EfllEEvT2_S1_21rocsparse_index_base_PKT0_PKT1_PKS1_S2_PS3_PS6_PS1_.has_recursion, 0
	.set _ZN9rocsparseL35bsr2csr_block_dim_equals_one_kernelILj1024EfllEEvT2_S1_21rocsparse_index_base_PKT0_PKT1_PKS1_S2_PS3_PS6_PS1_.has_indirect_call, 0
	.section	.AMDGPU.csdata,"",@progbits
; Kernel info:
; codeLenInByte = 644
; TotalNumSgprs: 26
; NumVgprs: 13
; ScratchSize: 0
; MemoryBound: 0
; FloatMode: 240
; IeeeMode: 1
; LDSByteSize: 0 bytes/workgroup (compile time only)
; SGPRBlocks: 0
; VGPRBlocks: 1
; NumSGPRsForWavesPerEU: 26
; NumVGPRsForWavesPerEU: 13
; Occupancy: 16
; WaveLimiterHint : 0
; COMPUTE_PGM_RSRC2:SCRATCH_EN: 0
; COMPUTE_PGM_RSRC2:USER_SGPR: 6
; COMPUTE_PGM_RSRC2:TRAP_HANDLER: 0
; COMPUTE_PGM_RSRC2:TGID_X_EN: 1
; COMPUTE_PGM_RSRC2:TGID_Y_EN: 0
; COMPUTE_PGM_RSRC2:TGID_Z_EN: 0
; COMPUTE_PGM_RSRC2:TIDIG_COMP_CNT: 0
	.section	.text._ZN9rocsparseL32bsr2csr_block_per_row_2_7_kernelILj256ELj2EfllEEv20rocsparse_direction_T3_S2_21rocsparse_index_base_PKT1_PKT2_PKS2_S2_S3_PS4_PS7_PS2_,"axG",@progbits,_ZN9rocsparseL32bsr2csr_block_per_row_2_7_kernelILj256ELj2EfllEEv20rocsparse_direction_T3_S2_21rocsparse_index_base_PKT1_PKT2_PKS2_S2_S3_PS4_PS7_PS2_,comdat
	.globl	_ZN9rocsparseL32bsr2csr_block_per_row_2_7_kernelILj256ELj2EfllEEv20rocsparse_direction_T3_S2_21rocsparse_index_base_PKT1_PKT2_PKS2_S2_S3_PS4_PS7_PS2_ ; -- Begin function _ZN9rocsparseL32bsr2csr_block_per_row_2_7_kernelILj256ELj2EfllEEv20rocsparse_direction_T3_S2_21rocsparse_index_base_PKT1_PKT2_PKS2_S2_S3_PS4_PS7_PS2_
	.p2align	8
	.type	_ZN9rocsparseL32bsr2csr_block_per_row_2_7_kernelILj256ELj2EfllEEv20rocsparse_direction_T3_S2_21rocsparse_index_base_PKT1_PKT2_PKS2_S2_S3_PS4_PS7_PS2_,@function
_ZN9rocsparseL32bsr2csr_block_per_row_2_7_kernelILj256ELj2EfllEEv20rocsparse_direction_T3_S2_21rocsparse_index_base_PKT1_PKT2_PKS2_S2_S3_PS4_PS7_PS2_: ; @_ZN9rocsparseL32bsr2csr_block_per_row_2_7_kernelILj256ELj2EfllEEv20rocsparse_direction_T3_S2_21rocsparse_index_base_PKT1_PKT2_PKS2_S2_S3_PS4_PS7_PS2_
; %bb.0:
	s_load_dwordx2 s[2:3], s[4:5], 0x28
	s_mov_b32 s13, 0
	s_clause 0x1
	s_load_dword s14, s[4:5], 0x40
	s_load_dwordx2 s[0:1], s[4:5], 0x50
	s_mov_b32 s7, s13
	v_or_b32_e32 v1, s6, v0
	s_lshl_b64 s[8:9], s[6:7], 3
	s_waitcnt lgkmcnt(0)
	s_add_u32 s2, s2, s8
	s_addc_u32 s3, s3, s9
	s_load_dwordx4 s[8:11], s[2:3], 0x0
	s_mov_b32 s2, exec_lo
	v_cmpx_eq_u32_e32 0, v1
	s_cbranch_execz .LBB144_2
; %bb.1:
	s_mov_b32 s15, s13
	v_mov_b32_e32 v1, s14
	v_mov_b32_e32 v3, 0
	;; [unrolled: 1-line block ×3, first 2 shown]
	global_store_dwordx2 v3, v[1:2], s[0:1]
.LBB144_2:
	s_or_b32 exec_lo, exec_lo, s2
	s_load_dword s12, s[4:5], 0x18
	v_lshrrev_b32_e32 v4, 1, v0
	v_and_b32_e32 v6, 1, v0
	v_lshlrev_b32_e32 v5, 3, v6
	s_waitcnt lgkmcnt(0)
	s_sub_u32 s2, s8, s12
	s_subb_u32 s3, s9, 0
	s_sub_u32 s10, s10, s12
	s_subb_u32 s11, s11, 0
	s_lshl_b64 s[16:17], s[2:3], 2
	s_sub_u32 s18, s10, s2
	s_subb_u32 s19, s11, s3
	v_add_co_u32 v0, s2, s2, v4
	v_add_co_ci_u32_e64 v1, null, s3, 0, s2
	s_lshl_b64 s[2:3], s[18:19], 1
	s_lshr_b64 s[18:19], s[18:19], 31
	v_mul_lo_u32 v2, s2, v6
	v_mul_lo_u32 v3, s18, v6
	s_add_u32 s2, s2, s14
	s_addc_u32 s3, s3, 0
	s_add_u32 s15, s2, s16
	s_addc_u32 s16, s3, s17
	s_lshl_b64 s[2:3], s[6:7], 4
	v_add_co_u32 v7, vcc_lo, s15, v2
	v_add_co_ci_u32_e64 v8, null, s16, v3, vcc_lo
	s_add_u32 s0, s0, s2
	s_addc_u32 s1, s1, s3
	global_store_dwordx2 v5, v[7:8], s[0:1] offset:8
	s_mov_b32 s0, exec_lo
	v_cmpx_gt_i64_e64 s[10:11], v[0:1]
	s_cbranch_execz .LBB144_5
; %bb.3:
	s_clause 0x4
	s_load_dwordx2 s[2:3], s[4:5], 0x30
	s_load_dwordx2 s[6:7], s[4:5], 0x48
	s_load_dword s0, s[4:5], 0x0
	s_load_dwordx2 s[16:17], s[4:5], 0x20
	s_load_dwordx2 s[4:5], s[4:5], 0x58
	v_lshlrev_b32_e32 v5, 1, v4
	v_lshlrev_b64 v[12:13], 3, v[2:3]
	v_lshlrev_b64 v[10:11], 4, v[0:1]
	v_lshlrev_b32_e32 v9, 4, v4
	v_lshlrev_b64 v[7:8], 3, v[0:1]
	v_lshl_or_b32 v14, v6, 2, v10
	v_lshl_or_b32 v10, v6, 3, v10
	s_waitcnt lgkmcnt(0)
	s_cmp_eq_u32 s0, 0
	s_cselect_b32 vcc_lo, -1, 0
	s_lshl_b64 s[0:1], s[8:9], 2
	v_add_co_u32 v2, s0, v2, s0
	v_add_co_ci_u32_e64 v3, null, s1, v3, s0
	v_add_co_u32 v2, s0, v2, v5
	v_add_co_ci_u32_e64 v3, null, 0, v3, s0
	s_lshl_b64 s[0:1], s[12:13], 2
	v_sub_co_u32 v4, s0, v2, s0
	v_subrev_co_ci_u32_e64 v5, null, s1, v3, s0
	v_add_co_u32 v2, s0, s2, v7
	v_add_co_ci_u32_e64 v3, null, s3, v8, s0
	v_lshlrev_b64 v[4:5], 2, v[4:5]
	v_add_co_u32 v7, s0, s16, v14
	v_add_co_ci_u32_e64 v8, null, s17, v11, s0
	s_lshl_b64 s[2:3], s[8:9], 5
	v_add_co_u32 v4, s0, s6, v4
	v_add_co_ci_u32_e64 v5, null, s7, v5, s0
	v_add_co_u32 v12, s0, v12, s2
	v_add_co_ci_u32_e64 v13, null, s3, v13, s0
	;; [unrolled: 2-line block ×4, first 2 shown]
	s_lshl_b64 s[0:1], s[12:13], 5
	s_mov_b32 s3, 0
	v_sub_co_u32 v9, s0, v9, s0
	v_subrev_co_ci_u32_e64 v12, null, s1, v12, s0
	v_add_co_u32 v6, s0, s4, v9
	v_add_co_ci_u32_e64 v9, null, s5, v12, s0
	v_add_co_u32 v10, s0, s16, v10
	v_add_co_ci_u32_e64 v11, null, s17, v11, s0
	s_mov_b64 s[4:5], 0
.LBB144_4:                              ; =>This Inner Loop Header: Depth=1
	global_load_dwordx2 v[12:13], v[2:3], off
	v_add_co_u32 v14, s0, v10, s4
	v_add_co_ci_u32_e64 v15, null, s5, v11, s0
	v_add_co_u32 v16, s0, v7, s4
	v_add_co_ci_u32_e64 v17, null, s5, v8, s0
	;; [unrolled: 2-line block ×4, first 2 shown]
	v_cndmask_b32_e32 v15, v17, v15, vcc_lo
	v_cndmask_b32_e32 v14, v16, v14, vcc_lo
	;; [unrolled: 1-line block ×4, first 2 shown]
	global_load_dword v14, v[14:15], off
	global_load_dword v15, v[16:17], off
	v_add_co_u32 v16, s0, v6, s4
	v_add_co_ci_u32_e64 v17, null, s5, v9, s0
	v_add_co_u32 v0, s0, 0x80, v0
	v_add_co_ci_u32_e64 v1, null, 0, v1, s0
	;; [unrolled: 2-line block ×3, first 2 shown]
	v_cmp_le_i64_e64 s0, s[10:11], v[0:1]
	s_add_u32 s4, s4, 0x800
	s_addc_u32 s5, s5, 0
	s_or_b32 s3, s0, s3
	s_waitcnt vmcnt(2)
	v_sub_co_u32 v12, s1, v12, s12
	v_subrev_co_ci_u32_e64 v13, null, 0, v13, s1
	v_lshlrev_b64 v[12:13], 1, v[12:13]
	v_add_co_u32 v12, s1, v12, s14
	v_add_co_ci_u32_e64 v13, null, 0, v13, s1
	s_waitcnt vmcnt(0)
	global_store_dwordx2 v[4:5], v[14:15], off offset:-4
	v_add_co_u32 v4, s1, 0x400, v4
	v_add_co_u32 v14, s2, v12, 1
	v_add_co_ci_u32_e64 v15, null, 0, v13, s2
	v_add_co_ci_u32_e64 v5, null, 0, v5, s1
	global_store_dwordx4 v[16:17], v[12:15], off
	s_andn2_b32 exec_lo, exec_lo, s3
	s_cbranch_execnz .LBB144_4
.LBB144_5:
	s_endpgm
	.section	.rodata,"a",@progbits
	.p2align	6, 0x0
	.amdhsa_kernel _ZN9rocsparseL32bsr2csr_block_per_row_2_7_kernelILj256ELj2EfllEEv20rocsparse_direction_T3_S2_21rocsparse_index_base_PKT1_PKT2_PKS2_S2_S3_PS4_PS7_PS2_
		.amdhsa_group_segment_fixed_size 0
		.amdhsa_private_segment_fixed_size 0
		.amdhsa_kernarg_size 96
		.amdhsa_user_sgpr_count 6
		.amdhsa_user_sgpr_private_segment_buffer 1
		.amdhsa_user_sgpr_dispatch_ptr 0
		.amdhsa_user_sgpr_queue_ptr 0
		.amdhsa_user_sgpr_kernarg_segment_ptr 1
		.amdhsa_user_sgpr_dispatch_id 0
		.amdhsa_user_sgpr_flat_scratch_init 0
		.amdhsa_user_sgpr_private_segment_size 0
		.amdhsa_wavefront_size32 1
		.amdhsa_uses_dynamic_stack 0
		.amdhsa_system_sgpr_private_segment_wavefront_offset 0
		.amdhsa_system_sgpr_workgroup_id_x 1
		.amdhsa_system_sgpr_workgroup_id_y 0
		.amdhsa_system_sgpr_workgroup_id_z 0
		.amdhsa_system_sgpr_workgroup_info 0
		.amdhsa_system_vgpr_workitem_id 0
		.amdhsa_next_free_vgpr 22
		.amdhsa_next_free_sgpr 20
		.amdhsa_reserve_vcc 1
		.amdhsa_reserve_flat_scratch 0
		.amdhsa_float_round_mode_32 0
		.amdhsa_float_round_mode_16_64 0
		.amdhsa_float_denorm_mode_32 3
		.amdhsa_float_denorm_mode_16_64 3
		.amdhsa_dx10_clamp 1
		.amdhsa_ieee_mode 1
		.amdhsa_fp16_overflow 0
		.amdhsa_workgroup_processor_mode 1
		.amdhsa_memory_ordered 1
		.amdhsa_forward_progress 1
		.amdhsa_shared_vgpr_count 0
		.amdhsa_exception_fp_ieee_invalid_op 0
		.amdhsa_exception_fp_denorm_src 0
		.amdhsa_exception_fp_ieee_div_zero 0
		.amdhsa_exception_fp_ieee_overflow 0
		.amdhsa_exception_fp_ieee_underflow 0
		.amdhsa_exception_fp_ieee_inexact 0
		.amdhsa_exception_int_div_zero 0
	.end_amdhsa_kernel
	.section	.text._ZN9rocsparseL32bsr2csr_block_per_row_2_7_kernelILj256ELj2EfllEEv20rocsparse_direction_T3_S2_21rocsparse_index_base_PKT1_PKT2_PKS2_S2_S3_PS4_PS7_PS2_,"axG",@progbits,_ZN9rocsparseL32bsr2csr_block_per_row_2_7_kernelILj256ELj2EfllEEv20rocsparse_direction_T3_S2_21rocsparse_index_base_PKT1_PKT2_PKS2_S2_S3_PS4_PS7_PS2_,comdat
.Lfunc_end144:
	.size	_ZN9rocsparseL32bsr2csr_block_per_row_2_7_kernelILj256ELj2EfllEEv20rocsparse_direction_T3_S2_21rocsparse_index_base_PKT1_PKT2_PKS2_S2_S3_PS4_PS7_PS2_, .Lfunc_end144-_ZN9rocsparseL32bsr2csr_block_per_row_2_7_kernelILj256ELj2EfllEEv20rocsparse_direction_T3_S2_21rocsparse_index_base_PKT1_PKT2_PKS2_S2_S3_PS4_PS7_PS2_
                                        ; -- End function
	.set _ZN9rocsparseL32bsr2csr_block_per_row_2_7_kernelILj256ELj2EfllEEv20rocsparse_direction_T3_S2_21rocsparse_index_base_PKT1_PKT2_PKS2_S2_S3_PS4_PS7_PS2_.num_vgpr, 22
	.set _ZN9rocsparseL32bsr2csr_block_per_row_2_7_kernelILj256ELj2EfllEEv20rocsparse_direction_T3_S2_21rocsparse_index_base_PKT1_PKT2_PKS2_S2_S3_PS4_PS7_PS2_.num_agpr, 0
	.set _ZN9rocsparseL32bsr2csr_block_per_row_2_7_kernelILj256ELj2EfllEEv20rocsparse_direction_T3_S2_21rocsparse_index_base_PKT1_PKT2_PKS2_S2_S3_PS4_PS7_PS2_.numbered_sgpr, 20
	.set _ZN9rocsparseL32bsr2csr_block_per_row_2_7_kernelILj256ELj2EfllEEv20rocsparse_direction_T3_S2_21rocsparse_index_base_PKT1_PKT2_PKS2_S2_S3_PS4_PS7_PS2_.num_named_barrier, 0
	.set _ZN9rocsparseL32bsr2csr_block_per_row_2_7_kernelILj256ELj2EfllEEv20rocsparse_direction_T3_S2_21rocsparse_index_base_PKT1_PKT2_PKS2_S2_S3_PS4_PS7_PS2_.private_seg_size, 0
	.set _ZN9rocsparseL32bsr2csr_block_per_row_2_7_kernelILj256ELj2EfllEEv20rocsparse_direction_T3_S2_21rocsparse_index_base_PKT1_PKT2_PKS2_S2_S3_PS4_PS7_PS2_.uses_vcc, 1
	.set _ZN9rocsparseL32bsr2csr_block_per_row_2_7_kernelILj256ELj2EfllEEv20rocsparse_direction_T3_S2_21rocsparse_index_base_PKT1_PKT2_PKS2_S2_S3_PS4_PS7_PS2_.uses_flat_scratch, 0
	.set _ZN9rocsparseL32bsr2csr_block_per_row_2_7_kernelILj256ELj2EfllEEv20rocsparse_direction_T3_S2_21rocsparse_index_base_PKT1_PKT2_PKS2_S2_S3_PS4_PS7_PS2_.has_dyn_sized_stack, 0
	.set _ZN9rocsparseL32bsr2csr_block_per_row_2_7_kernelILj256ELj2EfllEEv20rocsparse_direction_T3_S2_21rocsparse_index_base_PKT1_PKT2_PKS2_S2_S3_PS4_PS7_PS2_.has_recursion, 0
	.set _ZN9rocsparseL32bsr2csr_block_per_row_2_7_kernelILj256ELj2EfllEEv20rocsparse_direction_T3_S2_21rocsparse_index_base_PKT1_PKT2_PKS2_S2_S3_PS4_PS7_PS2_.has_indirect_call, 0
	.section	.AMDGPU.csdata,"",@progbits
; Kernel info:
; codeLenInByte = 888
; TotalNumSgprs: 22
; NumVgprs: 22
; ScratchSize: 0
; MemoryBound: 0
; FloatMode: 240
; IeeeMode: 1
; LDSByteSize: 0 bytes/workgroup (compile time only)
; SGPRBlocks: 0
; VGPRBlocks: 2
; NumSGPRsForWavesPerEU: 22
; NumVGPRsForWavesPerEU: 22
; Occupancy: 16
; WaveLimiterHint : 1
; COMPUTE_PGM_RSRC2:SCRATCH_EN: 0
; COMPUTE_PGM_RSRC2:USER_SGPR: 6
; COMPUTE_PGM_RSRC2:TRAP_HANDLER: 0
; COMPUTE_PGM_RSRC2:TGID_X_EN: 1
; COMPUTE_PGM_RSRC2:TGID_Y_EN: 0
; COMPUTE_PGM_RSRC2:TGID_Z_EN: 0
; COMPUTE_PGM_RSRC2:TIDIG_COMP_CNT: 0
	.section	.text._ZN9rocsparseL32bsr2csr_block_per_row_2_7_kernelILj256ELj3EfllEEv20rocsparse_direction_T3_S2_21rocsparse_index_base_PKT1_PKT2_PKS2_S2_S3_PS4_PS7_PS2_,"axG",@progbits,_ZN9rocsparseL32bsr2csr_block_per_row_2_7_kernelILj256ELj3EfllEEv20rocsparse_direction_T3_S2_21rocsparse_index_base_PKT1_PKT2_PKS2_S2_S3_PS4_PS7_PS2_,comdat
	.globl	_ZN9rocsparseL32bsr2csr_block_per_row_2_7_kernelILj256ELj3EfllEEv20rocsparse_direction_T3_S2_21rocsparse_index_base_PKT1_PKT2_PKS2_S2_S3_PS4_PS7_PS2_ ; -- Begin function _ZN9rocsparseL32bsr2csr_block_per_row_2_7_kernelILj256ELj3EfllEEv20rocsparse_direction_T3_S2_21rocsparse_index_base_PKT1_PKT2_PKS2_S2_S3_PS4_PS7_PS2_
	.p2align	8
	.type	_ZN9rocsparseL32bsr2csr_block_per_row_2_7_kernelILj256ELj3EfllEEv20rocsparse_direction_T3_S2_21rocsparse_index_base_PKT1_PKT2_PKS2_S2_S3_PS4_PS7_PS2_,@function
_ZN9rocsparseL32bsr2csr_block_per_row_2_7_kernelILj256ELj3EfllEEv20rocsparse_direction_T3_S2_21rocsparse_index_base_PKT1_PKT2_PKS2_S2_S3_PS4_PS7_PS2_: ; @_ZN9rocsparseL32bsr2csr_block_per_row_2_7_kernelILj256ELj3EfllEEv20rocsparse_direction_T3_S2_21rocsparse_index_base_PKT1_PKT2_PKS2_S2_S3_PS4_PS7_PS2_
; %bb.0:
	s_clause 0x2
	s_load_dwordx2 s[0:1], s[4:5], 0x28
	s_load_dword s8, s[4:5], 0x40
	s_load_dwordx2 s[12:13], s[4:5], 0x50
	s_mov_b32 s7, 0
	v_or_b32_e32 v1, s6, v0
	s_lshl_b64 s[2:3], s[6:7], 3
	s_waitcnt lgkmcnt(0)
	s_add_u32 s0, s0, s2
	s_addc_u32 s1, s1, s3
	s_mov_b32 s2, exec_lo
	v_cmpx_eq_u32_e32 0, v1
	s_cbranch_execz .LBB145_2
; %bb.1:
	v_mov_b32_e32 v1, s8
	v_mov_b32_e32 v2, 0
	global_store_dwordx2 v2, v[1:2], s[12:13]
.LBB145_2:
	s_or_b32 exec_lo, exec_lo, s2
	v_and_b32_e32 v9, 3, v0
	s_mov_b32 s2, exec_lo
	v_cmpx_ne_u32_e32 3, v9
	s_cbranch_execz .LBB145_6
; %bb.3:
	s_load_dwordx4 s[0:3], s[0:1], 0x0
	s_load_dword s7, s[4:5], 0x18
	v_lshrrev_b32_e32 v4, 2, v0
	s_mul_i32 s16, s6, 24
	v_lshlrev_b32_e32 v8, 3, v9
	s_waitcnt lgkmcnt(0)
	s_sub_u32 s9, s0, s7
	s_subb_u32 s14, s1, 0
	s_sub_u32 s10, s2, s7
	s_mul_hi_u32 s2, s9, 9
	s_mul_i32 s15, s14, 9
	s_subb_u32 s11, s3, 0
	s_add_i32 s2, s2, s15
	s_sub_u32 s3, s10, s9
	s_subb_u32 s17, s11, s14
	s_mul_i32 s15, s3, 3
	s_mul_hi_u32 s3, s3, 3
	v_mad_u64_u32 v[2:3], null, s15, v9, 0
	s_mul_i32 s17, s17, 3
	s_mul_i32 s18, s9, 9
	s_add_i32 s3, s3, s17
	v_mov_b32_e32 v0, v3
	v_mad_u64_u32 v[5:6], null, s3, v9, v[0:1]
	v_add_co_u32 v0, s9, s9, v4
	v_add_co_ci_u32_e64 v1, null, s14, 0, s9
	s_add_u32 s9, s15, s8
	s_addc_u32 s3, s3, 0
	s_add_u32 s9, s9, s18
	s_addc_u32 s2, s3, s2
	v_add_co_u32 v6, vcc_lo, s9, v2
	v_add_co_ci_u32_e64 v7, null, s2, v5, vcc_lo
	v_cmp_gt_i64_e32 vcc_lo, s[10:11], v[0:1]
	v_mov_b32_e32 v3, v5
	s_mul_hi_u32 s3, s6, 24
	s_add_u32 s2, s12, s16
	s_addc_u32 s3, s13, s3
	s_mov_b32 s9, 0
	global_store_dwordx2 v8, v[6:7], s[2:3] offset:8
	s_and_b32 exec_lo, exec_lo, vcc_lo
	s_cbranch_execz .LBB145_6
; %bb.4:
	v_mad_u64_u32 v[5:6], null, s0, 9, v[2:3]
	s_clause 0x2
	s_load_dwordx2 s[2:3], s[4:5], 0x48
	s_load_dwordx2 s[12:13], s[4:5], 0x20
	s_load_dword s6, s[4:5], 0x0
	v_lshlrev_b32_e32 v10, 2, v9
	v_mul_hi_u32_u24_e32 v11, 12, v9
	v_mul_u32_u24_e32 v9, 12, v9
	v_mov_b32_e32 v2, v6
	v_mad_u64_u32 v[2:3], null, s1, 9, v[2:3]
	s_clause 0x1
	s_load_dwordx2 s[0:1], s[4:5], 0x30
	s_load_dwordx2 s[4:5], s[4:5], 0x58
	v_mov_b32_e32 v6, v2
	s_waitcnt lgkmcnt(0)
	v_mad_u64_u32 v[2:3], null, v0, 36, s[12:13]
	s_mul_i32 s13, s7, 9
	s_mul_hi_u32 s12, s7, 9
	v_mad_u64_u32 v[4:5], null, v4, 3, v[5:6]
	v_lshlrev_b64 v[6:7], 3, v[0:1]
	s_cmp_eq_u32 s6, 0
	v_sub_co_u32 v12, vcc_lo, v4, s13
	v_subrev_co_ci_u32_e64 v13, null, s12, v5, vcc_lo
	v_mad_u64_u32 v[14:15], null, v1, 36, v[3:4]
	v_add_co_u32 v3, vcc_lo, s0, v6
	v_lshlrev_b64 v[15:16], 2, v[12:13]
	v_lshlrev_b64 v[5:6], 3, v[12:13]
	v_add_co_ci_u32_e64 v4, null, s1, v7, vcc_lo
	v_mov_b32_e32 v12, v14
	v_add_co_u32 v7, vcc_lo, s2, v15
	v_add_co_ci_u32_e64 v8, null, s3, v16, vcc_lo
	v_add_co_u32 v13, vcc_lo, s4, v5
	v_add_co_ci_u32_e64 v14, null, s5, v6, vcc_lo
	;; [unrolled: 2-line block ×4, first 2 shown]
	s_cselect_b32 vcc_lo, -1, 0
	s_mov_b32 s3, s9
.LBB145_5:                              ; =>This Inner Loop Header: Depth=1
	v_add_co_u32 v15, s0, v2, v9
	v_add_co_ci_u32_e64 v16, null, v12, v11, s0
	v_add_co_u32 v17, s0, v2, v10
	v_add_co_ci_u32_e64 v18, null, 0, v12, s0
	;; [unrolled: 2-line block ×3, first 2 shown]
	v_add_co_u32 v21, s0, v17, 12
	global_load_dwordx2 v[13:14], v[3:4], off
	v_add_co_ci_u32_e64 v22, null, 0, v18, s0
	v_add_co_u32 v23, s0, v15, 8
	v_add_co_ci_u32_e64 v24, null, 0, v16, s0
	v_add_co_u32 v25, s0, v17, 24
	v_add_co_ci_u32_e64 v26, null, 0, v18, s0
	v_cndmask_b32_e32 v16, v18, v16, vcc_lo
	v_cndmask_b32_e32 v15, v17, v15, vcc_lo
	;; [unrolled: 1-line block ×6, first 2 shown]
	global_load_dword v15, v[15:16], off
	global_load_dword v16, v[17:18], off
	;; [unrolled: 1-line block ×3, first 2 shown]
	v_add_co_u32 v0, s0, v0, 64
	v_add_co_ci_u32_e64 v1, null, 0, v1, s0
	v_add_co_u32 v3, s0, 0x200, v3
	v_add_co_ci_u32_e64 v4, null, 0, v4, s0
	;; [unrolled: 2-line block ×3, first 2 shown]
	v_cmp_le_i64_e64 s0, s[10:11], v[0:1]
	s_or_b32 s3, s0, s3
	s_waitcnt vmcnt(3)
	v_sub_co_u32 v13, s1, v13, s7
	v_subrev_co_ci_u32_e64 v18, null, 0, v14, s1
	v_mad_u64_u32 v[13:14], null, v13, 3, s[8:9]
	s_waitcnt vmcnt(0)
	global_store_dwordx3 v[5:6], v[15:17], off offset:-4
	v_mad_u64_u32 v[14:15], null, v18, 3, v[14:15]
	v_add_co_u32 v5, s1, 0x300, v5
	v_add_co_u32 v15, s2, v13, 1
	v_add_co_ci_u32_e64 v6, null, 0, v6, s1
	v_add_co_u32 v17, s1, v13, 2
	v_add_co_ci_u32_e64 v16, null, 0, v14, s2
	v_add_co_ci_u32_e64 v18, null, 0, v14, s1
	global_store_dwordx4 v[7:8], v[13:16], off offset:-8
	global_store_dwordx2 v[7:8], v[17:18], off offset:8
	v_add_co_u32 v7, s1, 0x600, v7
	v_add_co_ci_u32_e64 v8, null, 0, v8, s1
	s_andn2_b32 exec_lo, exec_lo, s3
	s_cbranch_execnz .LBB145_5
.LBB145_6:
	s_endpgm
	.section	.rodata,"a",@progbits
	.p2align	6, 0x0
	.amdhsa_kernel _ZN9rocsparseL32bsr2csr_block_per_row_2_7_kernelILj256ELj3EfllEEv20rocsparse_direction_T3_S2_21rocsparse_index_base_PKT1_PKT2_PKS2_S2_S3_PS4_PS7_PS2_
		.amdhsa_group_segment_fixed_size 0
		.amdhsa_private_segment_fixed_size 0
		.amdhsa_kernarg_size 96
		.amdhsa_user_sgpr_count 6
		.amdhsa_user_sgpr_private_segment_buffer 1
		.amdhsa_user_sgpr_dispatch_ptr 0
		.amdhsa_user_sgpr_queue_ptr 0
		.amdhsa_user_sgpr_kernarg_segment_ptr 1
		.amdhsa_user_sgpr_dispatch_id 0
		.amdhsa_user_sgpr_flat_scratch_init 0
		.amdhsa_user_sgpr_private_segment_size 0
		.amdhsa_wavefront_size32 1
		.amdhsa_uses_dynamic_stack 0
		.amdhsa_system_sgpr_private_segment_wavefront_offset 0
		.amdhsa_system_sgpr_workgroup_id_x 1
		.amdhsa_system_sgpr_workgroup_id_y 0
		.amdhsa_system_sgpr_workgroup_id_z 0
		.amdhsa_system_sgpr_workgroup_info 0
		.amdhsa_system_vgpr_workitem_id 0
		.amdhsa_next_free_vgpr 27
		.amdhsa_next_free_sgpr 19
		.amdhsa_reserve_vcc 1
		.amdhsa_reserve_flat_scratch 0
		.amdhsa_float_round_mode_32 0
		.amdhsa_float_round_mode_16_64 0
		.amdhsa_float_denorm_mode_32 3
		.amdhsa_float_denorm_mode_16_64 3
		.amdhsa_dx10_clamp 1
		.amdhsa_ieee_mode 1
		.amdhsa_fp16_overflow 0
		.amdhsa_workgroup_processor_mode 1
		.amdhsa_memory_ordered 1
		.amdhsa_forward_progress 1
		.amdhsa_shared_vgpr_count 0
		.amdhsa_exception_fp_ieee_invalid_op 0
		.amdhsa_exception_fp_denorm_src 0
		.amdhsa_exception_fp_ieee_div_zero 0
		.amdhsa_exception_fp_ieee_overflow 0
		.amdhsa_exception_fp_ieee_underflow 0
		.amdhsa_exception_fp_ieee_inexact 0
		.amdhsa_exception_int_div_zero 0
	.end_amdhsa_kernel
	.section	.text._ZN9rocsparseL32bsr2csr_block_per_row_2_7_kernelILj256ELj3EfllEEv20rocsparse_direction_T3_S2_21rocsparse_index_base_PKT1_PKT2_PKS2_S2_S3_PS4_PS7_PS2_,"axG",@progbits,_ZN9rocsparseL32bsr2csr_block_per_row_2_7_kernelILj256ELj3EfllEEv20rocsparse_direction_T3_S2_21rocsparse_index_base_PKT1_PKT2_PKS2_S2_S3_PS4_PS7_PS2_,comdat
.Lfunc_end145:
	.size	_ZN9rocsparseL32bsr2csr_block_per_row_2_7_kernelILj256ELj3EfllEEv20rocsparse_direction_T3_S2_21rocsparse_index_base_PKT1_PKT2_PKS2_S2_S3_PS4_PS7_PS2_, .Lfunc_end145-_ZN9rocsparseL32bsr2csr_block_per_row_2_7_kernelILj256ELj3EfllEEv20rocsparse_direction_T3_S2_21rocsparse_index_base_PKT1_PKT2_PKS2_S2_S3_PS4_PS7_PS2_
                                        ; -- End function
	.set _ZN9rocsparseL32bsr2csr_block_per_row_2_7_kernelILj256ELj3EfllEEv20rocsparse_direction_T3_S2_21rocsparse_index_base_PKT1_PKT2_PKS2_S2_S3_PS4_PS7_PS2_.num_vgpr, 27
	.set _ZN9rocsparseL32bsr2csr_block_per_row_2_7_kernelILj256ELj3EfllEEv20rocsparse_direction_T3_S2_21rocsparse_index_base_PKT1_PKT2_PKS2_S2_S3_PS4_PS7_PS2_.num_agpr, 0
	.set _ZN9rocsparseL32bsr2csr_block_per_row_2_7_kernelILj256ELj3EfllEEv20rocsparse_direction_T3_S2_21rocsparse_index_base_PKT1_PKT2_PKS2_S2_S3_PS4_PS7_PS2_.numbered_sgpr, 19
	.set _ZN9rocsparseL32bsr2csr_block_per_row_2_7_kernelILj256ELj3EfllEEv20rocsparse_direction_T3_S2_21rocsparse_index_base_PKT1_PKT2_PKS2_S2_S3_PS4_PS7_PS2_.num_named_barrier, 0
	.set _ZN9rocsparseL32bsr2csr_block_per_row_2_7_kernelILj256ELj3EfllEEv20rocsparse_direction_T3_S2_21rocsparse_index_base_PKT1_PKT2_PKS2_S2_S3_PS4_PS7_PS2_.private_seg_size, 0
	.set _ZN9rocsparseL32bsr2csr_block_per_row_2_7_kernelILj256ELj3EfllEEv20rocsparse_direction_T3_S2_21rocsparse_index_base_PKT1_PKT2_PKS2_S2_S3_PS4_PS7_PS2_.uses_vcc, 1
	.set _ZN9rocsparseL32bsr2csr_block_per_row_2_7_kernelILj256ELj3EfllEEv20rocsparse_direction_T3_S2_21rocsparse_index_base_PKT1_PKT2_PKS2_S2_S3_PS4_PS7_PS2_.uses_flat_scratch, 0
	.set _ZN9rocsparseL32bsr2csr_block_per_row_2_7_kernelILj256ELj3EfllEEv20rocsparse_direction_T3_S2_21rocsparse_index_base_PKT1_PKT2_PKS2_S2_S3_PS4_PS7_PS2_.has_dyn_sized_stack, 0
	.set _ZN9rocsparseL32bsr2csr_block_per_row_2_7_kernelILj256ELj3EfllEEv20rocsparse_direction_T3_S2_21rocsparse_index_base_PKT1_PKT2_PKS2_S2_S3_PS4_PS7_PS2_.has_recursion, 0
	.set _ZN9rocsparseL32bsr2csr_block_per_row_2_7_kernelILj256ELj3EfllEEv20rocsparse_direction_T3_S2_21rocsparse_index_base_PKT1_PKT2_PKS2_S2_S3_PS4_PS7_PS2_.has_indirect_call, 0
	.section	.AMDGPU.csdata,"",@progbits
; Kernel info:
; codeLenInByte = 920
; TotalNumSgprs: 21
; NumVgprs: 27
; ScratchSize: 0
; MemoryBound: 0
; FloatMode: 240
; IeeeMode: 1
; LDSByteSize: 0 bytes/workgroup (compile time only)
; SGPRBlocks: 0
; VGPRBlocks: 3
; NumSGPRsForWavesPerEU: 21
; NumVGPRsForWavesPerEU: 27
; Occupancy: 16
; WaveLimiterHint : 0
; COMPUTE_PGM_RSRC2:SCRATCH_EN: 0
; COMPUTE_PGM_RSRC2:USER_SGPR: 6
; COMPUTE_PGM_RSRC2:TRAP_HANDLER: 0
; COMPUTE_PGM_RSRC2:TGID_X_EN: 1
; COMPUTE_PGM_RSRC2:TGID_Y_EN: 0
; COMPUTE_PGM_RSRC2:TGID_Z_EN: 0
; COMPUTE_PGM_RSRC2:TIDIG_COMP_CNT: 0
	.section	.text._ZN9rocsparseL32bsr2csr_block_per_row_2_7_kernelILj256ELj4EfllEEv20rocsparse_direction_T3_S2_21rocsparse_index_base_PKT1_PKT2_PKS2_S2_S3_PS4_PS7_PS2_,"axG",@progbits,_ZN9rocsparseL32bsr2csr_block_per_row_2_7_kernelILj256ELj4EfllEEv20rocsparse_direction_T3_S2_21rocsparse_index_base_PKT1_PKT2_PKS2_S2_S3_PS4_PS7_PS2_,comdat
	.globl	_ZN9rocsparseL32bsr2csr_block_per_row_2_7_kernelILj256ELj4EfllEEv20rocsparse_direction_T3_S2_21rocsparse_index_base_PKT1_PKT2_PKS2_S2_S3_PS4_PS7_PS2_ ; -- Begin function _ZN9rocsparseL32bsr2csr_block_per_row_2_7_kernelILj256ELj4EfllEEv20rocsparse_direction_T3_S2_21rocsparse_index_base_PKT1_PKT2_PKS2_S2_S3_PS4_PS7_PS2_
	.p2align	8
	.type	_ZN9rocsparseL32bsr2csr_block_per_row_2_7_kernelILj256ELj4EfllEEv20rocsparse_direction_T3_S2_21rocsparse_index_base_PKT1_PKT2_PKS2_S2_S3_PS4_PS7_PS2_,@function
_ZN9rocsparseL32bsr2csr_block_per_row_2_7_kernelILj256ELj4EfllEEv20rocsparse_direction_T3_S2_21rocsparse_index_base_PKT1_PKT2_PKS2_S2_S3_PS4_PS7_PS2_: ; @_ZN9rocsparseL32bsr2csr_block_per_row_2_7_kernelILj256ELj4EfllEEv20rocsparse_direction_T3_S2_21rocsparse_index_base_PKT1_PKT2_PKS2_S2_S3_PS4_PS7_PS2_
; %bb.0:
	s_load_dwordx2 s[0:1], s[4:5], 0x28
	s_mov_b32 s9, 0
	s_clause 0x1
	s_load_dword s10, s[4:5], 0x40
	s_load_dwordx2 s[12:13], s[4:5], 0x50
	s_mov_b32 s7, s9
	v_or_b32_e32 v1, s6, v0
	s_lshl_b64 s[2:3], s[6:7], 3
	s_mov_b32 s8, exec_lo
	s_waitcnt lgkmcnt(0)
	s_add_u32 s0, s0, s2
	s_addc_u32 s1, s1, s3
	s_load_dwordx4 s[0:3], s[0:1], 0x0
	v_cmpx_eq_u32_e32 0, v1
	s_cbranch_execz .LBB146_2
; %bb.1:
	s_mov_b32 s11, s9
	v_mov_b32_e32 v1, s10
	v_mov_b32_e32 v3, 0
	;; [unrolled: 1-line block ×3, first 2 shown]
	global_store_dwordx2 v3, v[1:2], s[12:13]
.LBB146_2:
	s_or_b32 exec_lo, exec_lo, s8
	s_load_dword s8, s[4:5], 0x18
	v_and_b32_e32 v4, 3, v0
	v_lshrrev_b32_e32 v5, 2, v0
	v_lshlrev_b32_e32 v9, 3, v4
	s_waitcnt lgkmcnt(0)
	s_sub_u32 s14, s0, s8
	s_subb_u32 s15, s1, 0
	s_sub_u32 s2, s2, s8
	s_subb_u32 s3, s3, 0
	s_lshl_b64 s[16:17], s[14:15], 4
	s_sub_u32 s18, s2, s14
	s_subb_u32 s19, s3, s15
	v_add_co_u32 v0, s11, s14, v5
	s_lshl_b64 s[20:21], s[18:19], 2
	v_add_co_ci_u32_e64 v1, null, s15, 0, s11
	v_mad_u64_u32 v[2:3], null, s20, v4, 0
	s_lshr_b64 s[14:15], s[18:19], 30
	s_add_u32 s11, s20, s10
	v_mad_u64_u32 v[6:7], null, s14, v4, v[3:4]
	s_addc_u32 s14, s21, 0
	s_add_u32 s11, s11, s16
	s_addc_u32 s14, s14, s17
	v_add_co_u32 v7, vcc_lo, s11, v2
	s_lshl_b64 s[6:7], s[6:7], 5
	v_add_co_ci_u32_e64 v8, null, s14, v6, vcc_lo
	v_mov_b32_e32 v3, v6
	s_add_u32 s6, s12, s6
	s_addc_u32 s7, s13, s7
	global_store_dwordx2 v9, v[7:8], s[6:7] offset:8
	s_mov_b32 s6, exec_lo
	v_cmpx_gt_i64_e64 s[2:3], v[0:1]
	s_cbranch_execz .LBB146_5
; %bb.3:
	s_clause 0x4
	s_load_dwordx2 s[6:7], s[4:5], 0x30
	s_load_dwordx2 s[12:13], s[4:5], 0x48
	s_load_dword s11, s[4:5], 0x0
	s_load_dwordx2 s[14:15], s[4:5], 0x20
	s_load_dwordx2 s[4:5], s[4:5], 0x58
	v_lshlrev_b32_e32 v5, 2, v5
	v_lshlrev_b64 v[10:11], 6, v[0:1]
	v_lshlrev_b64 v[6:7], 3, v[0:1]
	v_mul_hi_u32_u24_e32 v8, 12, v4
	v_mul_u32_u24_e32 v9, 12, v4
	v_lshl_or_b32 v10, v4, 2, v10
	s_waitcnt lgkmcnt(0)
	s_cmp_eq_u32 s11, 0
	s_cselect_b32 vcc_lo, -1, 0
	s_lshl_b64 s[0:1], s[0:1], 4
	v_add_co_u32 v2, s0, v2, s0
	v_add_co_ci_u32_e64 v3, null, s1, v3, s0
	v_add_co_u32 v2, s0, v2, v5
	v_add_co_ci_u32_e64 v3, null, 0, v3, s0
	s_lshl_b64 s[0:1], s[8:9], 4
	v_sub_co_u32 v4, s0, v2, s0
	v_subrev_co_ci_u32_e64 v5, null, s1, v3, s0
	v_add_co_u32 v2, s0, s6, v6
	v_add_co_ci_u32_e64 v3, null, s7, v7, s0
	v_lshlrev_b64 v[6:7], 2, v[4:5]
	v_lshlrev_b64 v[4:5], 3, v[4:5]
	v_add_co_u32 v10, s0, s14, v10
	v_add_co_ci_u32_e64 v11, null, s15, v11, s0
	v_add_co_u32 v6, s0, s12, v6
	v_add_co_ci_u32_e64 v7, null, s13, v7, s0
	;; [unrolled: 2-line block ×5, first 2 shown]
	s_mov_b32 s4, 0
.LBB146_4:                              ; =>This Inner Loop Header: Depth=1
	v_add_co_u32 v14, s0, v10, v9
	v_add_co_ci_u32_e64 v15, null, v11, v8, s0
	v_add_co_u32 v18, s0, v10, 16
	v_add_co_ci_u32_e64 v19, null, 0, v11, s0
	v_add_co_u32 v20, s0, v10, 32
	global_load_dwordx2 v[16:17], v[2:3], off
	v_add_co_ci_u32_e64 v21, null, 0, v11, s0
	v_add_co_u32 v22, s0, v10, 48
	v_add_co_ci_u32_e64 v23, null, 0, v11, s0
	v_add_co_u32 v24, s0, v14, 4
	v_add_co_ci_u32_e64 v25, null, 0, v15, s0
	v_add_co_u32 v26, s0, v14, 8
	v_add_co_ci_u32_e64 v27, null, 0, v15, s0
	v_add_co_u32 v28, s0, v14, 12
	v_add_co_ci_u32_e64 v29, null, 0, v15, s0
	v_cndmask_b32_e32 v13, v11, v15, vcc_lo
	v_cndmask_b32_e32 v12, v10, v14, vcc_lo
	;; [unrolled: 1-line block ×8, first 2 shown]
	global_load_dword v12, v[12:13], off
	global_load_dword v13, v[14:15], off
	;; [unrolled: 1-line block ×4, first 2 shown]
	v_add_co_u32 v0, s0, v0, 64
	v_add_co_ci_u32_e64 v1, null, 0, v1, s0
	v_add_co_u32 v2, s0, 0x200, v2
	v_add_co_ci_u32_e64 v3, null, 0, v3, s0
	;; [unrolled: 2-line block ×3, first 2 shown]
	v_cmp_le_i64_e64 s0, s[2:3], v[0:1]
	s_or_b32 s4, s0, s4
	s_waitcnt vmcnt(4)
	v_sub_co_u32 v16, s1, v16, s8
	v_subrev_co_ci_u32_e64 v17, null, 0, v17, s1
	v_lshlrev_b64 v[16:17], 2, v[16:17]
	v_add_co_u32 v16, s1, v16, s10
	v_add_co_ci_u32_e64 v17, null, 0, v17, s1
	s_waitcnt vmcnt(0)
	global_store_dwordx4 v[4:5], v[12:15], off offset:-8
	v_add_co_u32 v4, s1, 0x400, v4
	v_add_co_ci_u32_e64 v5, null, 0, v5, s1
	v_add_co_u32 v18, s1, v16, 1
	v_add_co_ci_u32_e64 v19, null, 0, v17, s1
	;; [unrolled: 2-line block ×4, first 2 shown]
	global_store_dwordx4 v[6:7], v[16:19], off offset:-16
	global_store_dwordx4 v[6:7], v[12:15], off
	v_add_co_u32 v6, s1, 0x800, v6
	v_add_co_ci_u32_e64 v7, null, 0, v7, s1
	s_andn2_b32 exec_lo, exec_lo, s4
	s_cbranch_execnz .LBB146_4
.LBB146_5:
	s_endpgm
	.section	.rodata,"a",@progbits
	.p2align	6, 0x0
	.amdhsa_kernel _ZN9rocsparseL32bsr2csr_block_per_row_2_7_kernelILj256ELj4EfllEEv20rocsparse_direction_T3_S2_21rocsparse_index_base_PKT1_PKT2_PKS2_S2_S3_PS4_PS7_PS2_
		.amdhsa_group_segment_fixed_size 0
		.amdhsa_private_segment_fixed_size 0
		.amdhsa_kernarg_size 96
		.amdhsa_user_sgpr_count 6
		.amdhsa_user_sgpr_private_segment_buffer 1
		.amdhsa_user_sgpr_dispatch_ptr 0
		.amdhsa_user_sgpr_queue_ptr 0
		.amdhsa_user_sgpr_kernarg_segment_ptr 1
		.amdhsa_user_sgpr_dispatch_id 0
		.amdhsa_user_sgpr_flat_scratch_init 0
		.amdhsa_user_sgpr_private_segment_size 0
		.amdhsa_wavefront_size32 1
		.amdhsa_uses_dynamic_stack 0
		.amdhsa_system_sgpr_private_segment_wavefront_offset 0
		.amdhsa_system_sgpr_workgroup_id_x 1
		.amdhsa_system_sgpr_workgroup_id_y 0
		.amdhsa_system_sgpr_workgroup_id_z 0
		.amdhsa_system_sgpr_workgroup_info 0
		.amdhsa_system_vgpr_workitem_id 0
		.amdhsa_next_free_vgpr 30
		.amdhsa_next_free_sgpr 22
		.amdhsa_reserve_vcc 1
		.amdhsa_reserve_flat_scratch 0
		.amdhsa_float_round_mode_32 0
		.amdhsa_float_round_mode_16_64 0
		.amdhsa_float_denorm_mode_32 3
		.amdhsa_float_denorm_mode_16_64 3
		.amdhsa_dx10_clamp 1
		.amdhsa_ieee_mode 1
		.amdhsa_fp16_overflow 0
		.amdhsa_workgroup_processor_mode 1
		.amdhsa_memory_ordered 1
		.amdhsa_forward_progress 1
		.amdhsa_shared_vgpr_count 0
		.amdhsa_exception_fp_ieee_invalid_op 0
		.amdhsa_exception_fp_denorm_src 0
		.amdhsa_exception_fp_ieee_div_zero 0
		.amdhsa_exception_fp_ieee_overflow 0
		.amdhsa_exception_fp_ieee_underflow 0
		.amdhsa_exception_fp_ieee_inexact 0
		.amdhsa_exception_int_div_zero 0
	.end_amdhsa_kernel
	.section	.text._ZN9rocsparseL32bsr2csr_block_per_row_2_7_kernelILj256ELj4EfllEEv20rocsparse_direction_T3_S2_21rocsparse_index_base_PKT1_PKT2_PKS2_S2_S3_PS4_PS7_PS2_,"axG",@progbits,_ZN9rocsparseL32bsr2csr_block_per_row_2_7_kernelILj256ELj4EfllEEv20rocsparse_direction_T3_S2_21rocsparse_index_base_PKT1_PKT2_PKS2_S2_S3_PS4_PS7_PS2_,comdat
.Lfunc_end146:
	.size	_ZN9rocsparseL32bsr2csr_block_per_row_2_7_kernelILj256ELj4EfllEEv20rocsparse_direction_T3_S2_21rocsparse_index_base_PKT1_PKT2_PKS2_S2_S3_PS4_PS7_PS2_, .Lfunc_end146-_ZN9rocsparseL32bsr2csr_block_per_row_2_7_kernelILj256ELj4EfllEEv20rocsparse_direction_T3_S2_21rocsparse_index_base_PKT1_PKT2_PKS2_S2_S3_PS4_PS7_PS2_
                                        ; -- End function
	.set _ZN9rocsparseL32bsr2csr_block_per_row_2_7_kernelILj256ELj4EfllEEv20rocsparse_direction_T3_S2_21rocsparse_index_base_PKT1_PKT2_PKS2_S2_S3_PS4_PS7_PS2_.num_vgpr, 30
	.set _ZN9rocsparseL32bsr2csr_block_per_row_2_7_kernelILj256ELj4EfllEEv20rocsparse_direction_T3_S2_21rocsparse_index_base_PKT1_PKT2_PKS2_S2_S3_PS4_PS7_PS2_.num_agpr, 0
	.set _ZN9rocsparseL32bsr2csr_block_per_row_2_7_kernelILj256ELj4EfllEEv20rocsparse_direction_T3_S2_21rocsparse_index_base_PKT1_PKT2_PKS2_S2_S3_PS4_PS7_PS2_.numbered_sgpr, 22
	.set _ZN9rocsparseL32bsr2csr_block_per_row_2_7_kernelILj256ELj4EfllEEv20rocsparse_direction_T3_S2_21rocsparse_index_base_PKT1_PKT2_PKS2_S2_S3_PS4_PS7_PS2_.num_named_barrier, 0
	.set _ZN9rocsparseL32bsr2csr_block_per_row_2_7_kernelILj256ELj4EfllEEv20rocsparse_direction_T3_S2_21rocsparse_index_base_PKT1_PKT2_PKS2_S2_S3_PS4_PS7_PS2_.private_seg_size, 0
	.set _ZN9rocsparseL32bsr2csr_block_per_row_2_7_kernelILj256ELj4EfllEEv20rocsparse_direction_T3_S2_21rocsparse_index_base_PKT1_PKT2_PKS2_S2_S3_PS4_PS7_PS2_.uses_vcc, 1
	.set _ZN9rocsparseL32bsr2csr_block_per_row_2_7_kernelILj256ELj4EfllEEv20rocsparse_direction_T3_S2_21rocsparse_index_base_PKT1_PKT2_PKS2_S2_S3_PS4_PS7_PS2_.uses_flat_scratch, 0
	.set _ZN9rocsparseL32bsr2csr_block_per_row_2_7_kernelILj256ELj4EfllEEv20rocsparse_direction_T3_S2_21rocsparse_index_base_PKT1_PKT2_PKS2_S2_S3_PS4_PS7_PS2_.has_dyn_sized_stack, 0
	.set _ZN9rocsparseL32bsr2csr_block_per_row_2_7_kernelILj256ELj4EfllEEv20rocsparse_direction_T3_S2_21rocsparse_index_base_PKT1_PKT2_PKS2_S2_S3_PS4_PS7_PS2_.has_recursion, 0
	.set _ZN9rocsparseL32bsr2csr_block_per_row_2_7_kernelILj256ELj4EfllEEv20rocsparse_direction_T3_S2_21rocsparse_index_base_PKT1_PKT2_PKS2_S2_S3_PS4_PS7_PS2_.has_indirect_call, 0
	.section	.AMDGPU.csdata,"",@progbits
; Kernel info:
; codeLenInByte = 956
; TotalNumSgprs: 24
; NumVgprs: 30
; ScratchSize: 0
; MemoryBound: 0
; FloatMode: 240
; IeeeMode: 1
; LDSByteSize: 0 bytes/workgroup (compile time only)
; SGPRBlocks: 0
; VGPRBlocks: 3
; NumSGPRsForWavesPerEU: 24
; NumVGPRsForWavesPerEU: 30
; Occupancy: 16
; WaveLimiterHint : 0
; COMPUTE_PGM_RSRC2:SCRATCH_EN: 0
; COMPUTE_PGM_RSRC2:USER_SGPR: 6
; COMPUTE_PGM_RSRC2:TRAP_HANDLER: 0
; COMPUTE_PGM_RSRC2:TGID_X_EN: 1
; COMPUTE_PGM_RSRC2:TGID_Y_EN: 0
; COMPUTE_PGM_RSRC2:TGID_Z_EN: 0
; COMPUTE_PGM_RSRC2:TIDIG_COMP_CNT: 0
	.section	.text._ZN9rocsparseL32bsr2csr_block_per_row_2_7_kernelILj256ELj5EfllEEv20rocsparse_direction_T3_S2_21rocsparse_index_base_PKT1_PKT2_PKS2_S2_S3_PS4_PS7_PS2_,"axG",@progbits,_ZN9rocsparseL32bsr2csr_block_per_row_2_7_kernelILj256ELj5EfllEEv20rocsparse_direction_T3_S2_21rocsparse_index_base_PKT1_PKT2_PKS2_S2_S3_PS4_PS7_PS2_,comdat
	.globl	_ZN9rocsparseL32bsr2csr_block_per_row_2_7_kernelILj256ELj5EfllEEv20rocsparse_direction_T3_S2_21rocsparse_index_base_PKT1_PKT2_PKS2_S2_S3_PS4_PS7_PS2_ ; -- Begin function _ZN9rocsparseL32bsr2csr_block_per_row_2_7_kernelILj256ELj5EfllEEv20rocsparse_direction_T3_S2_21rocsparse_index_base_PKT1_PKT2_PKS2_S2_S3_PS4_PS7_PS2_
	.p2align	8
	.type	_ZN9rocsparseL32bsr2csr_block_per_row_2_7_kernelILj256ELj5EfllEEv20rocsparse_direction_T3_S2_21rocsparse_index_base_PKT1_PKT2_PKS2_S2_S3_PS4_PS7_PS2_,@function
_ZN9rocsparseL32bsr2csr_block_per_row_2_7_kernelILj256ELj5EfllEEv20rocsparse_direction_T3_S2_21rocsparse_index_base_PKT1_PKT2_PKS2_S2_S3_PS4_PS7_PS2_: ; @_ZN9rocsparseL32bsr2csr_block_per_row_2_7_kernelILj256ELj5EfllEEv20rocsparse_direction_T3_S2_21rocsparse_index_base_PKT1_PKT2_PKS2_S2_S3_PS4_PS7_PS2_
; %bb.0:
	s_clause 0x2
	s_load_dwordx2 s[0:1], s[4:5], 0x28
	s_load_dword s8, s[4:5], 0x40
	s_load_dwordx2 s[12:13], s[4:5], 0x50
	s_mov_b32 s7, 0
	v_or_b32_e32 v1, s6, v0
	s_lshl_b64 s[2:3], s[6:7], 3
	s_waitcnt lgkmcnt(0)
	s_add_u32 s0, s0, s2
	s_addc_u32 s1, s1, s3
	s_mov_b32 s2, exec_lo
	v_cmpx_eq_u32_e32 0, v1
	s_cbranch_execz .LBB147_2
; %bb.1:
	v_mov_b32_e32 v1, s8
	v_mov_b32_e32 v2, 0
	global_store_dwordx2 v2, v[1:2], s[12:13]
.LBB147_2:
	s_or_b32 exec_lo, exec_lo, s2
	v_and_b32_e32 v4, 7, v0
	s_mov_b32 s2, exec_lo
	v_cmpx_gt_u32_e32 5, v4
	s_cbranch_execz .LBB147_6
; %bb.3:
	s_load_dwordx4 s[0:3], s[0:1], 0x0
	s_load_dword s7, s[4:5], 0x18
	v_lshrrev_b32_e32 v5, 3, v0
	s_mul_i32 s16, s6, 40
	v_lshlrev_b32_e32 v9, 3, v4
	s_waitcnt lgkmcnt(0)
	s_sub_u32 s9, s0, s7
	s_subb_u32 s14, s1, 0
	s_sub_u32 s10, s2, s7
	s_mul_hi_u32 s2, s9, 25
	s_mul_i32 s15, s14, 25
	s_subb_u32 s11, s3, 0
	s_add_i32 s2, s2, s15
	s_sub_u32 s3, s10, s9
	s_subb_u32 s17, s11, s14
	s_mul_i32 s15, s3, 5
	s_mul_hi_u32 s3, s3, 5
	v_mad_u64_u32 v[2:3], null, s15, v4, 0
	s_mul_i32 s17, s17, 5
	s_mul_i32 s18, s9, 25
	s_add_i32 s3, s3, s17
	v_mov_b32_e32 v0, v3
	v_mad_u64_u32 v[6:7], null, s3, v4, v[0:1]
	v_add_co_u32 v0, s9, s9, v5
	v_add_co_ci_u32_e64 v1, null, s14, 0, s9
	s_add_u32 s9, s15, s8
	s_addc_u32 s3, s3, 0
	s_add_u32 s9, s9, s18
	s_addc_u32 s2, s3, s2
	v_add_co_u32 v7, vcc_lo, s9, v2
	v_add_co_ci_u32_e64 v8, null, s2, v6, vcc_lo
	v_cmp_gt_i64_e32 vcc_lo, s[10:11], v[0:1]
	v_mov_b32_e32 v3, v6
	s_mul_hi_u32 s3, s6, 40
	s_add_u32 s2, s12, s16
	s_addc_u32 s3, s13, s3
	s_mov_b32 s9, 0
	global_store_dwordx2 v9, v[7:8], s[2:3] offset:8
	s_and_b32 exec_lo, exec_lo, vcc_lo
	s_cbranch_execz .LBB147_6
; %bb.4:
	v_mad_u64_u32 v[6:7], null, s0, 25, v[2:3]
	s_clause 0x1
	s_load_dwordx2 s[2:3], s[4:5], 0x48
	s_load_dwordx2 s[12:13], s[4:5], 0x20
	v_lshlrev_b32_e32 v9, 2, v4
	v_mul_hi_u32_u24_e32 v10, 20, v4
	v_mul_u32_u24_e32 v11, 20, v4
	v_mov_b32_e32 v2, v7
	v_mad_u64_u32 v[2:3], null, s1, 25, v[2:3]
	s_clause 0x2
	s_load_dwordx2 s[0:1], s[4:5], 0x30
	s_load_dword s6, s[4:5], 0x0
	s_load_dwordx2 s[4:5], s[4:5], 0x58
	v_mov_b32_e32 v7, v2
	s_waitcnt lgkmcnt(0)
	v_mad_u64_u32 v[2:3], null, 0x64, v0, s[12:13]
	s_mul_i32 s13, s7, 25
	s_mul_hi_u32 s12, s7, 25
	v_mad_u64_u32 v[5:6], null, v5, 5, v[6:7]
	v_lshlrev_b64 v[7:8], 3, v[0:1]
	v_mad_u64_u32 v[12:13], null, 0x64, v1, v[3:4]
	v_sub_co_u32 v5, vcc_lo, v5, s13
	v_subrev_co_ci_u32_e64 v6, null, s12, v6, vcc_lo
	v_add_co_u32 v3, vcc_lo, s0, v7
	v_add_co_ci_u32_e64 v4, null, s1, v8, vcc_lo
	v_lshlrev_b64 v[13:14], 2, v[5:6]
	v_lshlrev_b64 v[5:6], 3, v[5:6]
	s_cmp_eq_u32 s6, 0
	v_add_co_u32 v7, vcc_lo, s2, v13
	v_add_co_ci_u32_e64 v8, null, s3, v14, vcc_lo
	v_add_co_u32 v13, vcc_lo, s4, v5
	v_add_co_ci_u32_e64 v14, null, s5, v6, vcc_lo
	;; [unrolled: 2-line block ×4, first 2 shown]
	s_cselect_b32 vcc_lo, -1, 0
	s_mov_b32 s5, s9
.LBB147_5:                              ; =>This Inner Loop Header: Depth=1
	v_add_co_u32 v15, s0, v2, v9
	v_add_co_ci_u32_e64 v16, null, 0, v12, s0
	v_add_co_u32 v19, s0, v2, v11
	v_add_co_ci_u32_e64 v20, null, v12, v10, s0
	global_load_dwordx2 v[17:18], v[3:4], off
	v_add_co_u32 v21, s0, v19, 4
	v_add_co_ci_u32_e64 v22, null, 0, v20, s0
	v_add_co_u32 v23, s0, v15, 20
	v_add_co_ci_u32_e64 v24, null, 0, v16, s0
	;; [unrolled: 2-line block ×8, first 2 shown]
	v_cndmask_b32_e32 v14, v16, v20, vcc_lo
	v_cndmask_b32_e32 v13, v15, v19, vcc_lo
	v_cndmask_b32_e32 v16, v24, v22, vcc_lo
	v_cndmask_b32_e32 v15, v23, v21, vcc_lo
	v_cndmask_b32_e32 v20, v28, v26, vcc_lo
	v_cndmask_b32_e32 v19, v27, v25, vcc_lo
	v_cndmask_b32_e32 v22, v32, v30, vcc_lo
	v_cndmask_b32_e32 v21, v31, v29, vcc_lo
	v_cndmask_b32_e32 v24, v36, v34, vcc_lo
	v_cndmask_b32_e32 v23, v35, v33, vcc_lo
	global_load_dword v13, v[13:14], off
	global_load_dword v14, v[15:16], off
	;; [unrolled: 1-line block ×5, first 2 shown]
	v_add_co_u32 v0, s0, v0, 32
	v_add_co_ci_u32_e64 v1, null, 0, v1, s0
	v_add_co_u32 v3, s0, 0x100, v3
	v_add_co_ci_u32_e64 v4, null, 0, v4, s0
	;; [unrolled: 2-line block ×3, first 2 shown]
	v_cmp_le_i64_e64 s0, s[10:11], v[0:1]
	s_waitcnt vmcnt(1)
	global_store_dwordx4 v[5:6], v[13:16], off offset:-8
	s_waitcnt vmcnt(0)
	global_store_dword v[5:6], v19, off offset:8
	v_sub_co_u32 v17, s1, v17, s7
	v_subrev_co_ci_u32_e64 v20, null, 0, v18, s1
	v_add_co_u32 v5, s1, 0x280, v5
	v_mad_u64_u32 v[17:18], null, v17, 5, s[8:9]
	v_add_co_ci_u32_e64 v6, null, 0, v6, s1
	s_or_b32 s5, s0, s5
	v_mad_u64_u32 v[18:19], null, v20, 5, v[18:19]
	v_add_co_u32 v19, s4, v17, 1
	v_add_co_u32 v13, s1, v17, 2
	;; [unrolled: 1-line block ×4, first 2 shown]
	v_add_co_ci_u32_e64 v20, null, 0, v18, s4
	v_add_co_ci_u32_e64 v14, null, 0, v18, s1
	;; [unrolled: 1-line block ×4, first 2 shown]
	global_store_dwordx4 v[7:8], v[17:20], off offset:-16
	global_store_dwordx4 v[7:8], v[13:16], off
	global_store_dwordx2 v[7:8], v[21:22], off offset:16
	v_add_co_u32 v7, s1, 0x500, v7
	v_add_co_ci_u32_e64 v8, null, 0, v8, s1
	s_andn2_b32 exec_lo, exec_lo, s5
	s_cbranch_execnz .LBB147_5
.LBB147_6:
	s_endpgm
	.section	.rodata,"a",@progbits
	.p2align	6, 0x0
	.amdhsa_kernel _ZN9rocsparseL32bsr2csr_block_per_row_2_7_kernelILj256ELj5EfllEEv20rocsparse_direction_T3_S2_21rocsparse_index_base_PKT1_PKT2_PKS2_S2_S3_PS4_PS7_PS2_
		.amdhsa_group_segment_fixed_size 0
		.amdhsa_private_segment_fixed_size 0
		.amdhsa_kernarg_size 96
		.amdhsa_user_sgpr_count 6
		.amdhsa_user_sgpr_private_segment_buffer 1
		.amdhsa_user_sgpr_dispatch_ptr 0
		.amdhsa_user_sgpr_queue_ptr 0
		.amdhsa_user_sgpr_kernarg_segment_ptr 1
		.amdhsa_user_sgpr_dispatch_id 0
		.amdhsa_user_sgpr_flat_scratch_init 0
		.amdhsa_user_sgpr_private_segment_size 0
		.amdhsa_wavefront_size32 1
		.amdhsa_uses_dynamic_stack 0
		.amdhsa_system_sgpr_private_segment_wavefront_offset 0
		.amdhsa_system_sgpr_workgroup_id_x 1
		.amdhsa_system_sgpr_workgroup_id_y 0
		.amdhsa_system_sgpr_workgroup_id_z 0
		.amdhsa_system_sgpr_workgroup_info 0
		.amdhsa_system_vgpr_workitem_id 0
		.amdhsa_next_free_vgpr 37
		.amdhsa_next_free_sgpr 19
		.amdhsa_reserve_vcc 1
		.amdhsa_reserve_flat_scratch 0
		.amdhsa_float_round_mode_32 0
		.amdhsa_float_round_mode_16_64 0
		.amdhsa_float_denorm_mode_32 3
		.amdhsa_float_denorm_mode_16_64 3
		.amdhsa_dx10_clamp 1
		.amdhsa_ieee_mode 1
		.amdhsa_fp16_overflow 0
		.amdhsa_workgroup_processor_mode 1
		.amdhsa_memory_ordered 1
		.amdhsa_forward_progress 1
		.amdhsa_shared_vgpr_count 0
		.amdhsa_exception_fp_ieee_invalid_op 0
		.amdhsa_exception_fp_denorm_src 0
		.amdhsa_exception_fp_ieee_div_zero 0
		.amdhsa_exception_fp_ieee_overflow 0
		.amdhsa_exception_fp_ieee_underflow 0
		.amdhsa_exception_fp_ieee_inexact 0
		.amdhsa_exception_int_div_zero 0
	.end_amdhsa_kernel
	.section	.text._ZN9rocsparseL32bsr2csr_block_per_row_2_7_kernelILj256ELj5EfllEEv20rocsparse_direction_T3_S2_21rocsparse_index_base_PKT1_PKT2_PKS2_S2_S3_PS4_PS7_PS2_,"axG",@progbits,_ZN9rocsparseL32bsr2csr_block_per_row_2_7_kernelILj256ELj5EfllEEv20rocsparse_direction_T3_S2_21rocsparse_index_base_PKT1_PKT2_PKS2_S2_S3_PS4_PS7_PS2_,comdat
.Lfunc_end147:
	.size	_ZN9rocsparseL32bsr2csr_block_per_row_2_7_kernelILj256ELj5EfllEEv20rocsparse_direction_T3_S2_21rocsparse_index_base_PKT1_PKT2_PKS2_S2_S3_PS4_PS7_PS2_, .Lfunc_end147-_ZN9rocsparseL32bsr2csr_block_per_row_2_7_kernelILj256ELj5EfllEEv20rocsparse_direction_T3_S2_21rocsparse_index_base_PKT1_PKT2_PKS2_S2_S3_PS4_PS7_PS2_
                                        ; -- End function
	.set _ZN9rocsparseL32bsr2csr_block_per_row_2_7_kernelILj256ELj5EfllEEv20rocsparse_direction_T3_S2_21rocsparse_index_base_PKT1_PKT2_PKS2_S2_S3_PS4_PS7_PS2_.num_vgpr, 37
	.set _ZN9rocsparseL32bsr2csr_block_per_row_2_7_kernelILj256ELj5EfllEEv20rocsparse_direction_T3_S2_21rocsparse_index_base_PKT1_PKT2_PKS2_S2_S3_PS4_PS7_PS2_.num_agpr, 0
	.set _ZN9rocsparseL32bsr2csr_block_per_row_2_7_kernelILj256ELj5EfllEEv20rocsparse_direction_T3_S2_21rocsparse_index_base_PKT1_PKT2_PKS2_S2_S3_PS4_PS7_PS2_.numbered_sgpr, 19
	.set _ZN9rocsparseL32bsr2csr_block_per_row_2_7_kernelILj256ELj5EfllEEv20rocsparse_direction_T3_S2_21rocsparse_index_base_PKT1_PKT2_PKS2_S2_S3_PS4_PS7_PS2_.num_named_barrier, 0
	.set _ZN9rocsparseL32bsr2csr_block_per_row_2_7_kernelILj256ELj5EfllEEv20rocsparse_direction_T3_S2_21rocsparse_index_base_PKT1_PKT2_PKS2_S2_S3_PS4_PS7_PS2_.private_seg_size, 0
	.set _ZN9rocsparseL32bsr2csr_block_per_row_2_7_kernelILj256ELj5EfllEEv20rocsparse_direction_T3_S2_21rocsparse_index_base_PKT1_PKT2_PKS2_S2_S3_PS4_PS7_PS2_.uses_vcc, 1
	.set _ZN9rocsparseL32bsr2csr_block_per_row_2_7_kernelILj256ELj5EfllEEv20rocsparse_direction_T3_S2_21rocsparse_index_base_PKT1_PKT2_PKS2_S2_S3_PS4_PS7_PS2_.uses_flat_scratch, 0
	.set _ZN9rocsparseL32bsr2csr_block_per_row_2_7_kernelILj256ELj5EfllEEv20rocsparse_direction_T3_S2_21rocsparse_index_base_PKT1_PKT2_PKS2_S2_S3_PS4_PS7_PS2_.has_dyn_sized_stack, 0
	.set _ZN9rocsparseL32bsr2csr_block_per_row_2_7_kernelILj256ELj5EfllEEv20rocsparse_direction_T3_S2_21rocsparse_index_base_PKT1_PKT2_PKS2_S2_S3_PS4_PS7_PS2_.has_recursion, 0
	.set _ZN9rocsparseL32bsr2csr_block_per_row_2_7_kernelILj256ELj5EfllEEv20rocsparse_direction_T3_S2_21rocsparse_index_base_PKT1_PKT2_PKS2_S2_S3_PS4_PS7_PS2_.has_indirect_call, 0
	.section	.AMDGPU.csdata,"",@progbits
; Kernel info:
; codeLenInByte = 1072
; TotalNumSgprs: 21
; NumVgprs: 37
; ScratchSize: 0
; MemoryBound: 0
; FloatMode: 240
; IeeeMode: 1
; LDSByteSize: 0 bytes/workgroup (compile time only)
; SGPRBlocks: 0
; VGPRBlocks: 4
; NumSGPRsForWavesPerEU: 21
; NumVGPRsForWavesPerEU: 37
; Occupancy: 16
; WaveLimiterHint : 0
; COMPUTE_PGM_RSRC2:SCRATCH_EN: 0
; COMPUTE_PGM_RSRC2:USER_SGPR: 6
; COMPUTE_PGM_RSRC2:TRAP_HANDLER: 0
; COMPUTE_PGM_RSRC2:TGID_X_EN: 1
; COMPUTE_PGM_RSRC2:TGID_Y_EN: 0
; COMPUTE_PGM_RSRC2:TGID_Z_EN: 0
; COMPUTE_PGM_RSRC2:TIDIG_COMP_CNT: 0
	.section	.text._ZN9rocsparseL32bsr2csr_block_per_row_2_7_kernelILj256ELj6EfllEEv20rocsparse_direction_T3_S2_21rocsparse_index_base_PKT1_PKT2_PKS2_S2_S3_PS4_PS7_PS2_,"axG",@progbits,_ZN9rocsparseL32bsr2csr_block_per_row_2_7_kernelILj256ELj6EfllEEv20rocsparse_direction_T3_S2_21rocsparse_index_base_PKT1_PKT2_PKS2_S2_S3_PS4_PS7_PS2_,comdat
	.globl	_ZN9rocsparseL32bsr2csr_block_per_row_2_7_kernelILj256ELj6EfllEEv20rocsparse_direction_T3_S2_21rocsparse_index_base_PKT1_PKT2_PKS2_S2_S3_PS4_PS7_PS2_ ; -- Begin function _ZN9rocsparseL32bsr2csr_block_per_row_2_7_kernelILj256ELj6EfllEEv20rocsparse_direction_T3_S2_21rocsparse_index_base_PKT1_PKT2_PKS2_S2_S3_PS4_PS7_PS2_
	.p2align	8
	.type	_ZN9rocsparseL32bsr2csr_block_per_row_2_7_kernelILj256ELj6EfllEEv20rocsparse_direction_T3_S2_21rocsparse_index_base_PKT1_PKT2_PKS2_S2_S3_PS4_PS7_PS2_,@function
_ZN9rocsparseL32bsr2csr_block_per_row_2_7_kernelILj256ELj6EfllEEv20rocsparse_direction_T3_S2_21rocsparse_index_base_PKT1_PKT2_PKS2_S2_S3_PS4_PS7_PS2_: ; @_ZN9rocsparseL32bsr2csr_block_per_row_2_7_kernelILj256ELj6EfllEEv20rocsparse_direction_T3_S2_21rocsparse_index_base_PKT1_PKT2_PKS2_S2_S3_PS4_PS7_PS2_
; %bb.0:
	s_clause 0x2
	s_load_dwordx2 s[0:1], s[4:5], 0x28
	s_load_dword s8, s[4:5], 0x40
	s_load_dwordx2 s[12:13], s[4:5], 0x50
	s_mov_b32 s7, 0
	v_or_b32_e32 v1, s6, v0
	s_lshl_b64 s[2:3], s[6:7], 3
	s_waitcnt lgkmcnt(0)
	s_add_u32 s0, s0, s2
	s_addc_u32 s1, s1, s3
	s_mov_b32 s2, exec_lo
	v_cmpx_eq_u32_e32 0, v1
	s_cbranch_execz .LBB148_2
; %bb.1:
	v_mov_b32_e32 v1, s8
	v_mov_b32_e32 v2, 0
	global_store_dwordx2 v2, v[1:2], s[12:13]
.LBB148_2:
	s_or_b32 exec_lo, exec_lo, s2
	v_and_b32_e32 v6, 7, v0
	s_mov_b32 s2, exec_lo
	v_cmpx_gt_u32_e32 6, v6
	s_cbranch_execz .LBB148_6
; %bb.3:
	s_load_dwordx4 s[0:3], s[0:1], 0x0
	s_load_dword s7, s[4:5], 0x18
	v_lshrrev_b32_e32 v7, 3, v0
	v_mov_b32_e32 v3, 0
	s_mul_i32 s16, s6, 48
	v_lshlrev_b32_e32 v2, 3, v6
	s_waitcnt lgkmcnt(0)
	s_sub_u32 s9, s0, s7
	s_subb_u32 s14, s1, 0
	s_sub_u32 s10, s2, s7
	s_mul_hi_u32 s2, s9, 36
	s_mul_i32 s15, s14, 36
	s_subb_u32 s11, s3, 0
	s_add_i32 s2, s2, s15
	s_sub_u32 s3, s10, s9
	s_subb_u32 s17, s11, s14
	s_mul_i32 s15, s3, 6
	s_mul_hi_u32 s3, s3, 6
	v_mad_u64_u32 v[4:5], null, s15, v6, 0
	s_mul_i32 s17, s17, 6
	s_mul_i32 s18, s9, 36
	s_add_i32 s3, s3, s17
	v_mov_b32_e32 v0, v5
	v_mad_u64_u32 v[8:9], null, s3, v6, v[0:1]
	v_add_co_u32 v0, s9, s9, v7
	v_add_co_ci_u32_e64 v1, null, s14, 0, s9
	s_add_u32 s9, s15, s8
	s_addc_u32 s3, s3, 0
	s_add_u32 s9, s9, s18
	s_addc_u32 s2, s3, s2
	v_add_co_u32 v9, vcc_lo, s9, v4
	v_add_co_ci_u32_e64 v10, null, s2, v8, vcc_lo
	v_cmp_gt_i64_e32 vcc_lo, s[10:11], v[0:1]
	v_mov_b32_e32 v5, v8
	s_mul_hi_u32 s3, s6, 48
	s_add_u32 s2, s12, s16
	s_addc_u32 s3, s13, s3
	s_mov_b32 s9, 0
	global_store_dwordx2 v2, v[9:10], s[2:3] offset:8
	s_and_b32 exec_lo, exec_lo, vcc_lo
	s_cbranch_execz .LBB148_6
; %bb.4:
	v_mad_u64_u32 v[4:5], null, s0, 36, v[4:5]
	v_lshlrev_b32_e32 v2, 2, v6
	s_clause 0x2
	s_load_dwordx2 s[2:3], s[4:5], 0x30
	s_load_dwordx2 s[12:13], s[4:5], 0x48
	s_load_dword s6, s[4:5], 0x0
	s_mul_i32 s15, s7, 36
	s_mul_hi_u32 s14, s7, 36
	v_mad_u64_u32 v[10:11], null, 0x90, v0, v[2:3]
	v_mad_u64_u32 v[8:9], null, s1, 36, v[5:6]
	s_clause 0x1
	s_load_dwordx2 s[0:1], s[4:5], 0x20
	s_load_dwordx2 s[4:5], s[4:5], 0x58
	v_mul_u32_u24_e32 v9, 20, v6
	v_mov_b32_e32 v2, v11
	v_mov_b32_e32 v5, v8
	v_mul_hi_u32_u24_e32 v8, 20, v6
	v_mad_u64_u32 v[3:4], null, v7, 6, v[4:5]
	v_lshlrev_b64 v[5:6], 3, v[0:1]
	s_waitcnt lgkmcnt(0)
	s_cmp_eq_u32 s6, 0
	s_mov_b32 s6, s9
	v_mad_u64_u32 v[11:12], null, 0x90, v1, v[2:3]
	v_sub_co_u32 v12, vcc_lo, v3, s15
	v_subrev_co_ci_u32_e64 v13, null, s14, v4, vcc_lo
	v_add_co_u32 v2, vcc_lo, s2, v5
	v_add_co_ci_u32_e64 v3, null, s3, v6, vcc_lo
	v_lshlrev_b64 v[4:5], 2, v[12:13]
	v_lshlrev_b64 v[6:7], 3, v[12:13]
	v_add_co_u32 v10, vcc_lo, s0, v10
	v_add_co_ci_u32_e64 v11, null, s1, v11, vcc_lo
	v_add_co_u32 v4, vcc_lo, s12, v4
	v_add_co_ci_u32_e64 v5, null, s13, v5, vcc_lo
	;; [unrolled: 2-line block ×5, first 2 shown]
	s_cselect_b32 vcc_lo, -1, 0
.LBB148_5:                              ; =>This Inner Loop Header: Depth=1
	v_add_co_u32 v14, s0, v10, v9
	v_add_co_ci_u32_e64 v15, null, v11, v8, s0
	v_add_co_u32 v18, s0, v10, 24
	v_add_co_ci_u32_e64 v19, null, 0, v11, s0
	v_add_co_u32 v20, s0, v10, 48
	v_add_co_ci_u32_e64 v21, null, 0, v11, s0
	v_add_co_u32 v22, s0, 0x48, v10
	v_add_co_ci_u32_e64 v23, null, 0, v11, s0
	v_add_co_u32 v24, s0, 0x60, v10
	v_add_co_ci_u32_e64 v25, null, 0, v11, s0
	v_add_co_u32 v26, s0, 0x78, v10
	v_add_co_ci_u32_e64 v27, null, 0, v11, s0
	v_add_co_u32 v28, s0, v14, 4
	v_add_co_ci_u32_e64 v29, null, 0, v15, s0
	v_add_co_u32 v30, s0, v14, 8
	global_load_dwordx2 v[16:17], v[2:3], off
	v_add_co_ci_u32_e64 v31, null, 0, v15, s0
	v_add_co_u32 v32, s0, v14, 12
	v_cndmask_b32_e32 v13, v11, v15, vcc_lo
	v_cndmask_b32_e32 v12, v10, v14, vcc_lo
	v_add_co_ci_u32_e64 v33, null, 0, v15, s0
	v_add_co_u32 v34, s0, v14, 16
	v_add_co_ci_u32_e64 v35, null, 0, v15, s0
	v_add_co_u32 v36, s0, v14, 20
	v_add_co_ci_u32_e64 v15, null, 0, v15, s0
	global_load_dword v12, v[12:13], off
	v_cndmask_b32_e32 v14, v19, v29, vcc_lo
	v_cndmask_b32_e32 v13, v18, v28, vcc_lo
	;; [unrolled: 1-line block ×10, first 2 shown]
	global_load_dword v13, v[13:14], off
	global_load_dword v14, v[18:19], off
	;; [unrolled: 1-line block ×5, first 2 shown]
	v_add_co_u32 v0, s0, v0, 32
	v_add_co_ci_u32_e64 v1, null, 0, v1, s0
	v_add_co_u32 v2, s0, 0x100, v2
	v_add_co_ci_u32_e64 v3, null, 0, v3, s0
	;; [unrolled: 2-line block ×3, first 2 shown]
	v_cmp_le_i64_e64 s0, s[10:11], v[0:1]
	s_waitcnt vmcnt(2)
	global_store_dwordx4 v[4:5], v[12:15], off offset:-12
	s_waitcnt vmcnt(0)
	global_store_dwordx2 v[4:5], v[18:19], off offset:4
	v_sub_co_u32 v16, s1, v16, s7
	v_subrev_co_ci_u32_e64 v20, null, 0, v17, s1
	v_add_co_u32 v4, s1, 0x300, v4
	v_mad_u64_u32 v[16:17], null, v16, 6, s[8:9]
	v_add_co_ci_u32_e64 v5, null, 0, v5, s1
	s_or_b32 s6, s0, s6
	v_mad_u64_u32 v[17:18], null, v20, 6, v[17:18]
	v_add_co_u32 v18, s5, v16, 1
	v_add_co_u32 v12, s1, v16, 2
	;; [unrolled: 1-line block ×5, first 2 shown]
	v_add_co_ci_u32_e64 v19, null, 0, v17, s5
	v_add_co_ci_u32_e64 v13, null, 0, v17, s1
	;; [unrolled: 1-line block ×5, first 2 shown]
	global_store_dwordx4 v[6:7], v[16:19], off offset:-24
	global_store_dwordx4 v[6:7], v[12:15], off offset:-8
	global_store_dwordx4 v[6:7], v[20:23], off offset:8
	v_add_co_u32 v6, s1, 0x600, v6
	v_add_co_ci_u32_e64 v7, null, 0, v7, s1
	s_andn2_b32 exec_lo, exec_lo, s6
	s_cbranch_execnz .LBB148_5
.LBB148_6:
	s_endpgm
	.section	.rodata,"a",@progbits
	.p2align	6, 0x0
	.amdhsa_kernel _ZN9rocsparseL32bsr2csr_block_per_row_2_7_kernelILj256ELj6EfllEEv20rocsparse_direction_T3_S2_21rocsparse_index_base_PKT1_PKT2_PKS2_S2_S3_PS4_PS7_PS2_
		.amdhsa_group_segment_fixed_size 0
		.amdhsa_private_segment_fixed_size 0
		.amdhsa_kernarg_size 96
		.amdhsa_user_sgpr_count 6
		.amdhsa_user_sgpr_private_segment_buffer 1
		.amdhsa_user_sgpr_dispatch_ptr 0
		.amdhsa_user_sgpr_queue_ptr 0
		.amdhsa_user_sgpr_kernarg_segment_ptr 1
		.amdhsa_user_sgpr_dispatch_id 0
		.amdhsa_user_sgpr_flat_scratch_init 0
		.amdhsa_user_sgpr_private_segment_size 0
		.amdhsa_wavefront_size32 1
		.amdhsa_uses_dynamic_stack 0
		.amdhsa_system_sgpr_private_segment_wavefront_offset 0
		.amdhsa_system_sgpr_workgroup_id_x 1
		.amdhsa_system_sgpr_workgroup_id_y 0
		.amdhsa_system_sgpr_workgroup_id_z 0
		.amdhsa_system_sgpr_workgroup_info 0
		.amdhsa_system_vgpr_workitem_id 0
		.amdhsa_next_free_vgpr 37
		.amdhsa_next_free_sgpr 19
		.amdhsa_reserve_vcc 1
		.amdhsa_reserve_flat_scratch 0
		.amdhsa_float_round_mode_32 0
		.amdhsa_float_round_mode_16_64 0
		.amdhsa_float_denorm_mode_32 3
		.amdhsa_float_denorm_mode_16_64 3
		.amdhsa_dx10_clamp 1
		.amdhsa_ieee_mode 1
		.amdhsa_fp16_overflow 0
		.amdhsa_workgroup_processor_mode 1
		.amdhsa_memory_ordered 1
		.amdhsa_forward_progress 1
		.amdhsa_shared_vgpr_count 0
		.amdhsa_exception_fp_ieee_invalid_op 0
		.amdhsa_exception_fp_denorm_src 0
		.amdhsa_exception_fp_ieee_div_zero 0
		.amdhsa_exception_fp_ieee_overflow 0
		.amdhsa_exception_fp_ieee_underflow 0
		.amdhsa_exception_fp_ieee_inexact 0
		.amdhsa_exception_int_div_zero 0
	.end_amdhsa_kernel
	.section	.text._ZN9rocsparseL32bsr2csr_block_per_row_2_7_kernelILj256ELj6EfllEEv20rocsparse_direction_T3_S2_21rocsparse_index_base_PKT1_PKT2_PKS2_S2_S3_PS4_PS7_PS2_,"axG",@progbits,_ZN9rocsparseL32bsr2csr_block_per_row_2_7_kernelILj256ELj6EfllEEv20rocsparse_direction_T3_S2_21rocsparse_index_base_PKT1_PKT2_PKS2_S2_S3_PS4_PS7_PS2_,comdat
.Lfunc_end148:
	.size	_ZN9rocsparseL32bsr2csr_block_per_row_2_7_kernelILj256ELj6EfllEEv20rocsparse_direction_T3_S2_21rocsparse_index_base_PKT1_PKT2_PKS2_S2_S3_PS4_PS7_PS2_, .Lfunc_end148-_ZN9rocsparseL32bsr2csr_block_per_row_2_7_kernelILj256ELj6EfllEEv20rocsparse_direction_T3_S2_21rocsparse_index_base_PKT1_PKT2_PKS2_S2_S3_PS4_PS7_PS2_
                                        ; -- End function
	.set _ZN9rocsparseL32bsr2csr_block_per_row_2_7_kernelILj256ELj6EfllEEv20rocsparse_direction_T3_S2_21rocsparse_index_base_PKT1_PKT2_PKS2_S2_S3_PS4_PS7_PS2_.num_vgpr, 37
	.set _ZN9rocsparseL32bsr2csr_block_per_row_2_7_kernelILj256ELj6EfllEEv20rocsparse_direction_T3_S2_21rocsparse_index_base_PKT1_PKT2_PKS2_S2_S3_PS4_PS7_PS2_.num_agpr, 0
	.set _ZN9rocsparseL32bsr2csr_block_per_row_2_7_kernelILj256ELj6EfllEEv20rocsparse_direction_T3_S2_21rocsparse_index_base_PKT1_PKT2_PKS2_S2_S3_PS4_PS7_PS2_.numbered_sgpr, 19
	.set _ZN9rocsparseL32bsr2csr_block_per_row_2_7_kernelILj256ELj6EfllEEv20rocsparse_direction_T3_S2_21rocsparse_index_base_PKT1_PKT2_PKS2_S2_S3_PS4_PS7_PS2_.num_named_barrier, 0
	.set _ZN9rocsparseL32bsr2csr_block_per_row_2_7_kernelILj256ELj6EfllEEv20rocsparse_direction_T3_S2_21rocsparse_index_base_PKT1_PKT2_PKS2_S2_S3_PS4_PS7_PS2_.private_seg_size, 0
	.set _ZN9rocsparseL32bsr2csr_block_per_row_2_7_kernelILj256ELj6EfllEEv20rocsparse_direction_T3_S2_21rocsparse_index_base_PKT1_PKT2_PKS2_S2_S3_PS4_PS7_PS2_.uses_vcc, 1
	.set _ZN9rocsparseL32bsr2csr_block_per_row_2_7_kernelILj256ELj6EfllEEv20rocsparse_direction_T3_S2_21rocsparse_index_base_PKT1_PKT2_PKS2_S2_S3_PS4_PS7_PS2_.uses_flat_scratch, 0
	.set _ZN9rocsparseL32bsr2csr_block_per_row_2_7_kernelILj256ELj6EfllEEv20rocsparse_direction_T3_S2_21rocsparse_index_base_PKT1_PKT2_PKS2_S2_S3_PS4_PS7_PS2_.has_dyn_sized_stack, 0
	.set _ZN9rocsparseL32bsr2csr_block_per_row_2_7_kernelILj256ELj6EfllEEv20rocsparse_direction_T3_S2_21rocsparse_index_base_PKT1_PKT2_PKS2_S2_S3_PS4_PS7_PS2_.has_recursion, 0
	.set _ZN9rocsparseL32bsr2csr_block_per_row_2_7_kernelILj256ELj6EfllEEv20rocsparse_direction_T3_S2_21rocsparse_index_base_PKT1_PKT2_PKS2_S2_S3_PS4_PS7_PS2_.has_indirect_call, 0
	.section	.AMDGPU.csdata,"",@progbits
; Kernel info:
; codeLenInByte = 1148
; TotalNumSgprs: 21
; NumVgprs: 37
; ScratchSize: 0
; MemoryBound: 0
; FloatMode: 240
; IeeeMode: 1
; LDSByteSize: 0 bytes/workgroup (compile time only)
; SGPRBlocks: 0
; VGPRBlocks: 4
; NumSGPRsForWavesPerEU: 21
; NumVGPRsForWavesPerEU: 37
; Occupancy: 16
; WaveLimiterHint : 0
; COMPUTE_PGM_RSRC2:SCRATCH_EN: 0
; COMPUTE_PGM_RSRC2:USER_SGPR: 6
; COMPUTE_PGM_RSRC2:TRAP_HANDLER: 0
; COMPUTE_PGM_RSRC2:TGID_X_EN: 1
; COMPUTE_PGM_RSRC2:TGID_Y_EN: 0
; COMPUTE_PGM_RSRC2:TGID_Z_EN: 0
; COMPUTE_PGM_RSRC2:TIDIG_COMP_CNT: 0
	.section	.text._ZN9rocsparseL32bsr2csr_block_per_row_2_7_kernelILj256ELj7EfllEEv20rocsparse_direction_T3_S2_21rocsparse_index_base_PKT1_PKT2_PKS2_S2_S3_PS4_PS7_PS2_,"axG",@progbits,_ZN9rocsparseL32bsr2csr_block_per_row_2_7_kernelILj256ELj7EfllEEv20rocsparse_direction_T3_S2_21rocsparse_index_base_PKT1_PKT2_PKS2_S2_S3_PS4_PS7_PS2_,comdat
	.globl	_ZN9rocsparseL32bsr2csr_block_per_row_2_7_kernelILj256ELj7EfllEEv20rocsparse_direction_T3_S2_21rocsparse_index_base_PKT1_PKT2_PKS2_S2_S3_PS4_PS7_PS2_ ; -- Begin function _ZN9rocsparseL32bsr2csr_block_per_row_2_7_kernelILj256ELj7EfllEEv20rocsparse_direction_T3_S2_21rocsparse_index_base_PKT1_PKT2_PKS2_S2_S3_PS4_PS7_PS2_
	.p2align	8
	.type	_ZN9rocsparseL32bsr2csr_block_per_row_2_7_kernelILj256ELj7EfllEEv20rocsparse_direction_T3_S2_21rocsparse_index_base_PKT1_PKT2_PKS2_S2_S3_PS4_PS7_PS2_,@function
_ZN9rocsparseL32bsr2csr_block_per_row_2_7_kernelILj256ELj7EfllEEv20rocsparse_direction_T3_S2_21rocsparse_index_base_PKT1_PKT2_PKS2_S2_S3_PS4_PS7_PS2_: ; @_ZN9rocsparseL32bsr2csr_block_per_row_2_7_kernelILj256ELj7EfllEEv20rocsparse_direction_T3_S2_21rocsparse_index_base_PKT1_PKT2_PKS2_S2_S3_PS4_PS7_PS2_
; %bb.0:
	s_clause 0x2
	s_load_dwordx2 s[0:1], s[4:5], 0x28
	s_load_dword s8, s[4:5], 0x40
	s_load_dwordx2 s[12:13], s[4:5], 0x50
	s_mov_b32 s7, 0
	v_or_b32_e32 v1, s6, v0
	s_lshl_b64 s[2:3], s[6:7], 3
	s_waitcnt lgkmcnt(0)
	s_add_u32 s0, s0, s2
	s_addc_u32 s1, s1, s3
	s_mov_b32 s2, exec_lo
	v_cmpx_eq_u32_e32 0, v1
	s_cbranch_execz .LBB149_2
; %bb.1:
	v_mov_b32_e32 v1, s8
	v_mov_b32_e32 v2, 0
	global_store_dwordx2 v2, v[1:2], s[12:13]
.LBB149_2:
	s_or_b32 exec_lo, exec_lo, s2
	v_and_b32_e32 v6, 7, v0
	s_mov_b32 s2, exec_lo
	v_cmpx_ne_u32_e32 7, v6
	s_cbranch_execz .LBB149_6
; %bb.3:
	s_load_dwordx4 s[0:3], s[0:1], 0x0
	s_load_dword s7, s[4:5], 0x18
	v_lshrrev_b32_e32 v7, 3, v0
	v_mov_b32_e32 v3, 0
	s_mul_i32 s16, s6, 56
	v_lshlrev_b32_e32 v2, 3, v6
	s_waitcnt lgkmcnt(0)
	s_sub_u32 s9, s0, s7
	s_subb_u32 s14, s1, 0
	s_sub_u32 s10, s2, s7
	s_mul_hi_u32 s2, s9, 49
	s_mul_i32 s15, s14, 49
	s_subb_u32 s11, s3, 0
	s_add_i32 s2, s2, s15
	s_sub_u32 s3, s10, s9
	s_subb_u32 s17, s11, s14
	s_mul_i32 s15, s3, 7
	s_mul_hi_u32 s3, s3, 7
	v_mad_u64_u32 v[4:5], null, s15, v6, 0
	s_mul_i32 s17, s17, 7
	s_mul_i32 s18, s9, 49
	s_add_i32 s3, s3, s17
	v_mov_b32_e32 v0, v5
	v_mad_u64_u32 v[8:9], null, s3, v6, v[0:1]
	v_add_co_u32 v0, s9, s9, v7
	v_add_co_ci_u32_e64 v1, null, s14, 0, s9
	s_add_u32 s9, s15, s8
	s_addc_u32 s3, s3, 0
	s_add_u32 s9, s9, s18
	s_addc_u32 s2, s3, s2
	v_add_co_u32 v9, vcc_lo, s9, v4
	v_add_co_ci_u32_e64 v10, null, s2, v8, vcc_lo
	v_cmp_gt_i64_e32 vcc_lo, s[10:11], v[0:1]
	v_mov_b32_e32 v5, v8
	s_mul_hi_u32 s3, s6, 56
	s_add_u32 s2, s12, s16
	s_addc_u32 s3, s13, s3
	s_mov_b32 s9, 0
	global_store_dwordx2 v2, v[9:10], s[2:3] offset:8
	s_and_b32 exec_lo, exec_lo, vcc_lo
	s_cbranch_execz .LBB149_6
; %bb.4:
	v_mad_u64_u32 v[4:5], null, s0, 49, v[4:5]
	v_lshlrev_b32_e32 v2, 2, v6
	s_clause 0x2
	s_load_dwordx2 s[2:3], s[4:5], 0x30
	s_load_dwordx2 s[12:13], s[4:5], 0x48
	s_load_dword s6, s[4:5], 0x0
	s_mul_i32 s15, s7, 49
	s_mul_hi_u32 s14, s7, 49
	v_mad_u64_u32 v[10:11], null, 0xc4, v0, v[2:3]
	v_mad_u64_u32 v[8:9], null, s1, 49, v[5:6]
	s_clause 0x1
	s_load_dwordx2 s[0:1], s[4:5], 0x20
	s_load_dwordx2 s[4:5], s[4:5], 0x58
	v_mul_u32_u24_e32 v9, 24, v6
	v_mov_b32_e32 v2, v11
	v_mov_b32_e32 v5, v8
	v_mul_hi_u32_u24_e32 v8, 24, v6
	v_mad_u64_u32 v[3:4], null, v7, 7, v[4:5]
	v_lshlrev_b64 v[5:6], 3, v[0:1]
	s_waitcnt lgkmcnt(0)
	s_cmp_eq_u32 s6, 0
	v_mad_u64_u32 v[11:12], null, 0xc4, v1, v[2:3]
	v_sub_co_u32 v12, vcc_lo, v3, s15
	v_subrev_co_ci_u32_e64 v13, null, s14, v4, vcc_lo
	v_add_co_u32 v2, vcc_lo, s2, v5
	v_add_co_ci_u32_e64 v3, null, s3, v6, vcc_lo
	v_lshlrev_b64 v[4:5], 2, v[12:13]
	v_lshlrev_b64 v[6:7], 3, v[12:13]
	v_add_co_u32 v10, vcc_lo, s0, v10
	v_add_co_ci_u32_e64 v11, null, s1, v11, vcc_lo
	v_add_co_u32 v4, vcc_lo, s12, v4
	v_add_co_ci_u32_e64 v5, null, s13, v5, vcc_lo
	;; [unrolled: 2-line block ×5, first 2 shown]
	s_cselect_b32 vcc_lo, -1, 0
	s_mov_b32 s12, s9
.LBB149_5:                              ; =>This Inner Loop Header: Depth=1
	v_add_co_u32 v14, s0, v10, v9
	v_add_co_ci_u32_e64 v15, null, v11, v8, s0
	v_add_co_u32 v18, s0, v10, 28
	v_add_co_ci_u32_e64 v19, null, 0, v11, s0
	;; [unrolled: 2-line block ×8, first 2 shown]
	v_add_co_u32 v32, s0, v14, 8
	global_load_dwordx2 v[16:17], v[2:3], off
	v_add_co_ci_u32_e64 v33, null, 0, v15, s0
	v_add_co_u32 v34, s0, v14, 12
	v_add_co_ci_u32_e64 v35, null, 0, v15, s0
	v_add_co_u32 v36, s0, v14, 16
	v_cndmask_b32_e32 v13, v11, v15, vcc_lo
	v_cndmask_b32_e32 v12, v10, v14, vcc_lo
	v_add_co_ci_u32_e64 v37, null, 0, v15, s0
	v_add_co_u32 v38, s0, v14, 20
	v_add_co_ci_u32_e64 v39, null, 0, v15, s0
	v_add_co_u32 v40, s0, v14, 24
	v_add_co_ci_u32_e64 v15, null, 0, v15, s0
	global_load_dword v12, v[12:13], off
	v_cndmask_b32_e32 v14, v19, v31, vcc_lo
	v_cndmask_b32_e32 v13, v18, v30, vcc_lo
	;; [unrolled: 1-line block ×12, first 2 shown]
	global_load_dword v13, v[13:14], off
	global_load_dword v14, v[18:19], off
	;; [unrolled: 1-line block ×6, first 2 shown]
	v_add_co_u32 v0, s0, v0, 32
	v_add_co_ci_u32_e64 v1, null, 0, v1, s0
	v_add_co_u32 v2, s0, 0x100, v2
	v_add_co_ci_u32_e64 v3, null, 0, v3, s0
	;; [unrolled: 2-line block ×3, first 2 shown]
	v_cmp_le_i64_e64 s0, s[10:11], v[0:1]
	s_waitcnt vmcnt(3)
	global_store_dwordx4 v[4:5], v[12:15], off offset:-12
	s_waitcnt vmcnt(0)
	global_store_dwordx3 v[4:5], v[18:20], off offset:4
	v_sub_co_u32 v16, s1, v16, s7
	v_subrev_co_ci_u32_e64 v21, null, 0, v17, s1
	v_add_co_u32 v4, s1, 0x380, v4
	v_mad_u64_u32 v[16:17], null, v16, 7, s[8:9]
	v_add_co_ci_u32_e64 v5, null, 0, v5, s1
	s_or_b32 s12, s0, s12
	v_mad_u64_u32 v[17:18], null, v21, 7, v[17:18]
	v_add_co_u32 v18, s6, v16, 1
	v_add_co_u32 v12, s1, v16, 2
	;; [unrolled: 1-line block ×5, first 2 shown]
	v_add_co_ci_u32_e64 v19, null, 0, v17, s6
	v_add_co_u32 v24, s5, v16, 6
	v_add_co_ci_u32_e64 v13, null, 0, v17, s1
	v_add_co_ci_u32_e64 v15, null, 0, v17, s2
	;; [unrolled: 1-line block ×5, first 2 shown]
	global_store_dwordx4 v[6:7], v[16:19], off offset:-24
	global_store_dwordx4 v[6:7], v[12:15], off offset:-8
	global_store_dwordx4 v[6:7], v[20:23], off offset:8
	global_store_dwordx2 v[6:7], v[24:25], off offset:24
	v_add_co_u32 v6, s1, 0x700, v6
	v_add_co_ci_u32_e64 v7, null, 0, v7, s1
	s_andn2_b32 exec_lo, exec_lo, s12
	s_cbranch_execnz .LBB149_5
.LBB149_6:
	s_endpgm
	.section	.rodata,"a",@progbits
	.p2align	6, 0x0
	.amdhsa_kernel _ZN9rocsparseL32bsr2csr_block_per_row_2_7_kernelILj256ELj7EfllEEv20rocsparse_direction_T3_S2_21rocsparse_index_base_PKT1_PKT2_PKS2_S2_S3_PS4_PS7_PS2_
		.amdhsa_group_segment_fixed_size 0
		.amdhsa_private_segment_fixed_size 0
		.amdhsa_kernarg_size 96
		.amdhsa_user_sgpr_count 6
		.amdhsa_user_sgpr_private_segment_buffer 1
		.amdhsa_user_sgpr_dispatch_ptr 0
		.amdhsa_user_sgpr_queue_ptr 0
		.amdhsa_user_sgpr_kernarg_segment_ptr 1
		.amdhsa_user_sgpr_dispatch_id 0
		.amdhsa_user_sgpr_flat_scratch_init 0
		.amdhsa_user_sgpr_private_segment_size 0
		.amdhsa_wavefront_size32 1
		.amdhsa_uses_dynamic_stack 0
		.amdhsa_system_sgpr_private_segment_wavefront_offset 0
		.amdhsa_system_sgpr_workgroup_id_x 1
		.amdhsa_system_sgpr_workgroup_id_y 0
		.amdhsa_system_sgpr_workgroup_id_z 0
		.amdhsa_system_sgpr_workgroup_info 0
		.amdhsa_system_vgpr_workitem_id 0
		.amdhsa_next_free_vgpr 41
		.amdhsa_next_free_sgpr 19
		.amdhsa_reserve_vcc 1
		.amdhsa_reserve_flat_scratch 0
		.amdhsa_float_round_mode_32 0
		.amdhsa_float_round_mode_16_64 0
		.amdhsa_float_denorm_mode_32 3
		.amdhsa_float_denorm_mode_16_64 3
		.amdhsa_dx10_clamp 1
		.amdhsa_ieee_mode 1
		.amdhsa_fp16_overflow 0
		.amdhsa_workgroup_processor_mode 1
		.amdhsa_memory_ordered 1
		.amdhsa_forward_progress 1
		.amdhsa_shared_vgpr_count 0
		.amdhsa_exception_fp_ieee_invalid_op 0
		.amdhsa_exception_fp_denorm_src 0
		.amdhsa_exception_fp_ieee_div_zero 0
		.amdhsa_exception_fp_ieee_overflow 0
		.amdhsa_exception_fp_ieee_underflow 0
		.amdhsa_exception_fp_ieee_inexact 0
		.amdhsa_exception_int_div_zero 0
	.end_amdhsa_kernel
	.section	.text._ZN9rocsparseL32bsr2csr_block_per_row_2_7_kernelILj256ELj7EfllEEv20rocsparse_direction_T3_S2_21rocsparse_index_base_PKT1_PKT2_PKS2_S2_S3_PS4_PS7_PS2_,"axG",@progbits,_ZN9rocsparseL32bsr2csr_block_per_row_2_7_kernelILj256ELj7EfllEEv20rocsparse_direction_T3_S2_21rocsparse_index_base_PKT1_PKT2_PKS2_S2_S3_PS4_PS7_PS2_,comdat
.Lfunc_end149:
	.size	_ZN9rocsparseL32bsr2csr_block_per_row_2_7_kernelILj256ELj7EfllEEv20rocsparse_direction_T3_S2_21rocsparse_index_base_PKT1_PKT2_PKS2_S2_S3_PS4_PS7_PS2_, .Lfunc_end149-_ZN9rocsparseL32bsr2csr_block_per_row_2_7_kernelILj256ELj7EfllEEv20rocsparse_direction_T3_S2_21rocsparse_index_base_PKT1_PKT2_PKS2_S2_S3_PS4_PS7_PS2_
                                        ; -- End function
	.set _ZN9rocsparseL32bsr2csr_block_per_row_2_7_kernelILj256ELj7EfllEEv20rocsparse_direction_T3_S2_21rocsparse_index_base_PKT1_PKT2_PKS2_S2_S3_PS4_PS7_PS2_.num_vgpr, 41
	.set _ZN9rocsparseL32bsr2csr_block_per_row_2_7_kernelILj256ELj7EfllEEv20rocsparse_direction_T3_S2_21rocsparse_index_base_PKT1_PKT2_PKS2_S2_S3_PS4_PS7_PS2_.num_agpr, 0
	.set _ZN9rocsparseL32bsr2csr_block_per_row_2_7_kernelILj256ELj7EfllEEv20rocsparse_direction_T3_S2_21rocsparse_index_base_PKT1_PKT2_PKS2_S2_S3_PS4_PS7_PS2_.numbered_sgpr, 19
	.set _ZN9rocsparseL32bsr2csr_block_per_row_2_7_kernelILj256ELj7EfllEEv20rocsparse_direction_T3_S2_21rocsparse_index_base_PKT1_PKT2_PKS2_S2_S3_PS4_PS7_PS2_.num_named_barrier, 0
	.set _ZN9rocsparseL32bsr2csr_block_per_row_2_7_kernelILj256ELj7EfllEEv20rocsparse_direction_T3_S2_21rocsparse_index_base_PKT1_PKT2_PKS2_S2_S3_PS4_PS7_PS2_.private_seg_size, 0
	.set _ZN9rocsparseL32bsr2csr_block_per_row_2_7_kernelILj256ELj7EfllEEv20rocsparse_direction_T3_S2_21rocsparse_index_base_PKT1_PKT2_PKS2_S2_S3_PS4_PS7_PS2_.uses_vcc, 1
	.set _ZN9rocsparseL32bsr2csr_block_per_row_2_7_kernelILj256ELj7EfllEEv20rocsparse_direction_T3_S2_21rocsparse_index_base_PKT1_PKT2_PKS2_S2_S3_PS4_PS7_PS2_.uses_flat_scratch, 0
	.set _ZN9rocsparseL32bsr2csr_block_per_row_2_7_kernelILj256ELj7EfllEEv20rocsparse_direction_T3_S2_21rocsparse_index_base_PKT1_PKT2_PKS2_S2_S3_PS4_PS7_PS2_.has_dyn_sized_stack, 0
	.set _ZN9rocsparseL32bsr2csr_block_per_row_2_7_kernelILj256ELj7EfllEEv20rocsparse_direction_T3_S2_21rocsparse_index_base_PKT1_PKT2_PKS2_S2_S3_PS4_PS7_PS2_.has_recursion, 0
	.set _ZN9rocsparseL32bsr2csr_block_per_row_2_7_kernelILj256ELj7EfllEEv20rocsparse_direction_T3_S2_21rocsparse_index_base_PKT1_PKT2_PKS2_S2_S3_PS4_PS7_PS2_.has_indirect_call, 0
	.section	.AMDGPU.csdata,"",@progbits
; Kernel info:
; codeLenInByte = 1224
; TotalNumSgprs: 21
; NumVgprs: 41
; ScratchSize: 0
; MemoryBound: 0
; FloatMode: 240
; IeeeMode: 1
; LDSByteSize: 0 bytes/workgroup (compile time only)
; SGPRBlocks: 0
; VGPRBlocks: 5
; NumSGPRsForWavesPerEU: 21
; NumVGPRsForWavesPerEU: 41
; Occupancy: 16
; WaveLimiterHint : 0
; COMPUTE_PGM_RSRC2:SCRATCH_EN: 0
; COMPUTE_PGM_RSRC2:USER_SGPR: 6
; COMPUTE_PGM_RSRC2:TRAP_HANDLER: 0
; COMPUTE_PGM_RSRC2:TGID_X_EN: 1
; COMPUTE_PGM_RSRC2:TGID_Y_EN: 0
; COMPUTE_PGM_RSRC2:TGID_Z_EN: 0
; COMPUTE_PGM_RSRC2:TIDIG_COMP_CNT: 0
	.section	.text._ZN9rocsparseL33bsr2csr_block_per_row_8_32_kernelILj1024ELj8EfllEEv20rocsparse_direction_T3_S2_21rocsparse_index_base_PKT1_PKT2_PKS2_S2_S3_PS4_PS7_PS2_,"axG",@progbits,_ZN9rocsparseL33bsr2csr_block_per_row_8_32_kernelILj1024ELj8EfllEEv20rocsparse_direction_T3_S2_21rocsparse_index_base_PKT1_PKT2_PKS2_S2_S3_PS4_PS7_PS2_,comdat
	.globl	_ZN9rocsparseL33bsr2csr_block_per_row_8_32_kernelILj1024ELj8EfllEEv20rocsparse_direction_T3_S2_21rocsparse_index_base_PKT1_PKT2_PKS2_S2_S3_PS4_PS7_PS2_ ; -- Begin function _ZN9rocsparseL33bsr2csr_block_per_row_8_32_kernelILj1024ELj8EfllEEv20rocsparse_direction_T3_S2_21rocsparse_index_base_PKT1_PKT2_PKS2_S2_S3_PS4_PS7_PS2_
	.p2align	8
	.type	_ZN9rocsparseL33bsr2csr_block_per_row_8_32_kernelILj1024ELj8EfllEEv20rocsparse_direction_T3_S2_21rocsparse_index_base_PKT1_PKT2_PKS2_S2_S3_PS4_PS7_PS2_,@function
_ZN9rocsparseL33bsr2csr_block_per_row_8_32_kernelILj1024ELj8EfllEEv20rocsparse_direction_T3_S2_21rocsparse_index_base_PKT1_PKT2_PKS2_S2_S3_PS4_PS7_PS2_: ; @_ZN9rocsparseL33bsr2csr_block_per_row_8_32_kernelILj1024ELj8EfllEEv20rocsparse_direction_T3_S2_21rocsparse_index_base_PKT1_PKT2_PKS2_S2_S3_PS4_PS7_PS2_
; %bb.0:
	s_clause 0x2
	s_load_dwordx2 s[0:1], s[4:5], 0x28
	s_load_dword s13, s[4:5], 0x40
	s_load_dwordx2 s[10:11], s[4:5], 0x50
	s_mov_b32 s7, 0
	v_or_b32_e32 v1, s6, v0
	s_lshl_b64 s[2:3], s[6:7], 3
	s_waitcnt lgkmcnt(0)
	s_add_u32 s8, s0, s2
	s_addc_u32 s9, s1, s3
	s_mov_b32 s0, exec_lo
	v_cmpx_eq_u32_e32 0, v1
	s_cbranch_execz .LBB150_2
; %bb.1:
	v_mov_b32_e32 v1, s13
	v_mov_b32_e32 v2, 0
	global_store_dwordx2 v2, v[1:2], s[10:11]
.LBB150_2:
	s_or_b32 exec_lo, exec_lo, s0
	s_load_dwordx2 s[2:3], s[4:5], 0x38
	v_mov_b32_e32 v3, 0
	v_bfe_u32 v4, v0, 3, 3
	v_and_b32_e32 v2, 7, v0
	v_mov_b32_e32 v5, v3
	s_waitcnt lgkmcnt(0)
	v_cmp_gt_i64_e32 vcc_lo, s[2:3], v[4:5]
	v_cmp_gt_i64_e64 s0, s[2:3], v[2:3]
	s_and_b32 s0, vcc_lo, s0
	s_and_saveexec_b32 s1, s0
	s_cbranch_execz .LBB150_6
; %bb.3:
	s_load_dwordx4 s[16:19], s[8:9], 0x0
	s_load_dword s12, s[4:5], 0x18
	s_mul_i32 s1, s2, s3
	s_mul_hi_u32 s0, s2, s2
	v_lshrrev_b32_e32 v5, 6, v0
	v_mov_b32_e32 v6, v3
	s_waitcnt lgkmcnt(0)
	s_sub_u32 s15, s16, s12
	s_subb_u32 s16, s17, 0
	s_sub_u32 s8, s18, s12
	s_subb_u32 s9, s19, 0
	s_add_i32 s7, s0, s1
	s_mul_i32 s0, s2, s2
	s_add_i32 s1, s7, s1
	s_mul_hi_u32 s7, s15, s0
	s_mul_i32 s14, s15, s1
	s_mul_i32 s17, s16, s0
	s_add_i32 s7, s7, s14
	s_mul_i32 s14, s15, s0
	s_add_i32 s19, s7, s17
	s_sub_u32 s17, s8, s15
	s_subb_u32 s7, s9, s16
	s_mul_i32 s18, s17, s3
	s_mul_hi_u32 s20, s17, s2
	s_mul_i32 s21, s7, s2
	s_add_i32 s18, s20, s18
	s_mul_i32 s20, s17, s2
	s_add_i32 s21, s18, s21
	s_add_u32 s18, s20, s13
	s_addc_u32 s22, s21, 0
	s_add_u32 s18, s18, s14
	s_addc_u32 s19, s22, s19
	s_mul_i32 s14, s3, s6
	v_mad_u64_u32 v[7:8], null, s20, v4, s[18:19]
	s_mul_hi_u32 s19, s2, s6
	s_mul_i32 s18, s2, s6
	s_add_i32 s19, s19, s14
	s_mov_b32 s14, 0
	s_lshl_b64 s[18:19], s[18:19], 3
	v_mov_b32_e32 v0, v8
	s_add_u32 s10, s10, s18
	s_addc_u32 s11, s11, s19
	v_mad_u64_u32 v[8:9], null, s21, v4, v[0:1]
	v_add_co_u32 v0, s6, s15, v5
	v_add_co_ci_u32_e64 v1, null, s16, 0, s6
	v_lshlrev_b32_e32 v9, 3, v4
	v_cmp_gt_i64_e32 vcc_lo, s[8:9], v[0:1]
	global_store_dwordx2 v9, v[7:8], s[10:11] offset:8
	s_and_b32 exec_lo, exec_lo, vcc_lo
	s_cbranch_execz .LBB150_6
; %bb.4:
	v_mad_u64_u32 v[7:8], null, s2, v2, 0
	v_mad_u64_u32 v[9:10], null, s2, v4, 0
	s_load_dwordx2 s[10:11], s[4:5], 0x20
	v_mad_u64_u32 v[5:6], null, s2, s15, v[5:6]
	s_mul_i32 s6, s3, s15
	v_mov_b32_e32 v3, v8
	s_mul_i32 s15, s2, s16
	v_mov_b32_e32 v8, v10
	s_clause 0x2
	s_load_dwordx2 s[18:19], s[4:5], 0x30
	s_load_dwordx2 s[20:21], s[4:5], 0x48
	s_load_dword s16, s[4:5], 0x0
	v_lshlrev_b32_e32 v13, 2, v2
	v_mad_u64_u32 v[10:11], null, s3, v2, v[3:4]
	v_mad_u64_u32 v[11:12], null, s3, v4, v[8:9]
	v_add3_u32 v6, s15, s6, v6
	v_lshlrev_b32_e32 v3, 2, v4
	v_mul_lo_u32 v14, s1, v0
	v_mul_lo_u32 v15, s0, v1
	v_mov_b32_e32 v8, v10
	v_mad_u64_u32 v[5:6], null, s17, v4, v[5:6]
	v_mov_b32_e32 v10, v11
	s_load_dwordx2 s[4:5], s[4:5], 0x58
	v_lshlrev_b64 v[7:8], 2, v[7:8]
	v_lshlrev_b64 v[9:10], 2, v[9:10]
	v_mul_lo_u32 v16, s3, v5
	s_waitcnt lgkmcnt(0)
	s_cmp_eq_u32 s16, 0
	v_add_co_u32 v7, vcc_lo, s10, v7
	v_add_co_ci_u32_e64 v8, null, s11, v8, vcc_lo
	v_add_co_u32 v9, vcc_lo, s10, v9
	v_add_co_ci_u32_e64 v10, null, s11, v10, vcc_lo
	v_add_co_u32 v11, vcc_lo, v7, v3
	v_mov_b32_e32 v3, v6
	v_mad_u64_u32 v[6:7], null, s0, v0, 0
	v_add_co_ci_u32_e64 v12, null, 0, v8, vcc_lo
	v_mad_u64_u32 v[3:4], null, s7, v4, v[3:4]
	v_add_co_u32 v4, vcc_lo, v9, v13
	v_mad_u64_u32 v[8:9], null, s2, v5, 0
	v_add3_u32 v7, v7, v15, v14
	v_add_co_ci_u32_e64 v10, null, 0, v10, vcc_lo
	v_mul_lo_u32 v3, s2, v3
	s_cselect_b32 vcc_lo, -1, 0
	v_lshlrev_b64 v[5:6], 2, v[6:7]
	v_cndmask_b32_e32 v14, v11, v4, vcc_lo
	v_cndmask_b32_e32 v12, v12, v10, vcc_lo
	s_lshl_b64 s[10:11], s[2:3], 7
	v_add3_u32 v9, v9, v3, v16
	v_add_co_u32 v5, vcc_lo, v14, v5
	v_add_co_ci_u32_e64 v6, null, v12, v6, vcc_lo
	v_lshlrev_b64 v[10:11], 2, v[8:9]
	v_add_co_u32 v3, s6, v2, s13
	v_lshlrev_b32_e32 v2, 3, v2
	v_add_co_ci_u32_e64 v4, null, 0, 0, s6
	v_add_co_u32 v7, vcc_lo, v10, v13
	v_lshlrev_b64 v[9:10], 3, v[8:9]
	v_add_co_ci_u32_e64 v11, null, 0, v11, vcc_lo
	v_add_co_u32 v7, vcc_lo, s20, v7
	s_lshl_b64 s[6:7], s[2:3], 6
	v_add_co_ci_u32_e64 v8, null, s21, v11, vcc_lo
	v_add_co_u32 v2, vcc_lo, v9, v2
	v_lshlrev_b64 v[11:12], 3, v[0:1]
	v_add_co_ci_u32_e64 v10, null, 0, v10, vcc_lo
	v_add_co_u32 v9, vcc_lo, s4, v2
	v_add_co_ci_u32_e64 v10, null, s5, v10, vcc_lo
	v_add_co_u32 v11, vcc_lo, s18, v11
	v_add_co_ci_u32_e64 v12, null, s19, v12, vcc_lo
	s_lshl_b64 s[4:5], s[0:1], 6
	s_inst_prefetch 0x1
	.p2align	6
.LBB150_5:                              ; =>This Inner Loop Header: Depth=1
	global_load_dwordx2 v[13:14], v[11:12], off
	global_load_dword v2, v[5:6], off
	v_add_co_u32 v0, vcc_lo, v0, 16
	v_add_co_ci_u32_e64 v1, null, 0, v1, vcc_lo
	v_add_co_u32 v5, vcc_lo, v5, s4
	v_add_co_ci_u32_e64 v6, null, s5, v6, vcc_lo
	;; [unrolled: 2-line block ×3, first 2 shown]
	v_cmp_le_i64_e32 vcc_lo, s[8:9], v[0:1]
	s_or_b32 s14, vcc_lo, s14
	s_waitcnt vmcnt(1)
	v_sub_co_u32 v13, s0, v13, s12
	v_subrev_co_ci_u32_e64 v14, null, 0, v14, s0
	s_waitcnt vmcnt(0)
	global_store_dword v[7:8], v2, off
	v_mul_lo_u32 v2, v13, s3
	v_add_co_u32 v7, s0, v7, s6
	v_mul_lo_u32 v15, v14, s2
	v_mad_u64_u32 v[13:14], null, v13, s2, v[3:4]
	v_add_co_ci_u32_e64 v8, null, s7, v8, s0
	v_add3_u32 v14, v15, v14, v2
	global_store_dwordx2 v[9:10], v[13:14], off
	v_add_co_u32 v9, s0, v9, s10
	v_add_co_ci_u32_e64 v10, null, s11, v10, s0
	s_andn2_b32 exec_lo, exec_lo, s14
	s_cbranch_execnz .LBB150_5
.LBB150_6:
	s_inst_prefetch 0x2
	s_endpgm
	.section	.rodata,"a",@progbits
	.p2align	6, 0x0
	.amdhsa_kernel _ZN9rocsparseL33bsr2csr_block_per_row_8_32_kernelILj1024ELj8EfllEEv20rocsparse_direction_T3_S2_21rocsparse_index_base_PKT1_PKT2_PKS2_S2_S3_PS4_PS7_PS2_
		.amdhsa_group_segment_fixed_size 0
		.amdhsa_private_segment_fixed_size 0
		.amdhsa_kernarg_size 96
		.amdhsa_user_sgpr_count 6
		.amdhsa_user_sgpr_private_segment_buffer 1
		.amdhsa_user_sgpr_dispatch_ptr 0
		.amdhsa_user_sgpr_queue_ptr 0
		.amdhsa_user_sgpr_kernarg_segment_ptr 1
		.amdhsa_user_sgpr_dispatch_id 0
		.amdhsa_user_sgpr_flat_scratch_init 0
		.amdhsa_user_sgpr_private_segment_size 0
		.amdhsa_wavefront_size32 1
		.amdhsa_uses_dynamic_stack 0
		.amdhsa_system_sgpr_private_segment_wavefront_offset 0
		.amdhsa_system_sgpr_workgroup_id_x 1
		.amdhsa_system_sgpr_workgroup_id_y 0
		.amdhsa_system_sgpr_workgroup_id_z 0
		.amdhsa_system_sgpr_workgroup_info 0
		.amdhsa_system_vgpr_workitem_id 0
		.amdhsa_next_free_vgpr 17
		.amdhsa_next_free_sgpr 23
		.amdhsa_reserve_vcc 1
		.amdhsa_reserve_flat_scratch 0
		.amdhsa_float_round_mode_32 0
		.amdhsa_float_round_mode_16_64 0
		.amdhsa_float_denorm_mode_32 3
		.amdhsa_float_denorm_mode_16_64 3
		.amdhsa_dx10_clamp 1
		.amdhsa_ieee_mode 1
		.amdhsa_fp16_overflow 0
		.amdhsa_workgroup_processor_mode 1
		.amdhsa_memory_ordered 1
		.amdhsa_forward_progress 1
		.amdhsa_shared_vgpr_count 0
		.amdhsa_exception_fp_ieee_invalid_op 0
		.amdhsa_exception_fp_denorm_src 0
		.amdhsa_exception_fp_ieee_div_zero 0
		.amdhsa_exception_fp_ieee_overflow 0
		.amdhsa_exception_fp_ieee_underflow 0
		.amdhsa_exception_fp_ieee_inexact 0
		.amdhsa_exception_int_div_zero 0
	.end_amdhsa_kernel
	.section	.text._ZN9rocsparseL33bsr2csr_block_per_row_8_32_kernelILj1024ELj8EfllEEv20rocsparse_direction_T3_S2_21rocsparse_index_base_PKT1_PKT2_PKS2_S2_S3_PS4_PS7_PS2_,"axG",@progbits,_ZN9rocsparseL33bsr2csr_block_per_row_8_32_kernelILj1024ELj8EfllEEv20rocsparse_direction_T3_S2_21rocsparse_index_base_PKT1_PKT2_PKS2_S2_S3_PS4_PS7_PS2_,comdat
.Lfunc_end150:
	.size	_ZN9rocsparseL33bsr2csr_block_per_row_8_32_kernelILj1024ELj8EfllEEv20rocsparse_direction_T3_S2_21rocsparse_index_base_PKT1_PKT2_PKS2_S2_S3_PS4_PS7_PS2_, .Lfunc_end150-_ZN9rocsparseL33bsr2csr_block_per_row_8_32_kernelILj1024ELj8EfllEEv20rocsparse_direction_T3_S2_21rocsparse_index_base_PKT1_PKT2_PKS2_S2_S3_PS4_PS7_PS2_
                                        ; -- End function
	.set _ZN9rocsparseL33bsr2csr_block_per_row_8_32_kernelILj1024ELj8EfllEEv20rocsparse_direction_T3_S2_21rocsparse_index_base_PKT1_PKT2_PKS2_S2_S3_PS4_PS7_PS2_.num_vgpr, 17
	.set _ZN9rocsparseL33bsr2csr_block_per_row_8_32_kernelILj1024ELj8EfllEEv20rocsparse_direction_T3_S2_21rocsparse_index_base_PKT1_PKT2_PKS2_S2_S3_PS4_PS7_PS2_.num_agpr, 0
	.set _ZN9rocsparseL33bsr2csr_block_per_row_8_32_kernelILj1024ELj8EfllEEv20rocsparse_direction_T3_S2_21rocsparse_index_base_PKT1_PKT2_PKS2_S2_S3_PS4_PS7_PS2_.numbered_sgpr, 23
	.set _ZN9rocsparseL33bsr2csr_block_per_row_8_32_kernelILj1024ELj8EfllEEv20rocsparse_direction_T3_S2_21rocsparse_index_base_PKT1_PKT2_PKS2_S2_S3_PS4_PS7_PS2_.num_named_barrier, 0
	.set _ZN9rocsparseL33bsr2csr_block_per_row_8_32_kernelILj1024ELj8EfllEEv20rocsparse_direction_T3_S2_21rocsparse_index_base_PKT1_PKT2_PKS2_S2_S3_PS4_PS7_PS2_.private_seg_size, 0
	.set _ZN9rocsparseL33bsr2csr_block_per_row_8_32_kernelILj1024ELj8EfllEEv20rocsparse_direction_T3_S2_21rocsparse_index_base_PKT1_PKT2_PKS2_S2_S3_PS4_PS7_PS2_.uses_vcc, 1
	.set _ZN9rocsparseL33bsr2csr_block_per_row_8_32_kernelILj1024ELj8EfllEEv20rocsparse_direction_T3_S2_21rocsparse_index_base_PKT1_PKT2_PKS2_S2_S3_PS4_PS7_PS2_.uses_flat_scratch, 0
	.set _ZN9rocsparseL33bsr2csr_block_per_row_8_32_kernelILj1024ELj8EfllEEv20rocsparse_direction_T3_S2_21rocsparse_index_base_PKT1_PKT2_PKS2_S2_S3_PS4_PS7_PS2_.has_dyn_sized_stack, 0
	.set _ZN9rocsparseL33bsr2csr_block_per_row_8_32_kernelILj1024ELj8EfllEEv20rocsparse_direction_T3_S2_21rocsparse_index_base_PKT1_PKT2_PKS2_S2_S3_PS4_PS7_PS2_.has_recursion, 0
	.set _ZN9rocsparseL33bsr2csr_block_per_row_8_32_kernelILj1024ELj8EfllEEv20rocsparse_direction_T3_S2_21rocsparse_index_base_PKT1_PKT2_PKS2_S2_S3_PS4_PS7_PS2_.has_indirect_call, 0
	.section	.AMDGPU.csdata,"",@progbits
; Kernel info:
; codeLenInByte = 1092
; TotalNumSgprs: 25
; NumVgprs: 17
; ScratchSize: 0
; MemoryBound: 0
; FloatMode: 240
; IeeeMode: 1
; LDSByteSize: 0 bytes/workgroup (compile time only)
; SGPRBlocks: 0
; VGPRBlocks: 2
; NumSGPRsForWavesPerEU: 25
; NumVGPRsForWavesPerEU: 17
; Occupancy: 16
; WaveLimiterHint : 0
; COMPUTE_PGM_RSRC2:SCRATCH_EN: 0
; COMPUTE_PGM_RSRC2:USER_SGPR: 6
; COMPUTE_PGM_RSRC2:TRAP_HANDLER: 0
; COMPUTE_PGM_RSRC2:TGID_X_EN: 1
; COMPUTE_PGM_RSRC2:TGID_Y_EN: 0
; COMPUTE_PGM_RSRC2:TGID_Z_EN: 0
; COMPUTE_PGM_RSRC2:TIDIG_COMP_CNT: 0
	.section	.text._ZN9rocsparseL33bsr2csr_block_per_row_8_32_kernelILj1024ELj16EfllEEv20rocsparse_direction_T3_S2_21rocsparse_index_base_PKT1_PKT2_PKS2_S2_S3_PS4_PS7_PS2_,"axG",@progbits,_ZN9rocsparseL33bsr2csr_block_per_row_8_32_kernelILj1024ELj16EfllEEv20rocsparse_direction_T3_S2_21rocsparse_index_base_PKT1_PKT2_PKS2_S2_S3_PS4_PS7_PS2_,comdat
	.globl	_ZN9rocsparseL33bsr2csr_block_per_row_8_32_kernelILj1024ELj16EfllEEv20rocsparse_direction_T3_S2_21rocsparse_index_base_PKT1_PKT2_PKS2_S2_S3_PS4_PS7_PS2_ ; -- Begin function _ZN9rocsparseL33bsr2csr_block_per_row_8_32_kernelILj1024ELj16EfllEEv20rocsparse_direction_T3_S2_21rocsparse_index_base_PKT1_PKT2_PKS2_S2_S3_PS4_PS7_PS2_
	.p2align	8
	.type	_ZN9rocsparseL33bsr2csr_block_per_row_8_32_kernelILj1024ELj16EfllEEv20rocsparse_direction_T3_S2_21rocsparse_index_base_PKT1_PKT2_PKS2_S2_S3_PS4_PS7_PS2_,@function
_ZN9rocsparseL33bsr2csr_block_per_row_8_32_kernelILj1024ELj16EfllEEv20rocsparse_direction_T3_S2_21rocsparse_index_base_PKT1_PKT2_PKS2_S2_S3_PS4_PS7_PS2_: ; @_ZN9rocsparseL33bsr2csr_block_per_row_8_32_kernelILj1024ELj16EfllEEv20rocsparse_direction_T3_S2_21rocsparse_index_base_PKT1_PKT2_PKS2_S2_S3_PS4_PS7_PS2_
; %bb.0:
	s_clause 0x2
	s_load_dwordx2 s[0:1], s[4:5], 0x28
	s_load_dword s13, s[4:5], 0x40
	s_load_dwordx2 s[10:11], s[4:5], 0x50
	s_mov_b32 s7, 0
	v_or_b32_e32 v1, s6, v0
	s_lshl_b64 s[2:3], s[6:7], 3
	s_waitcnt lgkmcnt(0)
	s_add_u32 s8, s0, s2
	s_addc_u32 s9, s1, s3
	s_mov_b32 s0, exec_lo
	v_cmpx_eq_u32_e32 0, v1
	s_cbranch_execz .LBB151_2
; %bb.1:
	v_mov_b32_e32 v1, s13
	v_mov_b32_e32 v2, 0
	global_store_dwordx2 v2, v[1:2], s[10:11]
.LBB151_2:
	s_or_b32 exec_lo, exec_lo, s0
	s_load_dwordx2 s[2:3], s[4:5], 0x38
	v_mov_b32_e32 v3, 0
	v_bfe_u32 v4, v0, 4, 4
	v_and_b32_e32 v2, 15, v0
	v_mov_b32_e32 v5, v3
	s_waitcnt lgkmcnt(0)
	v_cmp_gt_i64_e32 vcc_lo, s[2:3], v[4:5]
	v_cmp_gt_i64_e64 s0, s[2:3], v[2:3]
	s_and_b32 s0, vcc_lo, s0
	s_and_saveexec_b32 s1, s0
	s_cbranch_execz .LBB151_6
; %bb.3:
	s_load_dwordx4 s[16:19], s[8:9], 0x0
	s_load_dword s12, s[4:5], 0x18
	s_mul_i32 s1, s2, s3
	s_mul_hi_u32 s0, s2, s2
	v_lshrrev_b32_e32 v5, 8, v0
	v_mov_b32_e32 v6, v3
	s_waitcnt lgkmcnt(0)
	s_sub_u32 s15, s16, s12
	s_subb_u32 s16, s17, 0
	s_sub_u32 s8, s18, s12
	s_subb_u32 s9, s19, 0
	s_add_i32 s7, s0, s1
	s_mul_i32 s0, s2, s2
	s_add_i32 s1, s7, s1
	s_mul_hi_u32 s7, s15, s0
	s_mul_i32 s14, s15, s1
	s_mul_i32 s17, s16, s0
	s_add_i32 s7, s7, s14
	s_mul_i32 s14, s15, s0
	s_add_i32 s19, s7, s17
	s_sub_u32 s17, s8, s15
	s_subb_u32 s7, s9, s16
	s_mul_i32 s18, s17, s3
	s_mul_hi_u32 s20, s17, s2
	s_mul_i32 s21, s7, s2
	s_add_i32 s18, s20, s18
	s_mul_i32 s20, s17, s2
	s_add_i32 s21, s18, s21
	s_add_u32 s18, s20, s13
	s_addc_u32 s22, s21, 0
	s_add_u32 s18, s18, s14
	s_addc_u32 s19, s22, s19
	s_mul_i32 s14, s3, s6
	v_mad_u64_u32 v[7:8], null, s20, v4, s[18:19]
	s_mul_hi_u32 s19, s2, s6
	s_mul_i32 s18, s2, s6
	s_add_i32 s19, s19, s14
	s_mov_b32 s14, 0
	s_lshl_b64 s[18:19], s[18:19], 3
	v_mov_b32_e32 v0, v8
	s_add_u32 s10, s10, s18
	s_addc_u32 s11, s11, s19
	v_mad_u64_u32 v[8:9], null, s21, v4, v[0:1]
	v_add_co_u32 v0, s6, s15, v5
	v_add_co_ci_u32_e64 v1, null, s16, 0, s6
	v_lshlrev_b32_e32 v9, 3, v4
	v_cmp_gt_i64_e32 vcc_lo, s[8:9], v[0:1]
	global_store_dwordx2 v9, v[7:8], s[10:11] offset:8
	s_and_b32 exec_lo, exec_lo, vcc_lo
	s_cbranch_execz .LBB151_6
; %bb.4:
	v_mad_u64_u32 v[7:8], null, s2, v2, 0
	v_mad_u64_u32 v[9:10], null, s2, v4, 0
	s_load_dwordx2 s[10:11], s[4:5], 0x20
	v_mad_u64_u32 v[5:6], null, s2, s15, v[5:6]
	s_mul_i32 s6, s3, s15
	v_mov_b32_e32 v3, v8
	s_mul_i32 s15, s2, s16
	v_mov_b32_e32 v8, v10
	s_clause 0x2
	s_load_dwordx2 s[18:19], s[4:5], 0x30
	s_load_dwordx2 s[20:21], s[4:5], 0x48
	s_load_dword s16, s[4:5], 0x0
	v_lshlrev_b32_e32 v13, 2, v2
	v_mad_u64_u32 v[10:11], null, s3, v2, v[3:4]
	v_mad_u64_u32 v[11:12], null, s3, v4, v[8:9]
	v_add3_u32 v6, s15, s6, v6
	v_lshlrev_b32_e32 v3, 2, v4
	v_mul_lo_u32 v14, s1, v0
	v_mul_lo_u32 v15, s0, v1
	v_mov_b32_e32 v8, v10
	v_mad_u64_u32 v[5:6], null, s17, v4, v[5:6]
	v_mov_b32_e32 v10, v11
	s_load_dwordx2 s[4:5], s[4:5], 0x58
	v_lshlrev_b64 v[7:8], 2, v[7:8]
	v_lshlrev_b64 v[9:10], 2, v[9:10]
	v_mul_lo_u32 v16, s3, v5
	s_waitcnt lgkmcnt(0)
	s_cmp_eq_u32 s16, 0
	v_add_co_u32 v7, vcc_lo, s10, v7
	v_add_co_ci_u32_e64 v8, null, s11, v8, vcc_lo
	v_add_co_u32 v9, vcc_lo, s10, v9
	v_add_co_ci_u32_e64 v10, null, s11, v10, vcc_lo
	v_add_co_u32 v11, vcc_lo, v7, v3
	v_mov_b32_e32 v3, v6
	v_mad_u64_u32 v[6:7], null, s0, v0, 0
	v_add_co_ci_u32_e64 v12, null, 0, v8, vcc_lo
	v_mad_u64_u32 v[3:4], null, s7, v4, v[3:4]
	v_add_co_u32 v4, vcc_lo, v9, v13
	v_mad_u64_u32 v[8:9], null, s2, v5, 0
	v_add3_u32 v7, v7, v15, v14
	v_add_co_ci_u32_e64 v10, null, 0, v10, vcc_lo
	v_mul_lo_u32 v3, s2, v3
	s_cselect_b32 vcc_lo, -1, 0
	v_lshlrev_b64 v[5:6], 2, v[6:7]
	v_cndmask_b32_e32 v14, v11, v4, vcc_lo
	v_cndmask_b32_e32 v12, v12, v10, vcc_lo
	s_lshl_b64 s[10:11], s[2:3], 5
	v_add3_u32 v9, v9, v3, v16
	v_add_co_u32 v5, vcc_lo, v14, v5
	v_add_co_ci_u32_e64 v6, null, v12, v6, vcc_lo
	v_lshlrev_b64 v[10:11], 2, v[8:9]
	v_add_co_u32 v3, s6, v2, s13
	v_lshlrev_b32_e32 v2, 3, v2
	v_add_co_ci_u32_e64 v4, null, 0, 0, s6
	v_add_co_u32 v7, vcc_lo, v10, v13
	v_lshlrev_b64 v[9:10], 3, v[8:9]
	v_add_co_ci_u32_e64 v11, null, 0, v11, vcc_lo
	v_add_co_u32 v7, vcc_lo, s20, v7
	s_lshl_b64 s[6:7], s[2:3], 4
	v_add_co_ci_u32_e64 v8, null, s21, v11, vcc_lo
	v_add_co_u32 v2, vcc_lo, v9, v2
	v_lshlrev_b64 v[11:12], 3, v[0:1]
	v_add_co_ci_u32_e64 v10, null, 0, v10, vcc_lo
	v_add_co_u32 v9, vcc_lo, s4, v2
	v_add_co_ci_u32_e64 v10, null, s5, v10, vcc_lo
	v_add_co_u32 v11, vcc_lo, s18, v11
	v_add_co_ci_u32_e64 v12, null, s19, v12, vcc_lo
	s_lshl_b64 s[4:5], s[0:1], 4
	s_inst_prefetch 0x1
	.p2align	6
.LBB151_5:                              ; =>This Inner Loop Header: Depth=1
	global_load_dwordx2 v[13:14], v[11:12], off
	global_load_dword v2, v[5:6], off
	v_add_co_u32 v0, vcc_lo, v0, 4
	v_add_co_ci_u32_e64 v1, null, 0, v1, vcc_lo
	v_add_co_u32 v5, vcc_lo, v5, s4
	v_add_co_ci_u32_e64 v6, null, s5, v6, vcc_lo
	;; [unrolled: 2-line block ×3, first 2 shown]
	v_cmp_le_i64_e32 vcc_lo, s[8:9], v[0:1]
	s_or_b32 s14, vcc_lo, s14
	s_waitcnt vmcnt(1)
	v_sub_co_u32 v13, s0, v13, s12
	v_subrev_co_ci_u32_e64 v14, null, 0, v14, s0
	s_waitcnt vmcnt(0)
	global_store_dword v[7:8], v2, off
	v_mul_lo_u32 v2, v13, s3
	v_add_co_u32 v7, s0, v7, s6
	v_mul_lo_u32 v15, v14, s2
	v_mad_u64_u32 v[13:14], null, v13, s2, v[3:4]
	v_add_co_ci_u32_e64 v8, null, s7, v8, s0
	v_add3_u32 v14, v15, v14, v2
	global_store_dwordx2 v[9:10], v[13:14], off
	v_add_co_u32 v9, s0, v9, s10
	v_add_co_ci_u32_e64 v10, null, s11, v10, s0
	s_andn2_b32 exec_lo, exec_lo, s14
	s_cbranch_execnz .LBB151_5
.LBB151_6:
	s_inst_prefetch 0x2
	s_endpgm
	.section	.rodata,"a",@progbits
	.p2align	6, 0x0
	.amdhsa_kernel _ZN9rocsparseL33bsr2csr_block_per_row_8_32_kernelILj1024ELj16EfllEEv20rocsparse_direction_T3_S2_21rocsparse_index_base_PKT1_PKT2_PKS2_S2_S3_PS4_PS7_PS2_
		.amdhsa_group_segment_fixed_size 0
		.amdhsa_private_segment_fixed_size 0
		.amdhsa_kernarg_size 96
		.amdhsa_user_sgpr_count 6
		.amdhsa_user_sgpr_private_segment_buffer 1
		.amdhsa_user_sgpr_dispatch_ptr 0
		.amdhsa_user_sgpr_queue_ptr 0
		.amdhsa_user_sgpr_kernarg_segment_ptr 1
		.amdhsa_user_sgpr_dispatch_id 0
		.amdhsa_user_sgpr_flat_scratch_init 0
		.amdhsa_user_sgpr_private_segment_size 0
		.amdhsa_wavefront_size32 1
		.amdhsa_uses_dynamic_stack 0
		.amdhsa_system_sgpr_private_segment_wavefront_offset 0
		.amdhsa_system_sgpr_workgroup_id_x 1
		.amdhsa_system_sgpr_workgroup_id_y 0
		.amdhsa_system_sgpr_workgroup_id_z 0
		.amdhsa_system_sgpr_workgroup_info 0
		.amdhsa_system_vgpr_workitem_id 0
		.amdhsa_next_free_vgpr 17
		.amdhsa_next_free_sgpr 23
		.amdhsa_reserve_vcc 1
		.amdhsa_reserve_flat_scratch 0
		.amdhsa_float_round_mode_32 0
		.amdhsa_float_round_mode_16_64 0
		.amdhsa_float_denorm_mode_32 3
		.amdhsa_float_denorm_mode_16_64 3
		.amdhsa_dx10_clamp 1
		.amdhsa_ieee_mode 1
		.amdhsa_fp16_overflow 0
		.amdhsa_workgroup_processor_mode 1
		.amdhsa_memory_ordered 1
		.amdhsa_forward_progress 1
		.amdhsa_shared_vgpr_count 0
		.amdhsa_exception_fp_ieee_invalid_op 0
		.amdhsa_exception_fp_denorm_src 0
		.amdhsa_exception_fp_ieee_div_zero 0
		.amdhsa_exception_fp_ieee_overflow 0
		.amdhsa_exception_fp_ieee_underflow 0
		.amdhsa_exception_fp_ieee_inexact 0
		.amdhsa_exception_int_div_zero 0
	.end_amdhsa_kernel
	.section	.text._ZN9rocsparseL33bsr2csr_block_per_row_8_32_kernelILj1024ELj16EfllEEv20rocsparse_direction_T3_S2_21rocsparse_index_base_PKT1_PKT2_PKS2_S2_S3_PS4_PS7_PS2_,"axG",@progbits,_ZN9rocsparseL33bsr2csr_block_per_row_8_32_kernelILj1024ELj16EfllEEv20rocsparse_direction_T3_S2_21rocsparse_index_base_PKT1_PKT2_PKS2_S2_S3_PS4_PS7_PS2_,comdat
.Lfunc_end151:
	.size	_ZN9rocsparseL33bsr2csr_block_per_row_8_32_kernelILj1024ELj16EfllEEv20rocsparse_direction_T3_S2_21rocsparse_index_base_PKT1_PKT2_PKS2_S2_S3_PS4_PS7_PS2_, .Lfunc_end151-_ZN9rocsparseL33bsr2csr_block_per_row_8_32_kernelILj1024ELj16EfllEEv20rocsparse_direction_T3_S2_21rocsparse_index_base_PKT1_PKT2_PKS2_S2_S3_PS4_PS7_PS2_
                                        ; -- End function
	.set _ZN9rocsparseL33bsr2csr_block_per_row_8_32_kernelILj1024ELj16EfllEEv20rocsparse_direction_T3_S2_21rocsparse_index_base_PKT1_PKT2_PKS2_S2_S3_PS4_PS7_PS2_.num_vgpr, 17
	.set _ZN9rocsparseL33bsr2csr_block_per_row_8_32_kernelILj1024ELj16EfllEEv20rocsparse_direction_T3_S2_21rocsparse_index_base_PKT1_PKT2_PKS2_S2_S3_PS4_PS7_PS2_.num_agpr, 0
	.set _ZN9rocsparseL33bsr2csr_block_per_row_8_32_kernelILj1024ELj16EfllEEv20rocsparse_direction_T3_S2_21rocsparse_index_base_PKT1_PKT2_PKS2_S2_S3_PS4_PS7_PS2_.numbered_sgpr, 23
	.set _ZN9rocsparseL33bsr2csr_block_per_row_8_32_kernelILj1024ELj16EfllEEv20rocsparse_direction_T3_S2_21rocsparse_index_base_PKT1_PKT2_PKS2_S2_S3_PS4_PS7_PS2_.num_named_barrier, 0
	.set _ZN9rocsparseL33bsr2csr_block_per_row_8_32_kernelILj1024ELj16EfllEEv20rocsparse_direction_T3_S2_21rocsparse_index_base_PKT1_PKT2_PKS2_S2_S3_PS4_PS7_PS2_.private_seg_size, 0
	.set _ZN9rocsparseL33bsr2csr_block_per_row_8_32_kernelILj1024ELj16EfllEEv20rocsparse_direction_T3_S2_21rocsparse_index_base_PKT1_PKT2_PKS2_S2_S3_PS4_PS7_PS2_.uses_vcc, 1
	.set _ZN9rocsparseL33bsr2csr_block_per_row_8_32_kernelILj1024ELj16EfllEEv20rocsparse_direction_T3_S2_21rocsparse_index_base_PKT1_PKT2_PKS2_S2_S3_PS4_PS7_PS2_.uses_flat_scratch, 0
	.set _ZN9rocsparseL33bsr2csr_block_per_row_8_32_kernelILj1024ELj16EfllEEv20rocsparse_direction_T3_S2_21rocsparse_index_base_PKT1_PKT2_PKS2_S2_S3_PS4_PS7_PS2_.has_dyn_sized_stack, 0
	.set _ZN9rocsparseL33bsr2csr_block_per_row_8_32_kernelILj1024ELj16EfllEEv20rocsparse_direction_T3_S2_21rocsparse_index_base_PKT1_PKT2_PKS2_S2_S3_PS4_PS7_PS2_.has_recursion, 0
	.set _ZN9rocsparseL33bsr2csr_block_per_row_8_32_kernelILj1024ELj16EfllEEv20rocsparse_direction_T3_S2_21rocsparse_index_base_PKT1_PKT2_PKS2_S2_S3_PS4_PS7_PS2_.has_indirect_call, 0
	.section	.AMDGPU.csdata,"",@progbits
; Kernel info:
; codeLenInByte = 1088
; TotalNumSgprs: 25
; NumVgprs: 17
; ScratchSize: 0
; MemoryBound: 0
; FloatMode: 240
; IeeeMode: 1
; LDSByteSize: 0 bytes/workgroup (compile time only)
; SGPRBlocks: 0
; VGPRBlocks: 2
; NumSGPRsForWavesPerEU: 25
; NumVGPRsForWavesPerEU: 17
; Occupancy: 16
; WaveLimiterHint : 0
; COMPUTE_PGM_RSRC2:SCRATCH_EN: 0
; COMPUTE_PGM_RSRC2:USER_SGPR: 6
; COMPUTE_PGM_RSRC2:TRAP_HANDLER: 0
; COMPUTE_PGM_RSRC2:TGID_X_EN: 1
; COMPUTE_PGM_RSRC2:TGID_Y_EN: 0
; COMPUTE_PGM_RSRC2:TGID_Z_EN: 0
; COMPUTE_PGM_RSRC2:TIDIG_COMP_CNT: 0
	.section	.text._ZN9rocsparseL33bsr2csr_block_per_row_8_32_kernelILj1024ELj32EfllEEv20rocsparse_direction_T3_S2_21rocsparse_index_base_PKT1_PKT2_PKS2_S2_S3_PS4_PS7_PS2_,"axG",@progbits,_ZN9rocsparseL33bsr2csr_block_per_row_8_32_kernelILj1024ELj32EfllEEv20rocsparse_direction_T3_S2_21rocsparse_index_base_PKT1_PKT2_PKS2_S2_S3_PS4_PS7_PS2_,comdat
	.globl	_ZN9rocsparseL33bsr2csr_block_per_row_8_32_kernelILj1024ELj32EfllEEv20rocsparse_direction_T3_S2_21rocsparse_index_base_PKT1_PKT2_PKS2_S2_S3_PS4_PS7_PS2_ ; -- Begin function _ZN9rocsparseL33bsr2csr_block_per_row_8_32_kernelILj1024ELj32EfllEEv20rocsparse_direction_T3_S2_21rocsparse_index_base_PKT1_PKT2_PKS2_S2_S3_PS4_PS7_PS2_
	.p2align	8
	.type	_ZN9rocsparseL33bsr2csr_block_per_row_8_32_kernelILj1024ELj32EfllEEv20rocsparse_direction_T3_S2_21rocsparse_index_base_PKT1_PKT2_PKS2_S2_S3_PS4_PS7_PS2_,@function
_ZN9rocsparseL33bsr2csr_block_per_row_8_32_kernelILj1024ELj32EfllEEv20rocsparse_direction_T3_S2_21rocsparse_index_base_PKT1_PKT2_PKS2_S2_S3_PS4_PS7_PS2_: ; @_ZN9rocsparseL33bsr2csr_block_per_row_8_32_kernelILj1024ELj32EfllEEv20rocsparse_direction_T3_S2_21rocsparse_index_base_PKT1_PKT2_PKS2_S2_S3_PS4_PS7_PS2_
; %bb.0:
	s_clause 0x2
	s_load_dwordx2 s[0:1], s[4:5], 0x28
	s_load_dword s22, s[4:5], 0x40
	s_load_dwordx2 s[20:21], s[4:5], 0x50
	s_mov_b32 s7, 0
	v_or_b32_e32 v1, s6, v0
	s_lshl_b64 s[2:3], s[6:7], 3
	s_waitcnt lgkmcnt(0)
	s_add_u32 s2, s0, s2
	s_addc_u32 s3, s1, s3
	s_mov_b32 s0, exec_lo
	v_cmpx_eq_u32_e32 0, v1
	s_cbranch_execz .LBB152_2
; %bb.1:
	v_mov_b32_e32 v1, s22
	v_mov_b32_e32 v2, 0
	global_store_dwordx2 v2, v[1:2], s[20:21]
.LBB152_2:
	s_or_b32 exec_lo, exec_lo, s0
	s_load_dwordx2 s[8:9], s[4:5], 0x38
	v_mov_b32_e32 v1, 0
	v_lshrrev_b32_e32 v2, 5, v0
	v_and_b32_e32 v0, 31, v0
	v_mov_b32_e32 v3, v1
	s_waitcnt lgkmcnt(0)
	v_cmp_gt_i64_e32 vcc_lo, s[8:9], v[2:3]
	v_cmp_gt_i64_e64 s0, s[8:9], v[0:1]
	s_and_b32 s0, vcc_lo, s0
	s_and_saveexec_b32 s1, s0
	s_cbranch_execz .LBB152_6
; %bb.3:
	s_load_dwordx4 s[0:3], s[2:3], 0x0
	s_load_dword s10, s[4:5], 0x18
	s_mul_i32 s7, s8, s9
	s_mul_hi_u32 s11, s8, s8
	s_mul_i32 s16, s8, s8
	s_waitcnt lgkmcnt(0)
	s_sub_u32 s12, s0, s10
	s_subb_u32 s13, s1, 0
	s_sub_u32 s14, s2, s10
	s_subb_u32 s15, s3, 0
	s_add_i32 s11, s11, s7
	s_mul_i32 s19, s13, s16
	s_add_i32 s17, s11, s7
	s_mul_hi_u32 s7, s12, s16
	s_mul_i32 s11, s12, s17
	s_mul_i32 s18, s12, s16
	s_add_i32 s7, s7, s11
	s_add_i32 s19, s7, s19
	s_sub_u32 s23, s14, s12
	s_subb_u32 s7, s15, s13
	s_mul_i32 s11, s23, s9
	s_mul_hi_u32 s24, s23, s8
	s_mul_i32 s25, s7, s8
	s_add_i32 s11, s24, s11
	s_mul_i32 s26, s23, s8
	s_add_i32 s11, s11, s25
	s_add_u32 s24, s26, s22
	s_addc_u32 s25, s11, 0
	s_add_u32 s24, s24, s18
	s_addc_u32 s25, s25, s19
	v_mad_u64_u32 v[3:4], null, s26, v2, s[24:25]
	s_mul_hi_u32 s25, s8, s6
	s_mul_i32 s24, s8, s6
	v_mov_b32_e32 v1, v4
	v_mad_u64_u32 v[4:5], null, s11, v2, v[1:2]
	s_mul_i32 s11, s9, s6
	v_cmp_ge_i64_e64 s6, s[0:1], s[2:3]
	s_add_i32 s25, s25, s11
	v_lshlrev_b32_e32 v1, 3, v2
	s_lshl_b64 s[2:3], s[24:25], 3
	s_mov_b32 s11, 0
	s_add_u32 s2, s20, s2
	s_addc_u32 s3, s21, s3
	s_and_b32 vcc_lo, exec_lo, s6
	global_store_dwordx2 v1, v[3:4], s[2:3] offset:8
	s_cbranch_vccnz .LBB152_6
; %bb.4:
	v_mad_u64_u32 v[3:4], null, s8, v0, 0
	v_mad_u64_u32 v[5:6], null, s8, v2, 0
	s_clause 0x3
	s_load_dwordx2 s[20:21], s[4:5], 0x30
	s_load_dwordx2 s[24:25], s[4:5], 0x48
	s_load_dword s6, s[4:5], 0x0
	s_load_dwordx2 s[2:3], s[4:5], 0x20
	v_lshlrev_b32_e32 v9, 2, v0
	s_mul_i32 s26, s8, s13
	v_mov_b32_e32 v1, v4
	v_mov_b32_e32 v4, v6
	v_mad_u64_u32 v[6:7], null, s9, v0, v[1:2]
	v_mad_u64_u32 v[7:8], null, s9, v2, v[4:5]
	v_lshlrev_b32_e32 v1, 2, v2
	v_mov_b32_e32 v4, v6
	v_mov_b32_e32 v6, v7
	s_waitcnt lgkmcnt(0)
	s_cmp_eq_u32 s6, 0
	v_lshlrev_b64 v[3:4], 2, v[3:4]
	v_lshlrev_b64 v[5:6], 2, v[5:6]
	v_add_co_u32 v3, vcc_lo, s2, v3
	v_add_co_ci_u32_e64 v4, null, s3, v4, vcc_lo
	v_add_co_u32 v5, vcc_lo, s2, v5
	v_add_co_ci_u32_e64 v6, null, s3, v6, vcc_lo
	;; [unrolled: 2-line block ×3, first 2 shown]
	v_add_co_u32 v10, vcc_lo, v5, v9
	s_mul_hi_u32 s2, s8, s12
	v_add_co_ci_u32_e64 v11, null, 0, v6, vcc_lo
	s_cselect_b32 vcc_lo, -1, 0
	s_add_i32 s2, s2, s26
	s_mul_i32 s3, s9, s12
	s_lshl_b64 s[18:19], s[18:19], 2
	s_add_i32 s3, s2, s3
	s_mul_i32 s2, s8, s12
	s_lshl_b64 s[0:1], s[0:1], 3
	v_mad_u64_u32 v[3:4], null, v2, s23, s[2:3]
	v_mov_b32_e32 v1, v4
	v_mul_lo_u32 v4, s9, v3
	v_mad_u64_u32 v[5:6], null, s8, v3, 0
	v_mad_u64_u32 v[1:2], null, v2, s7, v[1:2]
	s_load_dwordx2 s[6:7], s[4:5], 0x58
	s_lshl_b64 s[4:5], s[8:9], 2
	v_mul_lo_u32 v3, s8, v1
	v_add_co_u32 v1, s2, v0, s22
	v_lshlrev_b32_e32 v0, 3, v0
	v_add_co_ci_u32_e64 v2, null, 0, 0, s2
	s_lshl_b64 s[2:3], s[16:17], 2
	s_lshl_b64 s[16:17], s[10:11], 3
	v_add3_u32 v6, v6, v3, v4
	v_cndmask_b32_e32 v3, v7, v10, vcc_lo
	v_cndmask_b32_e32 v4, v8, v11, vcc_lo
	v_lshlrev_b64 v[7:8], 2, v[5:6]
	v_lshlrev_b64 v[5:6], 3, v[5:6]
	v_add_co_u32 v3, vcc_lo, v3, s18
	v_add_co_ci_u32_e64 v4, null, s19, v4, vcc_lo
	v_add_co_u32 v7, vcc_lo, v7, v9
	v_add_co_ci_u32_e64 v8, null, 0, v8, vcc_lo
	;; [unrolled: 2-line block ×4, first 2 shown]
	s_waitcnt lgkmcnt(0)
	v_add_co_u32 v7, vcc_lo, s6, v0
	v_add_co_ci_u32_e64 v8, null, s7, v9, vcc_lo
	s_lshl_b64 s[6:7], s[8:9], 3
	s_sub_u32 s0, s0, s16
	s_subb_u32 s1, s1, s17
	s_add_u32 s16, s20, s0
	s_addc_u32 s17, s21, s1
	s_inst_prefetch 0x1
	.p2align	6
.LBB152_5:                              ; =>This Inner Loop Header: Depth=1
	global_load_dword v0, v[3:4], off
	s_load_dwordx2 s[0:1], s[16:17], 0x0
	v_add_co_u32 v3, vcc_lo, v3, s2
	v_add_co_ci_u32_e64 v4, null, s3, v4, vcc_lo
	s_waitcnt lgkmcnt(0)
	s_sub_u32 s0, s0, s10
	s_subb_u32 s1, s1, 0
	v_mad_u64_u32 v[9:10], null, s0, s8, v[1:2]
	s_mul_i32 s0, s0, s9
	s_mul_i32 s1, s1, s8
	s_add_u32 s12, s12, 1
	s_addc_u32 s13, s13, 0
	s_add_u32 s16, s16, 8
	v_cmp_lt_i64_e64 s11, s[12:13], s[14:15]
	v_add3_u32 v10, s0, s1, v10
	s_addc_u32 s17, s17, 0
	s_and_b32 vcc_lo, exec_lo, s11
	global_store_dwordx2 v[7:8], v[9:10], off
	v_add_co_u32 v7, s0, v7, s6
	v_add_co_ci_u32_e64 v8, null, s7, v8, s0
	s_waitcnt vmcnt(0)
	global_store_dword v[5:6], v0, off
	v_add_co_u32 v5, s0, v5, s4
	v_add_co_ci_u32_e64 v6, null, s5, v6, s0
	s_cbranch_vccnz .LBB152_5
.LBB152_6:
	s_inst_prefetch 0x2
	s_endpgm
	.section	.rodata,"a",@progbits
	.p2align	6, 0x0
	.amdhsa_kernel _ZN9rocsparseL33bsr2csr_block_per_row_8_32_kernelILj1024ELj32EfllEEv20rocsparse_direction_T3_S2_21rocsparse_index_base_PKT1_PKT2_PKS2_S2_S3_PS4_PS7_PS2_
		.amdhsa_group_segment_fixed_size 0
		.amdhsa_private_segment_fixed_size 0
		.amdhsa_kernarg_size 96
		.amdhsa_user_sgpr_count 6
		.amdhsa_user_sgpr_private_segment_buffer 1
		.amdhsa_user_sgpr_dispatch_ptr 0
		.amdhsa_user_sgpr_queue_ptr 0
		.amdhsa_user_sgpr_kernarg_segment_ptr 1
		.amdhsa_user_sgpr_dispatch_id 0
		.amdhsa_user_sgpr_flat_scratch_init 0
		.amdhsa_user_sgpr_private_segment_size 0
		.amdhsa_wavefront_size32 1
		.amdhsa_uses_dynamic_stack 0
		.amdhsa_system_sgpr_private_segment_wavefront_offset 0
		.amdhsa_system_sgpr_workgroup_id_x 1
		.amdhsa_system_sgpr_workgroup_id_y 0
		.amdhsa_system_sgpr_workgroup_id_z 0
		.amdhsa_system_sgpr_workgroup_info 0
		.amdhsa_system_vgpr_workitem_id 0
		.amdhsa_next_free_vgpr 12
		.amdhsa_next_free_sgpr 27
		.amdhsa_reserve_vcc 1
		.amdhsa_reserve_flat_scratch 0
		.amdhsa_float_round_mode_32 0
		.amdhsa_float_round_mode_16_64 0
		.amdhsa_float_denorm_mode_32 3
		.amdhsa_float_denorm_mode_16_64 3
		.amdhsa_dx10_clamp 1
		.amdhsa_ieee_mode 1
		.amdhsa_fp16_overflow 0
		.amdhsa_workgroup_processor_mode 1
		.amdhsa_memory_ordered 1
		.amdhsa_forward_progress 1
		.amdhsa_shared_vgpr_count 0
		.amdhsa_exception_fp_ieee_invalid_op 0
		.amdhsa_exception_fp_denorm_src 0
		.amdhsa_exception_fp_ieee_div_zero 0
		.amdhsa_exception_fp_ieee_overflow 0
		.amdhsa_exception_fp_ieee_underflow 0
		.amdhsa_exception_fp_ieee_inexact 0
		.amdhsa_exception_int_div_zero 0
	.end_amdhsa_kernel
	.section	.text._ZN9rocsparseL33bsr2csr_block_per_row_8_32_kernelILj1024ELj32EfllEEv20rocsparse_direction_T3_S2_21rocsparse_index_base_PKT1_PKT2_PKS2_S2_S3_PS4_PS7_PS2_,"axG",@progbits,_ZN9rocsparseL33bsr2csr_block_per_row_8_32_kernelILj1024ELj32EfllEEv20rocsparse_direction_T3_S2_21rocsparse_index_base_PKT1_PKT2_PKS2_S2_S3_PS4_PS7_PS2_,comdat
.Lfunc_end152:
	.size	_ZN9rocsparseL33bsr2csr_block_per_row_8_32_kernelILj1024ELj32EfllEEv20rocsparse_direction_T3_S2_21rocsparse_index_base_PKT1_PKT2_PKS2_S2_S3_PS4_PS7_PS2_, .Lfunc_end152-_ZN9rocsparseL33bsr2csr_block_per_row_8_32_kernelILj1024ELj32EfllEEv20rocsparse_direction_T3_S2_21rocsparse_index_base_PKT1_PKT2_PKS2_S2_S3_PS4_PS7_PS2_
                                        ; -- End function
	.set _ZN9rocsparseL33bsr2csr_block_per_row_8_32_kernelILj1024ELj32EfllEEv20rocsparse_direction_T3_S2_21rocsparse_index_base_PKT1_PKT2_PKS2_S2_S3_PS4_PS7_PS2_.num_vgpr, 12
	.set _ZN9rocsparseL33bsr2csr_block_per_row_8_32_kernelILj1024ELj32EfllEEv20rocsparse_direction_T3_S2_21rocsparse_index_base_PKT1_PKT2_PKS2_S2_S3_PS4_PS7_PS2_.num_agpr, 0
	.set _ZN9rocsparseL33bsr2csr_block_per_row_8_32_kernelILj1024ELj32EfllEEv20rocsparse_direction_T3_S2_21rocsparse_index_base_PKT1_PKT2_PKS2_S2_S3_PS4_PS7_PS2_.numbered_sgpr, 27
	.set _ZN9rocsparseL33bsr2csr_block_per_row_8_32_kernelILj1024ELj32EfllEEv20rocsparse_direction_T3_S2_21rocsparse_index_base_PKT1_PKT2_PKS2_S2_S3_PS4_PS7_PS2_.num_named_barrier, 0
	.set _ZN9rocsparseL33bsr2csr_block_per_row_8_32_kernelILj1024ELj32EfllEEv20rocsparse_direction_T3_S2_21rocsparse_index_base_PKT1_PKT2_PKS2_S2_S3_PS4_PS7_PS2_.private_seg_size, 0
	.set _ZN9rocsparseL33bsr2csr_block_per_row_8_32_kernelILj1024ELj32EfllEEv20rocsparse_direction_T3_S2_21rocsparse_index_base_PKT1_PKT2_PKS2_S2_S3_PS4_PS7_PS2_.uses_vcc, 1
	.set _ZN9rocsparseL33bsr2csr_block_per_row_8_32_kernelILj1024ELj32EfllEEv20rocsparse_direction_T3_S2_21rocsparse_index_base_PKT1_PKT2_PKS2_S2_S3_PS4_PS7_PS2_.uses_flat_scratch, 0
	.set _ZN9rocsparseL33bsr2csr_block_per_row_8_32_kernelILj1024ELj32EfllEEv20rocsparse_direction_T3_S2_21rocsparse_index_base_PKT1_PKT2_PKS2_S2_S3_PS4_PS7_PS2_.has_dyn_sized_stack, 0
	.set _ZN9rocsparseL33bsr2csr_block_per_row_8_32_kernelILj1024ELj32EfllEEv20rocsparse_direction_T3_S2_21rocsparse_index_base_PKT1_PKT2_PKS2_S2_S3_PS4_PS7_PS2_.has_recursion, 0
	.set _ZN9rocsparseL33bsr2csr_block_per_row_8_32_kernelILj1024ELj32EfllEEv20rocsparse_direction_T3_S2_21rocsparse_index_base_PKT1_PKT2_PKS2_S2_S3_PS4_PS7_PS2_.has_indirect_call, 0
	.section	.AMDGPU.csdata,"",@progbits
; Kernel info:
; codeLenInByte = 992
; TotalNumSgprs: 29
; NumVgprs: 12
; ScratchSize: 0
; MemoryBound: 0
; FloatMode: 240
; IeeeMode: 1
; LDSByteSize: 0 bytes/workgroup (compile time only)
; SGPRBlocks: 0
; VGPRBlocks: 1
; NumSGPRsForWavesPerEU: 29
; NumVGPRsForWavesPerEU: 12
; Occupancy: 16
; WaveLimiterHint : 0
; COMPUTE_PGM_RSRC2:SCRATCH_EN: 0
; COMPUTE_PGM_RSRC2:USER_SGPR: 6
; COMPUTE_PGM_RSRC2:TRAP_HANDLER: 0
; COMPUTE_PGM_RSRC2:TGID_X_EN: 1
; COMPUTE_PGM_RSRC2:TGID_Y_EN: 0
; COMPUTE_PGM_RSRC2:TGID_Z_EN: 0
; COMPUTE_PGM_RSRC2:TIDIG_COMP_CNT: 0
	.section	.text._ZN9rocsparseL35bsr2csr_block_per_row_33_256_kernelILj1024ELj64ELj32EfllEEv20rocsparse_direction_T4_S2_21rocsparse_index_base_PKT2_PKT3_PKS2_S2_S3_PS4_PS7_PS2_,"axG",@progbits,_ZN9rocsparseL35bsr2csr_block_per_row_33_256_kernelILj1024ELj64ELj32EfllEEv20rocsparse_direction_T4_S2_21rocsparse_index_base_PKT2_PKT3_PKS2_S2_S3_PS4_PS7_PS2_,comdat
	.globl	_ZN9rocsparseL35bsr2csr_block_per_row_33_256_kernelILj1024ELj64ELj32EfllEEv20rocsparse_direction_T4_S2_21rocsparse_index_base_PKT2_PKT3_PKS2_S2_S3_PS4_PS7_PS2_ ; -- Begin function _ZN9rocsparseL35bsr2csr_block_per_row_33_256_kernelILj1024ELj64ELj32EfllEEv20rocsparse_direction_T4_S2_21rocsparse_index_base_PKT2_PKT3_PKS2_S2_S3_PS4_PS7_PS2_
	.p2align	8
	.type	_ZN9rocsparseL35bsr2csr_block_per_row_33_256_kernelILj1024ELj64ELj32EfllEEv20rocsparse_direction_T4_S2_21rocsparse_index_base_PKT2_PKT3_PKS2_S2_S3_PS4_PS7_PS2_,@function
_ZN9rocsparseL35bsr2csr_block_per_row_33_256_kernelILj1024ELj64ELj32EfllEEv20rocsparse_direction_T4_S2_21rocsparse_index_base_PKT2_PKT3_PKS2_S2_S3_PS4_PS7_PS2_: ; @_ZN9rocsparseL35bsr2csr_block_per_row_33_256_kernelILj1024ELj64ELj32EfllEEv20rocsparse_direction_T4_S2_21rocsparse_index_base_PKT2_PKT3_PKS2_S2_S3_PS4_PS7_PS2_
; %bb.0:
	s_load_dwordx2 s[0:1], s[4:5], 0x28
	s_mov_b32 s13, 0
	s_clause 0x1
	s_load_dword s14, s[4:5], 0x40
	s_load_dwordx2 s[2:3], s[4:5], 0x50
	s_mov_b32 s7, s13
	v_or_b32_e32 v1, s6, v0
	s_lshl_b64 s[8:9], s[6:7], 3
	s_waitcnt lgkmcnt(0)
	s_add_u32 s0, s0, s8
	s_addc_u32 s1, s1, s9
	s_load_dwordx4 s[8:11], s[0:1], 0x0
	s_mov_b32 s0, exec_lo
	v_cmpx_eq_u32_e32 0, v1
	s_cbranch_execz .LBB153_2
; %bb.1:
	s_mov_b32 s15, s13
	v_mov_b32_e32 v1, s14
	v_mov_b32_e32 v3, 0
	;; [unrolled: 1-line block ×3, first 2 shown]
	global_store_dwordx2 v3, v[1:2], s[2:3]
.LBB153_2:
	s_or_b32 exec_lo, exec_lo, s0
	s_clause 0x1
	s_load_dword s12, s[4:5], 0x18
	s_load_dwordx2 s[16:17], s[4:5], 0x38
	v_mov_b32_e32 v6, 0
	v_lshrrev_b32_e32 v5, 5, v0
	v_lshlrev_b32_e32 v3, 3, v5
	s_waitcnt lgkmcnt(0)
	s_sub_u32 s18, s8, s12
	s_subb_u32 s19, s9, 0
	s_mul_hi_u32 s0, s16, s18
	s_mul_i32 s20, s16, s19
	s_mul_i32 s1, s17, s6
	s_mul_hi_u32 s23, s16, s6
	s_mul_i32 s22, s16, s6
	s_sub_u32 s6, s10, s12
	s_mul_i32 s15, s17, s18
	s_mul_i32 s24, s16, s18
	s_subb_u32 s7, s11, 0
	s_add_i32 s0, s0, s20
	s_mul_i32 s21, s24, s17
	s_mul_hi_u32 s20, s24, s16
	s_add_i32 s25, s0, s15
	s_add_i32 s0, s20, s21
	s_mul_i32 s15, s25, s16
	s_mul_i32 s20, s24, s16
	s_add_i32 s21, s0, s15
	s_sub_u32 s0, s6, s18
	s_subb_u32 s30, s7, s19
	s_mul_i32 s15, s0, s17
	s_mul_hi_u32 s26, s0, s16
	s_mul_i32 s27, s30, s16
	s_add_i32 s15, s26, s15
	s_mul_i32 s26, s0, s16
	s_add_i32 s15, s15, s27
	s_add_u32 s20, s20, s14
	s_addc_u32 s21, s21, 0
	s_add_u32 s20, s20, s26
	s_addc_u32 s21, s21, s15
	s_add_i32 s23, s23, s1
	v_cmp_gt_i64_e64 s1, s[16:17], v[5:6]
	s_lshl_b64 s[22:23], s[22:23], 3
	s_add_u32 s22, s2, s22
	s_addc_u32 s23, s3, s23
	s_and_saveexec_b32 s2, s1
	s_cbranch_execz .LBB153_4
; %bb.3:
	v_mad_u64_u32 v[1:2], null, v5, s26, s[20:21]
	v_mad_u64_u32 v[7:8], null, v5, s15, v[2:3]
	v_mov_b32_e32 v2, v7
	global_store_dwordx2 v3, v[1:2], s[22:23] offset:8
.LBB153_4:
	s_or_b32 exec_lo, exec_lo, s2
	v_or_b32_e32 v1, 32, v5
	v_mov_b32_e32 v2, v6
	v_cmp_gt_i64_e64 s2, s[16:17], v[1:2]
	s_and_saveexec_b32 s3, s2
	s_cbranch_execz .LBB153_6
; %bb.5:
	v_mad_u64_u32 v[6:7], null, v1, s26, s[20:21]
	v_mov_b32_e32 v2, v7
	v_mad_u64_u32 v[1:2], null, v1, s15, v[2:3]
	v_mov_b32_e32 v7, v1
	global_store_dwordx2 v3, v[6:7], s[22:23] offset:264
.LBB153_6:
	s_or_b32 exec_lo, exec_lo, s3
	v_cmp_lt_i64_e64 s3, s[8:9], s[10:11]
	s_and_b32 vcc_lo, exec_lo, s3
	s_cbranch_vccz .LBB153_17
; %bb.7:
	s_clause 0x4
	s_load_dwordx2 s[28:29], s[4:5], 0x30
	s_load_dwordx2 s[22:23], s[4:5], 0x48
	s_load_dword s3, s[4:5], 0x0
	s_load_dwordx2 s[20:21], s[4:5], 0x20
	s_load_dwordx2 s[26:27], s[4:5], 0x58
	v_lshlrev_b32_e32 v9, 2, v5
	v_mad_u64_u32 v[11:12], null, v5, s0, s[24:25]
	v_and_b32_e32 v0, 31, v0
	v_mov_b32_e32 v1, 0
	s_mul_i32 s5, s16, s17
	s_mul_hi_u32 s31, s16, s16
	s_mul_i32 s4, s16, s16
	v_or_b32_e32 v2, 32, v0
	v_mov_b32_e32 v3, v1
	v_lshlrev_b32_e32 v13, 2, v0
	v_mov_b32_e32 v14, v1
	v_cmp_gt_i64_e32 vcc_lo, s[16:17], v[0:1]
	v_mov_b32_e32 v10, v1
	s_waitcnt lgkmcnt(0)
	s_cmp_eq_u32 s3, 0
	s_cselect_b32 s0, -1, 0
	s_lshl_b64 s[34:35], s[24:25], 2
	s_add_i32 s25, s31, s5
	v_add_co_u32 v6, s3, s34, v9
	v_add_co_ci_u32_e64 v7, null, s35, 0, s3
	s_add_i32 s5, s25, s5
	v_add_co_u32 v4, s3, 0x80, v6
	v_add_co_ci_u32_e64 v8, null, 0, v7, s3
	v_cmp_gt_i64_e64 s3, s[16:17], v[2:3]
	s_and_b32 s15, s1, vcc_lo
	s_and_b32 s24, s2, vcc_lo
	v_mul_lo_u32 v1, s16, v8
	v_mul_lo_u32 v8, s17, v4
	v_mad_u64_u32 v[3:4], null, s16, v4, v[13:14]
	s_and_b32 s1, s1, s3
	s_and_b32 s25, s2, s3
	s_lshl_b64 s[2:3], s[4:5], 2
	v_add_co_u32 v21, s4, s34, v13
	v_add_co_ci_u32_e64 v18, null, s35, 0, s4
	v_add3_u32 v4, v8, v4, v1
	v_mov_b32_e32 v1, v12
	v_mul_lo_u32 v17, s16, v7
	v_add_co_u32 v7, vcc_lo, 0x80, v21
	s_lshl_b64 s[4:5], s[8:9], 3
	v_mad_u64_u32 v[15:16], null, v5, s30, v[1:2]
	s_lshl_b64 s[30:31], s[12:13], 3
	v_add_co_ci_u32_e64 v8, null, 0, v18, vcc_lo
	v_mul_lo_u32 v16, s16, v18
	v_mul_lo_u32 v12, s17, v11
	v_mad_u64_u32 v[18:19], null, s16, v11, 0
	v_mul_lo_u32 v22, s16, v15
	s_sub_u32 s4, s4, s30
	s_subb_u32 s5, s5, s31
	s_add_u32 s4, s28, s4
	s_addc_u32 s5, s29, s5
	s_lshl_b64 s[10:11], s[10:11], 5
	s_lshl_b64 s[8:9], s[8:9], 5
	v_add_co_u32 v11, vcc_lo, v11, s10
	v_add3_u32 v19, v19, v22, v12
	v_add_co_ci_u32_e64 v12, null, s11, v15, vcc_lo
	v_mul_lo_u32 v20, s17, v6
	v_mad_u64_u32 v[5:6], null, s16, v6, v[13:14]
	v_sub_co_u32 v15, vcc_lo, v11, s8
	v_subrev_co_ci_u32_e64 v22, null, s9, v12, vcc_lo
	v_mul_lo_u32 v1, s16, v8
	v_mul_lo_u32 v14, s17, v7
	v_mad_u64_u32 v[7:8], null, s16, v7, v[9:10]
	v_mul_lo_u32 v23, s17, v21
	v_mad_u64_u32 v[9:10], null, s16, v21, v[9:10]
	v_add3_u32 v6, v20, v6, v17
	v_mul_lo_u32 v17, s17, v15
	v_mul_lo_u32 v22, s16, v22
	v_mad_u64_u32 v[20:21], null, s16, v15, 0
	v_lshlrev_b64 v[11:12], 3, v[18:19]
	v_add3_u32 v8, v14, v8, v1
	v_lshlrev_b32_e32 v14, 3, v0
	v_add3_u32 v10, v23, v10, v16
	s_lshl_b64 s[10:11], s[16:17], 2
	v_add3_u32 v21, v21, v22, v17
	v_lshlrev_b64 v[22:23], 2, v[18:19]
	v_add_co_u32 v1, vcc_lo, 0x100, v11
	v_add_co_u32 v16, s8, s26, v14
	v_add_co_ci_u32_e64 v15, null, 0, v12, vcc_lo
	v_add_co_ci_u32_e64 v17, null, s27, 0, s8
	v_lshlrev_b64 v[11:12], 2, v[20:21]
	v_add_co_u32 v18, s8, s22, v13
	v_lshlrev_b64 v[13:14], 3, v[20:21]
	v_add_co_u32 v20, vcc_lo, 0x80, v22
	v_add_co_ci_u32_e64 v19, null, s23, 0, s8
	v_add_co_ci_u32_e64 v21, null, 0, v23, vcc_lo
	s_lshl_b64 s[8:9], s[16:17], 3
	s_branch .LBB153_9
.LBB153_8:                              ;   in Loop: Header=BB153_9 Depth=1
	s_or_b32 exec_lo, exec_lo, s23
	s_add_u32 s18, s18, 1
	s_addc_u32 s19, s19, 0
	v_add_co_u32 v16, vcc_lo, v16, s8
	v_cmp_ge_i64_e64 s13, s[18:19], s[6:7]
	v_add_co_ci_u32_e64 v17, null, s9, v17, vcc_lo
	v_add_co_u32 v18, vcc_lo, v18, s10
	s_add_u32 s20, s20, s2
	v_add_co_ci_u32_e64 v19, null, s11, v19, vcc_lo
	s_addc_u32 s21, s21, s3
	s_add_u32 s4, s4, 8
	s_addc_u32 s5, s5, 0
	s_and_b32 vcc_lo, exec_lo, s13
	s_cbranch_vccnz .LBB153_17
.LBB153_9:                              ; =>This Inner Loop Header: Depth=1
	s_load_dwordx2 s[22:23], s[4:5], 0x0
	s_waitcnt lgkmcnt(0)
	s_sub_u32 s13, s22, s12
	s_subb_u32 s23, s23, 0
	s_mul_i32 s22, s13, s17
	s_mul_hi_u32 s26, s13, s16
	s_mul_i32 s23, s23, s16
	s_add_i32 s22, s26, s22
	s_mul_i32 s13, s13, s16
	s_add_i32 s22, s22, s23
	s_add_u32 s13, s13, s14
	s_addc_u32 s22, s22, 0
	s_and_saveexec_b32 s23, s15
	s_cbranch_execnz .LBB153_13
; %bb.10:                               ;   in Loop: Header=BB153_9 Depth=1
	s_or_b32 exec_lo, exec_lo, s23
	s_and_saveexec_b32 s23, s1
	s_cbranch_execnz .LBB153_14
.LBB153_11:                             ;   in Loop: Header=BB153_9 Depth=1
	s_or_b32 exec_lo, exec_lo, s23
	s_and_saveexec_b32 s23, s24
	s_cbranch_execnz .LBB153_15
.LBB153_12:                             ;   in Loop: Header=BB153_9 Depth=1
	s_or_b32 exec_lo, exec_lo, s23
	s_and_saveexec_b32 s23, s25
	s_cbranch_execz .LBB153_8
	s_branch .LBB153_16
.LBB153_13:                             ;   in Loop: Header=BB153_9 Depth=1
	v_add_co_u32 v22, vcc_lo, s20, v5
	v_add_co_ci_u32_e64 v23, null, s21, v6, vcc_lo
	v_add_co_u32 v24, vcc_lo, s20, v9
	v_add_co_ci_u32_e64 v25, null, s21, v10, vcc_lo
	v_cndmask_b32_e64 v22, v24, v22, s0
	v_add_co_u32 v24, vcc_lo, v16, v1
	v_cndmask_b32_e64 v23, v25, v23, s0
	v_add_co_ci_u32_e64 v25, null, v17, v15, vcc_lo
	v_add_co_u32 v26, vcc_lo, v18, v20
	global_load_dword v28, v[22:23], off
	v_add_co_u32 v22, s26, s13, v0
	v_add_co_ci_u32_e64 v23, null, s22, 0, s26
	v_add_co_ci_u32_e64 v27, null, v19, v21, vcc_lo
	global_store_dwordx2 v[24:25], v[22:23], off offset:-256
	s_waitcnt vmcnt(0)
	global_store_dword v[26:27], v28, off offset:-128
	s_or_b32 exec_lo, exec_lo, s23
	s_and_saveexec_b32 s23, s1
	s_cbranch_execz .LBB153_11
.LBB153_14:                             ;   in Loop: Header=BB153_9 Depth=1
	v_add_co_u32 v22, vcc_lo, s20, v5
	v_add_co_ci_u32_e64 v23, null, s21, v6, vcc_lo
	v_add_co_u32 v22, vcc_lo, 0x80, v22
	v_add_co_ci_u32_e64 v23, null, 0, v23, vcc_lo
	;; [unrolled: 2-line block ×3, first 2 shown]
	v_cndmask_b32_e64 v22, v24, v22, s0
	v_add_co_u32 v24, vcc_lo, v16, v1
	v_cndmask_b32_e64 v23, v25, v23, s0
	v_add_co_ci_u32_e64 v25, null, v17, v15, vcc_lo
	v_add_co_u32 v26, vcc_lo, v18, v20
	global_load_dword v28, v[22:23], off
	v_add_co_u32 v22, s26, s13, v2
	v_add_co_ci_u32_e64 v23, null, s22, 0, s26
	v_add_co_ci_u32_e64 v27, null, v19, v21, vcc_lo
	global_store_dwordx2 v[24:25], v[22:23], off
	s_waitcnt vmcnt(0)
	global_store_dword v[26:27], v28, off
	s_or_b32 exec_lo, exec_lo, s23
	s_and_saveexec_b32 s23, s24
	s_cbranch_execz .LBB153_12
.LBB153_15:                             ;   in Loop: Header=BB153_9 Depth=1
	v_add_co_u32 v22, vcc_lo, s20, v9
	v_add_co_ci_u32_e64 v23, null, s21, v10, vcc_lo
	v_add_co_u32 v24, vcc_lo, s20, v3
	v_add_co_ci_u32_e64 v25, null, s21, v4, vcc_lo
	;; [unrolled: 2-line block ×3, first 2 shown]
	v_cndmask_b32_e64 v22, v22, v24, s0
	v_add_co_u32 v24, vcc_lo, v16, v13
	v_cndmask_b32_e64 v23, v23, v25, s0
	v_add_co_ci_u32_e64 v25, null, v17, v14, vcc_lo
	v_add_co_u32 v26, vcc_lo, v18, v11
	global_load_dword v28, v[22:23], off
	v_add_co_u32 v22, s26, s13, v0
	v_add_co_ci_u32_e64 v23, null, s22, 0, s26
	v_add_co_ci_u32_e64 v27, null, v19, v12, vcc_lo
	global_store_dwordx2 v[24:25], v[22:23], off
	s_waitcnt vmcnt(0)
	global_store_dword v[26:27], v28, off
	s_or_b32 exec_lo, exec_lo, s23
	s_and_saveexec_b32 s23, s25
	s_cbranch_execz .LBB153_8
.LBB153_16:                             ;   in Loop: Header=BB153_9 Depth=1
	v_add_co_u32 v22, vcc_lo, s20, v3
	v_add_co_ci_u32_e64 v23, null, s21, v4, vcc_lo
	v_add_co_u32 v24, vcc_lo, s20, v7
	v_add_co_ci_u32_e64 v25, null, s21, v8, vcc_lo
	v_cndmask_b32_e64 v22, v24, v22, s0
	v_add_co_u32 v24, vcc_lo, v16, v13
	v_cndmask_b32_e64 v23, v25, v23, s0
	v_add_co_ci_u32_e64 v25, null, v17, v14, vcc_lo
	v_add_co_u32 v26, vcc_lo, v18, v11
	global_load_dword v28, v[22:23], off offset:128
	v_add_co_u32 v22, s13, s13, v2
	v_add_co_ci_u32_e64 v23, null, s22, 0, s13
	v_add_co_ci_u32_e64 v27, null, v19, v12, vcc_lo
	global_store_dwordx2 v[24:25], v[22:23], off offset:256
	s_waitcnt vmcnt(0)
	global_store_dword v[26:27], v28, off offset:128
	s_branch .LBB153_8
.LBB153_17:
	s_endpgm
	.section	.rodata,"a",@progbits
	.p2align	6, 0x0
	.amdhsa_kernel _ZN9rocsparseL35bsr2csr_block_per_row_33_256_kernelILj1024ELj64ELj32EfllEEv20rocsparse_direction_T4_S2_21rocsparse_index_base_PKT2_PKT3_PKS2_S2_S3_PS4_PS7_PS2_
		.amdhsa_group_segment_fixed_size 0
		.amdhsa_private_segment_fixed_size 0
		.amdhsa_kernarg_size 96
		.amdhsa_user_sgpr_count 6
		.amdhsa_user_sgpr_private_segment_buffer 1
		.amdhsa_user_sgpr_dispatch_ptr 0
		.amdhsa_user_sgpr_queue_ptr 0
		.amdhsa_user_sgpr_kernarg_segment_ptr 1
		.amdhsa_user_sgpr_dispatch_id 0
		.amdhsa_user_sgpr_flat_scratch_init 0
		.amdhsa_user_sgpr_private_segment_size 0
		.amdhsa_wavefront_size32 1
		.amdhsa_uses_dynamic_stack 0
		.amdhsa_system_sgpr_private_segment_wavefront_offset 0
		.amdhsa_system_sgpr_workgroup_id_x 1
		.amdhsa_system_sgpr_workgroup_id_y 0
		.amdhsa_system_sgpr_workgroup_id_z 0
		.amdhsa_system_sgpr_workgroup_info 0
		.amdhsa_system_vgpr_workitem_id 0
		.amdhsa_next_free_vgpr 29
		.amdhsa_next_free_sgpr 36
		.amdhsa_reserve_vcc 1
		.amdhsa_reserve_flat_scratch 0
		.amdhsa_float_round_mode_32 0
		.amdhsa_float_round_mode_16_64 0
		.amdhsa_float_denorm_mode_32 3
		.amdhsa_float_denorm_mode_16_64 3
		.amdhsa_dx10_clamp 1
		.amdhsa_ieee_mode 1
		.amdhsa_fp16_overflow 0
		.amdhsa_workgroup_processor_mode 1
		.amdhsa_memory_ordered 1
		.amdhsa_forward_progress 1
		.amdhsa_shared_vgpr_count 0
		.amdhsa_exception_fp_ieee_invalid_op 0
		.amdhsa_exception_fp_denorm_src 0
		.amdhsa_exception_fp_ieee_div_zero 0
		.amdhsa_exception_fp_ieee_overflow 0
		.amdhsa_exception_fp_ieee_underflow 0
		.amdhsa_exception_fp_ieee_inexact 0
		.amdhsa_exception_int_div_zero 0
	.end_amdhsa_kernel
	.section	.text._ZN9rocsparseL35bsr2csr_block_per_row_33_256_kernelILj1024ELj64ELj32EfllEEv20rocsparse_direction_T4_S2_21rocsparse_index_base_PKT2_PKT3_PKS2_S2_S3_PS4_PS7_PS2_,"axG",@progbits,_ZN9rocsparseL35bsr2csr_block_per_row_33_256_kernelILj1024ELj64ELj32EfllEEv20rocsparse_direction_T4_S2_21rocsparse_index_base_PKT2_PKT3_PKS2_S2_S3_PS4_PS7_PS2_,comdat
.Lfunc_end153:
	.size	_ZN9rocsparseL35bsr2csr_block_per_row_33_256_kernelILj1024ELj64ELj32EfllEEv20rocsparse_direction_T4_S2_21rocsparse_index_base_PKT2_PKT3_PKS2_S2_S3_PS4_PS7_PS2_, .Lfunc_end153-_ZN9rocsparseL35bsr2csr_block_per_row_33_256_kernelILj1024ELj64ELj32EfllEEv20rocsparse_direction_T4_S2_21rocsparse_index_base_PKT2_PKT3_PKS2_S2_S3_PS4_PS7_PS2_
                                        ; -- End function
	.set _ZN9rocsparseL35bsr2csr_block_per_row_33_256_kernelILj1024ELj64ELj32EfllEEv20rocsparse_direction_T4_S2_21rocsparse_index_base_PKT2_PKT3_PKS2_S2_S3_PS4_PS7_PS2_.num_vgpr, 29
	.set _ZN9rocsparseL35bsr2csr_block_per_row_33_256_kernelILj1024ELj64ELj32EfllEEv20rocsparse_direction_T4_S2_21rocsparse_index_base_PKT2_PKT3_PKS2_S2_S3_PS4_PS7_PS2_.num_agpr, 0
	.set _ZN9rocsparseL35bsr2csr_block_per_row_33_256_kernelILj1024ELj64ELj32EfllEEv20rocsparse_direction_T4_S2_21rocsparse_index_base_PKT2_PKT3_PKS2_S2_S3_PS4_PS7_PS2_.numbered_sgpr, 36
	.set _ZN9rocsparseL35bsr2csr_block_per_row_33_256_kernelILj1024ELj64ELj32EfllEEv20rocsparse_direction_T4_S2_21rocsparse_index_base_PKT2_PKT3_PKS2_S2_S3_PS4_PS7_PS2_.num_named_barrier, 0
	.set _ZN9rocsparseL35bsr2csr_block_per_row_33_256_kernelILj1024ELj64ELj32EfllEEv20rocsparse_direction_T4_S2_21rocsparse_index_base_PKT2_PKT3_PKS2_S2_S3_PS4_PS7_PS2_.private_seg_size, 0
	.set _ZN9rocsparseL35bsr2csr_block_per_row_33_256_kernelILj1024ELj64ELj32EfllEEv20rocsparse_direction_T4_S2_21rocsparse_index_base_PKT2_PKT3_PKS2_S2_S3_PS4_PS7_PS2_.uses_vcc, 1
	.set _ZN9rocsparseL35bsr2csr_block_per_row_33_256_kernelILj1024ELj64ELj32EfllEEv20rocsparse_direction_T4_S2_21rocsparse_index_base_PKT2_PKT3_PKS2_S2_S3_PS4_PS7_PS2_.uses_flat_scratch, 0
	.set _ZN9rocsparseL35bsr2csr_block_per_row_33_256_kernelILj1024ELj64ELj32EfllEEv20rocsparse_direction_T4_S2_21rocsparse_index_base_PKT2_PKT3_PKS2_S2_S3_PS4_PS7_PS2_.has_dyn_sized_stack, 0
	.set _ZN9rocsparseL35bsr2csr_block_per_row_33_256_kernelILj1024ELj64ELj32EfllEEv20rocsparse_direction_T4_S2_21rocsparse_index_base_PKT2_PKT3_PKS2_S2_S3_PS4_PS7_PS2_.has_recursion, 0
	.set _ZN9rocsparseL35bsr2csr_block_per_row_33_256_kernelILj1024ELj64ELj32EfllEEv20rocsparse_direction_T4_S2_21rocsparse_index_base_PKT2_PKT3_PKS2_S2_S3_PS4_PS7_PS2_.has_indirect_call, 0
	.section	.AMDGPU.csdata,"",@progbits
; Kernel info:
; codeLenInByte = 1772
; TotalNumSgprs: 38
; NumVgprs: 29
; ScratchSize: 0
; MemoryBound: 0
; FloatMode: 240
; IeeeMode: 1
; LDSByteSize: 0 bytes/workgroup (compile time only)
; SGPRBlocks: 0
; VGPRBlocks: 3
; NumSGPRsForWavesPerEU: 38
; NumVGPRsForWavesPerEU: 29
; Occupancy: 16
; WaveLimiterHint : 1
; COMPUTE_PGM_RSRC2:SCRATCH_EN: 0
; COMPUTE_PGM_RSRC2:USER_SGPR: 6
; COMPUTE_PGM_RSRC2:TRAP_HANDLER: 0
; COMPUTE_PGM_RSRC2:TGID_X_EN: 1
; COMPUTE_PGM_RSRC2:TGID_Y_EN: 0
; COMPUTE_PGM_RSRC2:TGID_Z_EN: 0
; COMPUTE_PGM_RSRC2:TIDIG_COMP_CNT: 0
	.section	.text._ZN9rocsparseL35bsr2csr_block_per_row_33_256_kernelILj1024ELj128ELj32EfllEEv20rocsparse_direction_T4_S2_21rocsparse_index_base_PKT2_PKT3_PKS2_S2_S3_PS4_PS7_PS2_,"axG",@progbits,_ZN9rocsparseL35bsr2csr_block_per_row_33_256_kernelILj1024ELj128ELj32EfllEEv20rocsparse_direction_T4_S2_21rocsparse_index_base_PKT2_PKT3_PKS2_S2_S3_PS4_PS7_PS2_,comdat
	.globl	_ZN9rocsparseL35bsr2csr_block_per_row_33_256_kernelILj1024ELj128ELj32EfllEEv20rocsparse_direction_T4_S2_21rocsparse_index_base_PKT2_PKT3_PKS2_S2_S3_PS4_PS7_PS2_ ; -- Begin function _ZN9rocsparseL35bsr2csr_block_per_row_33_256_kernelILj1024ELj128ELj32EfllEEv20rocsparse_direction_T4_S2_21rocsparse_index_base_PKT2_PKT3_PKS2_S2_S3_PS4_PS7_PS2_
	.p2align	8
	.type	_ZN9rocsparseL35bsr2csr_block_per_row_33_256_kernelILj1024ELj128ELj32EfllEEv20rocsparse_direction_T4_S2_21rocsparse_index_base_PKT2_PKT3_PKS2_S2_S3_PS4_PS7_PS2_,@function
_ZN9rocsparseL35bsr2csr_block_per_row_33_256_kernelILj1024ELj128ELj32EfllEEv20rocsparse_direction_T4_S2_21rocsparse_index_base_PKT2_PKT3_PKS2_S2_S3_PS4_PS7_PS2_: ; @_ZN9rocsparseL35bsr2csr_block_per_row_33_256_kernelILj1024ELj128ELj32EfllEEv20rocsparse_direction_T4_S2_21rocsparse_index_base_PKT2_PKT3_PKS2_S2_S3_PS4_PS7_PS2_
; %bb.0:
	s_load_dwordx2 s[0:1], s[4:5], 0x28
	s_mov_b32 s11, 0
	s_clause 0x1
	s_load_dword s16, s[4:5], 0x40
	s_load_dwordx2 s[2:3], s[4:5], 0x50
	s_mov_b32 s7, s11
	v_or_b32_e32 v1, s6, v0
	s_lshl_b64 s[8:9], s[6:7], 3
	s_waitcnt lgkmcnt(0)
	s_add_u32 s0, s0, s8
	s_addc_u32 s1, s1, s9
	s_load_dwordx4 s[12:15], s[0:1], 0x0
	s_mov_b32 s0, exec_lo
	v_cmpx_eq_u32_e32 0, v1
	s_cbranch_execz .LBB154_2
; %bb.1:
	s_mov_b32 s17, s11
	v_mov_b32_e32 v1, s16
	v_mov_b32_e32 v3, 0
	;; [unrolled: 1-line block ×3, first 2 shown]
	global_store_dwordx2 v3, v[1:2], s[2:3]
.LBB154_2:
	s_or_b32 exec_lo, exec_lo, s0
	s_clause 0x1
	s_load_dword s10, s[4:5], 0x18
	s_load_dwordx2 s[18:19], s[4:5], 0x38
	v_mov_b32_e32 v22, 0
	v_lshrrev_b32_e32 v21, 5, v0
	v_lshlrev_b32_e32 v3, 3, v21
	s_waitcnt lgkmcnt(0)
	s_sub_u32 s20, s12, s10
	s_subb_u32 s21, s13, 0
	s_mul_hi_u32 s0, s18, s20
	s_mul_i32 s7, s18, s21
	s_sub_u32 s22, s14, s10
	s_mul_i32 s1, s19, s6
	s_mul_hi_u32 s17, s18, s6
	s_mul_i32 s24, s18, s6
	s_mul_i32 s6, s19, s20
	;; [unrolled: 1-line block ×3, first 2 shown]
	s_subb_u32 s23, s15, 0
	s_add_i32 s0, s0, s7
	s_mul_i32 s8, s28, s19
	s_mul_hi_u32 s7, s28, s18
	s_add_i32 s29, s0, s6
	s_add_i32 s0, s7, s8
	s_mul_i32 s6, s29, s18
	s_mul_i32 s8, s28, s18
	s_add_i32 s6, s0, s6
	s_sub_u32 s50, s22, s20
	s_subb_u32 s49, s23, s21
	s_mul_i32 s0, s50, s19
	s_mul_hi_u32 s7, s50, s18
	s_mul_i32 s9, s49, s18
	s_add_i32 s0, s7, s0
	s_mul_i32 s7, s50, s18
	s_add_i32 s0, s0, s9
	s_add_u32 s8, s8, s16
	s_addc_u32 s6, s6, 0
	s_add_u32 s8, s8, s7
	s_addc_u32 s9, s6, s0
	s_add_i32 s25, s17, s1
	v_cmp_gt_i64_e64 s1, s[18:19], v[21:22]
	s_lshl_b64 s[24:25], s[24:25], 3
	s_add_u32 s24, s2, s24
	s_addc_u32 s25, s3, s25
	s_and_saveexec_b32 s2, s1
	s_cbranch_execz .LBB154_4
; %bb.3:
	v_mad_u64_u32 v[1:2], null, v21, s7, s[8:9]
	v_mad_u64_u32 v[4:5], null, v21, s0, v[2:3]
	v_mov_b32_e32 v2, v4
	global_store_dwordx2 v3, v[1:2], s[24:25] offset:8
.LBB154_4:
	s_or_b32 exec_lo, exec_lo, s2
	v_or_b32_e32 v1, 32, v21
	v_mov_b32_e32 v2, v22
	v_cmp_gt_i64_e64 s2, s[18:19], v[1:2]
	s_and_saveexec_b32 s3, s2
	s_cbranch_execz .LBB154_6
; %bb.5:
	v_mad_u64_u32 v[4:5], null, v1, s7, s[8:9]
	v_mov_b32_e32 v2, v5
	v_mad_u64_u32 v[1:2], null, v1, s0, v[2:3]
	v_mov_b32_e32 v5, v1
	global_store_dwordx2 v3, v[4:5], s[24:25] offset:264
.LBB154_6:
	s_or_b32 exec_lo, exec_lo, s3
	v_or_b32_e32 v1, 64, v21
	v_mov_b32_e32 v2, v22
	v_cmp_gt_i64_e64 s3, s[18:19], v[1:2]
	s_and_saveexec_b32 s6, s3
	s_cbranch_execz .LBB154_8
; %bb.7:
	v_mad_u64_u32 v[4:5], null, v1, s7, s[8:9]
	v_mov_b32_e32 v2, v5
	v_mad_u64_u32 v[1:2], null, v1, s0, v[2:3]
	v_mov_b32_e32 v5, v1
	global_store_dwordx2 v3, v[4:5], s[24:25] offset:520
.LBB154_8:
	;; [unrolled: 13-line block ×3, first 2 shown]
	s_or_b32 exec_lo, exec_lo, s17
	v_cmp_lt_i64_e64 s0, s[12:13], s[14:15]
	s_and_b32 vcc_lo, exec_lo, s0
	s_cbranch_vccz .LBB154_45
; %bb.11:
	s_clause 0x2
	s_load_dwordx2 s[34:35], s[4:5], 0x30
	s_load_dwordx2 s[26:27], s[4:5], 0x48
	s_load_dword s0, s[4:5], 0x0
	v_and_b32_e32 v0, 31, v0
	v_mov_b32_e32 v1, 0
	v_lshlrev_b32_e32 v23, 2, v21
	s_clause 0x1
	s_load_dwordx2 s[24:25], s[4:5], 0x20
	s_load_dwordx2 s[30:31], s[4:5], 0x58
	v_or_b32_e32 v2, 32, v0
	v_mov_b32_e32 v3, v1
	v_or_b32_e32 v4, 64, v0
	v_mov_b32_e32 v5, v1
	;; [unrolled: 2-line block ×3, first 2 shown]
	v_cmp_gt_i64_e32 vcc_lo, s[18:19], v[0:1]
	v_cmp_gt_i64_e64 s7, s[18:19], v[2:3]
	v_cmp_gt_i64_e64 s8, s[18:19], v[4:5]
	v_mov_b32_e32 v8, v1
	v_cmp_gt_i64_e64 s9, s[18:19], v[6:7]
	v_lshlrev_b32_e32 v7, 2, v0
	v_mov_b32_e32 v24, v1
	s_mul_hi_u32 s5, s18, s18
	s_waitcnt lgkmcnt(0)
	s_cmp_eq_u32 s0, 0
	s_cselect_b32 s0, -1, 0
	s_and_b32 s37, s2, vcc_lo
	s_and_b32 s38, s2, s7
	s_and_b32 s39, s2, s8
	;; [unrolled: 1-line block ×3, first 2 shown]
	s_and_b32 s41, s3, vcc_lo
	s_and_b32 s42, s3, s7
	s_and_b32 s43, s3, s8
	;; [unrolled: 1-line block ×3, first 2 shown]
	s_lshl_b64 s[2:3], s[28:29], 2
	s_and_b32 s17, s1, vcc_lo
	v_add_co_u32 v3, s4, s2, v23
	v_add_co_ci_u32_e64 v5, null, s3, 0, s4
	s_and_b32 s45, s6, vcc_lo
	v_add_co_u32 v9, vcc_lo, 0x180, v3
	v_add_co_ci_u32_e64 v10, null, 0, v5, vcc_lo
	v_add_co_u32 v11, vcc_lo, 0x100, v3
	v_add_co_ci_u32_e64 v12, null, 0, v5, vcc_lo
	;; [unrolled: 2-line block ×3, first 2 shown]
	v_mul_lo_u32 v5, s18, v5
	v_mul_lo_u32 v26, s19, v13
	;; [unrolled: 1-line block ×4, first 2 shown]
	v_mad_u64_u32 v[13:14], null, s18, v13, v[7:8]
	v_mad_u64_u32 v[15:16], null, s18, v3, v[7:8]
	v_add_co_u32 v28, s2, s2, v7
	v_mul_lo_u32 v1, s18, v10
	v_mul_lo_u32 v19, s19, v9
	v_mad_u64_u32 v[9:10], null, s18, v9, v[7:8]
	v_add_co_ci_u32_e64 v29, null, s3, 0, s2
	v_mul_lo_u32 v20, s18, v12
	v_mul_lo_u32 v22, s19, v11
	v_mad_u64_u32 v[11:12], null, s18, v11, v[7:8]
	v_add3_u32 v14, v26, v14, v25
	v_add3_u32 v16, v27, v16, v5
	v_mad_u64_u32 v[26:27], null, v21, s50, s[28:29]
	v_mul_lo_u32 v3, s18, v29
	v_mul_lo_u32 v8, s19, v28
	v_mad_u64_u32 v[17:18], null, s18, v28, v[23:24]
	v_add3_u32 v10, v19, v10, v1
	v_add_co_u32 v1, vcc_lo, 0x80, v28
	v_add3_u32 v12, v22, v12, v20
	s_mul_i32 s4, s18, s19
	s_mul_i32 s2, s18, s18
	v_mul_lo_u32 v25, s19, v1
	v_mad_u64_u32 v[19:20], null, s18, v1, v[23:24]
	v_mov_b32_e32 v1, v27
	v_add3_u32 v18, v8, v18, v3
	v_add_co_ci_u32_e64 v3, null, 0, v29, vcc_lo
	v_add_co_u32 v5, vcc_lo, 0x100, v28
	v_add_co_ci_u32_e64 v8, null, 0, v29, vcc_lo
	v_add_co_u32 v27, vcc_lo, 0x180, v28
	v_add_co_ci_u32_e64 v30, null, 0, v29, vcc_lo
	v_mad_u64_u32 v[28:29], null, v21, s49, v[1:2]
	v_mul_lo_u32 v31, s19, v5
	v_mad_u64_u32 v[21:22], null, s18, v5, v[23:24]
	v_mul_lo_u32 v1, s18, v30
	v_mul_lo_u32 v5, s19, v27
	v_mad_u64_u32 v[23:24], null, s18, v27, v[23:24]
	v_mul_lo_u32 v27, s19, v26
	v_mul_lo_u32 v32, s18, v28
	v_mad_u64_u32 v[29:30], null, s18, v26, 0
	s_add_i32 s5, s5, s4
	v_mul_lo_u32 v3, s18, v3
	s_add_i32 s3, s5, s4
	s_and_b32 s33, s1, s7
	s_and_b32 s46, s6, s7
	;; [unrolled: 1-line block ×3, first 2 shown]
	v_add3_u32 v30, v30, v32, v27
	v_mov_b32_e32 v27, v28
	s_and_b32 s48, s6, s9
	v_mul_lo_u32 v8, s18, v8
	s_lshl_b64 s[4:5], s[12:13], 3
	s_lshl_b64 s[6:7], s[10:11], 3
	s_and_b32 s36, s1, s8
	s_and_b32 s1, s1, s9
	s_lshl_b64 s[2:3], s[2:3], 2
	s_sub_u32 s4, s4, s6
	s_subb_u32 s5, s5, s7
	v_mad_u64_u32 v[33:34], null, 0x60, s14, v[26:27]
	s_add_u32 s4, s34, s4
	s_addc_u32 s5, s35, s5
	s_lshl_b64 s[6:7], s[14:15], 5
	v_add3_u32 v20, v25, v20, v3
	v_add_co_u32 v3, vcc_lo, v26, s6
	v_add3_u32 v22, v31, v22, v8
	v_lshlrev_b64 v[31:32], 3, v[29:30]
	v_add3_u32 v24, v5, v24, v1
	v_add_co_ci_u32_e64 v5, null, s7, v28, vcc_lo
	s_lshl_b64 s[6:7], s[12:13], 5
	v_mov_b32_e32 v8, v34
	v_sub_co_u32 v25, vcc_lo, v3, s6
	v_subrev_co_ci_u32_e64 v27, null, s7, v5, vcc_lo
	v_add_co_u32 v3, vcc_lo, s30, v31
	v_add_co_ci_u32_e64 v5, null, s31, v32, vcc_lo
	v_mad_u64_u32 v[31:32], null, 0x60, s15, v[8:9]
	v_lshlrev_b64 v[29:30], 2, v[29:30]
	s_mul_i32 s6, s13, 0x60
	s_mul_hi_u32 s7, s12, 0x60
	v_mul_lo_u32 v36, s19, v25
	v_mul_lo_u32 v27, s18, v27
	v_mad_u64_u32 v[34:35], null, s18, v25, 0
	s_add_i32 s7, s7, s6
	s_mul_i32 s6, s12, 0x60
	v_lshlrev_b32_e32 v1, 3, v0
	v_sub_co_u32 v32, vcc_lo, v33, s6
	v_subrev_co_ci_u32_e64 v31, null, s7, v31, vcc_lo
	v_add_co_u32 v8, vcc_lo, s26, v29
	s_lshl_b64 s[6:7], s[14:15], 6
	v_add_co_ci_u32_e64 v25, null, s27, v30, vcc_lo
	v_add_co_u32 v26, vcc_lo, v26, s6
	v_add3_u32 v35, v35, v27, v36
	v_add_co_ci_u32_e64 v27, null, s7, v28, vcc_lo
	s_lshl_b64 s[6:7], s[12:13], 6
	v_mul_lo_u32 v33, s19, v32
	v_mul_lo_u32 v36, s18, v31
	v_mad_u64_u32 v[30:31], null, s18, v32, 0
	v_sub_co_u32 v32, vcc_lo, v26, s6
	v_subrev_co_ci_u32_e64 v37, null, s7, v27, vcc_lo
	v_lshlrev_b64 v[26:27], 2, v[34:35]
	v_lshlrev_b64 v[28:29], 3, v[34:35]
	v_add3_u32 v31, v31, v36, v33
	v_mul_lo_u32 v38, s19, v32
	v_mul_lo_u32 v39, s18, v37
	v_mad_u64_u32 v[34:35], null, s18, v32, 0
	v_lshlrev_b64 v[32:33], 3, v[30:31]
	v_add_co_u32 v26, vcc_lo, s26, v26
	v_lshlrev_b64 v[36:37], 2, v[30:31]
	v_add_co_ci_u32_e64 v27, null, s27, v27, vcc_lo
	v_add3_u32 v35, v35, v39, v38
	v_add_co_u32 v28, vcc_lo, s30, v28
	v_add_co_ci_u32_e64 v29, null, s31, v29, vcc_lo
	v_add_co_u32 v30, vcc_lo, s30, v32
	v_add_co_ci_u32_e64 v31, null, s31, v33, vcc_lo
	v_lshlrev_b64 v[38:39], 2, v[34:35]
	v_add_co_u32 v32, vcc_lo, s26, v36
	v_add_co_ci_u32_e64 v33, null, s27, v37, vcc_lo
	v_lshlrev_b64 v[36:37], 3, v[34:35]
	v_add_co_u32 v34, vcc_lo, s26, v38
	v_add_co_ci_u32_e64 v35, null, s27, v39, vcc_lo
	s_lshl_b64 s[6:7], s[18:19], 3
	v_add_co_u32 v36, vcc_lo, s30, v36
	v_add_co_ci_u32_e64 v37, null, s31, v37, vcc_lo
	s_lshl_b64 s[8:9], s[18:19], 2
	s_branch .LBB154_13
.LBB154_12:                             ;   in Loop: Header=BB154_13 Depth=1
	s_or_b32 exec_lo, exec_lo, s13
	v_add_co_u32 v3, vcc_lo, v3, s6
	v_add_co_ci_u32_e64 v5, null, s7, v5, vcc_lo
	v_add_co_u32 v8, vcc_lo, v8, s8
	v_add_co_ci_u32_e64 v25, null, s9, v25, vcc_lo
	v_add_co_u32 v26, vcc_lo, v26, s8
	v_add_co_ci_u32_e64 v27, null, s9, v27, vcc_lo
	v_add_co_u32 v28, vcc_lo, v28, s6
	v_add_co_ci_u32_e64 v29, null, s7, v29, vcc_lo
	v_add_co_u32 v30, vcc_lo, v30, s6
	s_add_u32 s20, s20, 1
	v_add_co_ci_u32_e64 v31, null, s7, v31, vcc_lo
	v_add_co_u32 v32, vcc_lo, v32, s8
	s_addc_u32 s21, s21, 0
	v_add_co_ci_u32_e64 v33, null, s9, v33, vcc_lo
	v_add_co_u32 v34, vcc_lo, v34, s8
	v_cmp_ge_i64_e64 s11, s[20:21], s[22:23]
	v_add_co_ci_u32_e64 v35, null, s9, v35, vcc_lo
	v_add_co_u32 v36, vcc_lo, v36, s6
	s_add_u32 s24, s24, s2
	v_add_co_ci_u32_e64 v37, null, s7, v37, vcc_lo
	s_addc_u32 s25, s25, s3
	s_add_u32 s4, s4, 8
	s_addc_u32 s5, s5, 0
	s_and_b32 vcc_lo, exec_lo, s11
	s_cbranch_vccnz .LBB154_45
.LBB154_13:                             ; =>This Inner Loop Header: Depth=1
	s_load_dwordx2 s[12:13], s[4:5], 0x0
	s_waitcnt lgkmcnt(0)
	s_sub_u32 s11, s12, s10
	s_subb_u32 s13, s13, 0
	s_mul_i32 s12, s11, s19
	s_mul_hi_u32 s14, s11, s18
	s_mul_i32 s13, s13, s18
	s_add_i32 s12, s14, s12
	s_mul_i32 s11, s11, s18
	s_add_i32 s12, s12, s13
	s_add_u32 s11, s11, s16
	s_addc_u32 s12, s12, 0
	s_and_saveexec_b32 s13, s17
	s_cbranch_execnz .LBB154_29
; %bb.14:                               ;   in Loop: Header=BB154_13 Depth=1
	s_or_b32 exec_lo, exec_lo, s13
	s_and_saveexec_b32 s13, s33
	s_cbranch_execnz .LBB154_30
.LBB154_15:                             ;   in Loop: Header=BB154_13 Depth=1
	s_or_b32 exec_lo, exec_lo, s13
	s_and_saveexec_b32 s13, s36
	s_cbranch_execnz .LBB154_31
.LBB154_16:                             ;   in Loop: Header=BB154_13 Depth=1
	s_or_b32 exec_lo, exec_lo, s13
	s_and_saveexec_b32 s13, s1
	s_cbranch_execnz .LBB154_32
.LBB154_17:                             ;   in Loop: Header=BB154_13 Depth=1
	s_or_b32 exec_lo, exec_lo, s13
	s_and_saveexec_b32 s13, s37
	s_cbranch_execnz .LBB154_33
.LBB154_18:                             ;   in Loop: Header=BB154_13 Depth=1
	s_or_b32 exec_lo, exec_lo, s13
	s_and_saveexec_b32 s13, s38
	s_cbranch_execnz .LBB154_34
.LBB154_19:                             ;   in Loop: Header=BB154_13 Depth=1
	s_or_b32 exec_lo, exec_lo, s13
	s_and_saveexec_b32 s13, s39
	s_cbranch_execnz .LBB154_35
.LBB154_20:                             ;   in Loop: Header=BB154_13 Depth=1
	s_or_b32 exec_lo, exec_lo, s13
	s_and_saveexec_b32 s13, s40
	s_cbranch_execnz .LBB154_36
.LBB154_21:                             ;   in Loop: Header=BB154_13 Depth=1
	s_or_b32 exec_lo, exec_lo, s13
	s_and_saveexec_b32 s13, s41
	s_cbranch_execnz .LBB154_37
.LBB154_22:                             ;   in Loop: Header=BB154_13 Depth=1
	s_or_b32 exec_lo, exec_lo, s13
	s_and_saveexec_b32 s13, s42
	s_cbranch_execnz .LBB154_38
.LBB154_23:                             ;   in Loop: Header=BB154_13 Depth=1
	s_or_b32 exec_lo, exec_lo, s13
	s_and_saveexec_b32 s13, s43
	s_cbranch_execnz .LBB154_39
.LBB154_24:                             ;   in Loop: Header=BB154_13 Depth=1
	s_or_b32 exec_lo, exec_lo, s13
	s_and_saveexec_b32 s13, s44
	s_cbranch_execnz .LBB154_40
.LBB154_25:                             ;   in Loop: Header=BB154_13 Depth=1
	s_or_b32 exec_lo, exec_lo, s13
	s_and_saveexec_b32 s13, s45
	s_cbranch_execnz .LBB154_41
.LBB154_26:                             ;   in Loop: Header=BB154_13 Depth=1
	s_or_b32 exec_lo, exec_lo, s13
	s_and_saveexec_b32 s13, s46
	s_cbranch_execnz .LBB154_42
.LBB154_27:                             ;   in Loop: Header=BB154_13 Depth=1
	s_or_b32 exec_lo, exec_lo, s13
	s_and_saveexec_b32 s13, s47
	s_cbranch_execnz .LBB154_43
.LBB154_28:                             ;   in Loop: Header=BB154_13 Depth=1
	s_or_b32 exec_lo, exec_lo, s13
	s_and_saveexec_b32 s13, s48
	s_cbranch_execz .LBB154_12
	s_branch .LBB154_44
.LBB154_29:                             ;   in Loop: Header=BB154_13 Depth=1
	v_add_co_u32 v38, vcc_lo, s24, v15
	v_add_co_ci_u32_e64 v39, null, s25, v16, vcc_lo
	v_add_co_u32 v40, vcc_lo, s24, v17
	v_add_co_ci_u32_e64 v41, null, s25, v18, vcc_lo
	v_cndmask_b32_e64 v38, v40, v38, s0
	v_add_co_u32 v40, vcc_lo, v3, v1
	v_cndmask_b32_e64 v39, v41, v39, s0
	v_add_co_ci_u32_e64 v41, null, 0, v5, vcc_lo
	v_add_co_u32 v42, vcc_lo, v8, v7
	global_load_dword v44, v[38:39], off
	v_add_co_u32 v38, s14, s11, v0
	v_add_co_ci_u32_e64 v39, null, s12, 0, s14
	v_add_co_ci_u32_e64 v43, null, 0, v25, vcc_lo
	global_store_dwordx2 v[40:41], v[38:39], off
	s_waitcnt vmcnt(0)
	global_store_dword v[42:43], v44, off
	s_or_b32 exec_lo, exec_lo, s13
	s_and_saveexec_b32 s13, s33
	s_cbranch_execz .LBB154_15
.LBB154_30:                             ;   in Loop: Header=BB154_13 Depth=1
	v_add_co_u32 v38, vcc_lo, s24, v15
	v_add_co_ci_u32_e64 v39, null, s25, v16, vcc_lo
	v_add_co_u32 v38, vcc_lo, 0x80, v38
	v_add_co_ci_u32_e64 v39, null, 0, v39, vcc_lo
	;; [unrolled: 2-line block ×3, first 2 shown]
	v_cndmask_b32_e64 v38, v40, v38, s0
	v_add_co_u32 v40, vcc_lo, v3, v1
	v_cndmask_b32_e64 v39, v41, v39, s0
	v_add_co_ci_u32_e64 v41, null, 0, v5, vcc_lo
	v_add_co_u32 v42, vcc_lo, v8, v7
	global_load_dword v44, v[38:39], off
	v_add_co_u32 v38, s14, s11, v2
	v_add_co_ci_u32_e64 v39, null, s12, 0, s14
	v_add_co_ci_u32_e64 v43, null, 0, v25, vcc_lo
	global_store_dwordx2 v[40:41], v[38:39], off offset:256
	s_waitcnt vmcnt(0)
	global_store_dword v[42:43], v44, off offset:128
	s_or_b32 exec_lo, exec_lo, s13
	s_and_saveexec_b32 s13, s36
	s_cbranch_execz .LBB154_16
.LBB154_31:                             ;   in Loop: Header=BB154_13 Depth=1
	v_add_co_u32 v38, vcc_lo, s24, v15
	v_add_co_ci_u32_e64 v39, null, s25, v16, vcc_lo
	v_add_co_u32 v38, vcc_lo, 0x100, v38
	v_add_co_ci_u32_e64 v39, null, 0, v39, vcc_lo
	;; [unrolled: 2-line block ×3, first 2 shown]
	v_cndmask_b32_e64 v38, v40, v38, s0
	v_add_co_u32 v40, vcc_lo, v3, v1
	v_cndmask_b32_e64 v39, v41, v39, s0
	v_add_co_ci_u32_e64 v41, null, 0, v5, vcc_lo
	v_add_co_u32 v42, vcc_lo, v8, v7
	global_load_dword v44, v[38:39], off
	v_add_co_u32 v38, s14, s11, v4
	v_add_co_ci_u32_e64 v39, null, s12, 0, s14
	v_add_co_ci_u32_e64 v43, null, 0, v25, vcc_lo
	global_store_dwordx2 v[40:41], v[38:39], off offset:512
	s_waitcnt vmcnt(0)
	global_store_dword v[42:43], v44, off offset:256
	s_or_b32 exec_lo, exec_lo, s13
	s_and_saveexec_b32 s13, s1
	s_cbranch_execz .LBB154_17
.LBB154_32:                             ;   in Loop: Header=BB154_13 Depth=1
	v_add_co_u32 v38, vcc_lo, s24, v15
	v_add_co_ci_u32_e64 v39, null, s25, v16, vcc_lo
	v_add_co_u32 v38, vcc_lo, 0x180, v38
	v_add_co_ci_u32_e64 v39, null, 0, v39, vcc_lo
	;; [unrolled: 2-line block ×3, first 2 shown]
	v_cndmask_b32_e64 v38, v40, v38, s0
	v_add_co_u32 v40, vcc_lo, v3, v1
	v_cndmask_b32_e64 v39, v41, v39, s0
	v_add_co_ci_u32_e64 v41, null, 0, v5, vcc_lo
	v_add_co_u32 v42, vcc_lo, v8, v7
	global_load_dword v44, v[38:39], off
	v_add_co_u32 v38, s14, s11, v6
	v_add_co_ci_u32_e64 v39, null, s12, 0, s14
	v_add_co_ci_u32_e64 v43, null, 0, v25, vcc_lo
	global_store_dwordx2 v[40:41], v[38:39], off offset:768
	s_waitcnt vmcnt(0)
	global_store_dword v[42:43], v44, off offset:384
	s_or_b32 exec_lo, exec_lo, s13
	s_and_saveexec_b32 s13, s37
	s_cbranch_execz .LBB154_18
.LBB154_33:                             ;   in Loop: Header=BB154_13 Depth=1
	v_add_co_u32 v38, vcc_lo, s24, v17
	v_add_co_ci_u32_e64 v39, null, s25, v18, vcc_lo
	v_add_co_u32 v40, vcc_lo, s24, v13
	v_add_co_ci_u32_e64 v41, null, s25, v14, vcc_lo
	;; [unrolled: 2-line block ×3, first 2 shown]
	v_cndmask_b32_e64 v38, v38, v40, s0
	v_add_co_u32 v40, vcc_lo, v28, v1
	v_cndmask_b32_e64 v39, v39, v41, s0
	v_add_co_ci_u32_e64 v41, null, 0, v29, vcc_lo
	v_add_co_u32 v42, vcc_lo, v26, v7
	global_load_dword v44, v[38:39], off
	v_add_co_u32 v38, s14, s11, v0
	v_add_co_ci_u32_e64 v39, null, s12, 0, s14
	v_add_co_ci_u32_e64 v43, null, 0, v27, vcc_lo
	global_store_dwordx2 v[40:41], v[38:39], off
	s_waitcnt vmcnt(0)
	global_store_dword v[42:43], v44, off
	s_or_b32 exec_lo, exec_lo, s13
	s_and_saveexec_b32 s13, s38
	s_cbranch_execz .LBB154_19
.LBB154_34:                             ;   in Loop: Header=BB154_13 Depth=1
	v_add_co_u32 v38, vcc_lo, s24, v13
	v_add_co_ci_u32_e64 v39, null, s25, v14, vcc_lo
	v_add_co_u32 v40, vcc_lo, s24, v19
	v_add_co_ci_u32_e64 v41, null, s25, v20, vcc_lo
	v_cndmask_b32_e64 v38, v40, v38, s0
	v_add_co_u32 v40, vcc_lo, v28, v1
	v_cndmask_b32_e64 v39, v41, v39, s0
	v_add_co_ci_u32_e64 v41, null, 0, v29, vcc_lo
	v_add_co_u32 v42, vcc_lo, v26, v7
	global_load_dword v44, v[38:39], off offset:128
	v_add_co_u32 v38, s14, s11, v2
	v_add_co_ci_u32_e64 v39, null, s12, 0, s14
	v_add_co_ci_u32_e64 v43, null, 0, v27, vcc_lo
	global_store_dwordx2 v[40:41], v[38:39], off offset:256
	s_waitcnt vmcnt(0)
	global_store_dword v[42:43], v44, off offset:128
	s_or_b32 exec_lo, exec_lo, s13
	s_and_saveexec_b32 s13, s39
	s_cbranch_execz .LBB154_20
.LBB154_35:                             ;   in Loop: Header=BB154_13 Depth=1
	v_add_co_u32 v38, vcc_lo, s24, v13
	v_add_co_ci_u32_e64 v39, null, s25, v14, vcc_lo
	v_add_co_u32 v40, vcc_lo, s24, v21
	v_add_co_ci_u32_e64 v41, null, s25, v22, vcc_lo
	;; [unrolled: 2-line block ×4, first 2 shown]
	v_cndmask_b32_e64 v38, v40, v38, s0
	v_add_co_u32 v40, vcc_lo, v28, v1
	v_cndmask_b32_e64 v39, v41, v39, s0
	v_add_co_ci_u32_e64 v41, null, 0, v29, vcc_lo
	v_add_co_u32 v42, vcc_lo, v26, v7
	global_load_dword v44, v[38:39], off
	v_add_co_u32 v38, s14, s11, v4
	v_add_co_ci_u32_e64 v39, null, s12, 0, s14
	v_add_co_ci_u32_e64 v43, null, 0, v27, vcc_lo
	global_store_dwordx2 v[40:41], v[38:39], off offset:512
	s_waitcnt vmcnt(0)
	global_store_dword v[42:43], v44, off offset:256
	s_or_b32 exec_lo, exec_lo, s13
	s_and_saveexec_b32 s13, s40
	s_cbranch_execz .LBB154_21
.LBB154_36:                             ;   in Loop: Header=BB154_13 Depth=1
	v_add_co_u32 v38, vcc_lo, s24, v13
	v_add_co_ci_u32_e64 v39, null, s25, v14, vcc_lo
	v_add_co_u32 v40, vcc_lo, s24, v23
	v_add_co_ci_u32_e64 v41, null, s25, v24, vcc_lo
	;; [unrolled: 2-line block ×4, first 2 shown]
	v_cndmask_b32_e64 v38, v40, v38, s0
	v_add_co_u32 v40, vcc_lo, v28, v1
	v_cndmask_b32_e64 v39, v41, v39, s0
	v_add_co_ci_u32_e64 v41, null, 0, v29, vcc_lo
	v_add_co_u32 v42, vcc_lo, v26, v7
	global_load_dword v44, v[38:39], off
	v_add_co_u32 v38, s14, s11, v6
	v_add_co_ci_u32_e64 v39, null, s12, 0, s14
	v_add_co_ci_u32_e64 v43, null, 0, v27, vcc_lo
	global_store_dwordx2 v[40:41], v[38:39], off offset:768
	s_waitcnt vmcnt(0)
	global_store_dword v[42:43], v44, off offset:384
	s_or_b32 exec_lo, exec_lo, s13
	s_and_saveexec_b32 s13, s41
	s_cbranch_execz .LBB154_22
.LBB154_37:                             ;   in Loop: Header=BB154_13 Depth=1
	v_add_co_u32 v38, vcc_lo, s24, v17
	v_add_co_ci_u32_e64 v39, null, s25, v18, vcc_lo
	v_add_co_u32 v40, vcc_lo, s24, v11
	v_add_co_ci_u32_e64 v41, null, s25, v12, vcc_lo
	;; [unrolled: 2-line block ×3, first 2 shown]
	v_cndmask_b32_e64 v38, v38, v40, s0
	v_add_co_u32 v40, vcc_lo, v36, v1
	v_cndmask_b32_e64 v39, v39, v41, s0
	v_add_co_ci_u32_e64 v41, null, 0, v37, vcc_lo
	v_add_co_u32 v42, vcc_lo, v34, v7
	global_load_dword v44, v[38:39], off
	v_add_co_u32 v38, s14, s11, v0
	v_add_co_ci_u32_e64 v39, null, s12, 0, s14
	v_add_co_ci_u32_e64 v43, null, 0, v35, vcc_lo
	global_store_dwordx2 v[40:41], v[38:39], off
	s_waitcnt vmcnt(0)
	global_store_dword v[42:43], v44, off
	s_or_b32 exec_lo, exec_lo, s13
	s_and_saveexec_b32 s13, s42
	s_cbranch_execz .LBB154_23
.LBB154_38:                             ;   in Loop: Header=BB154_13 Depth=1
	v_add_co_u32 v38, vcc_lo, s24, v11
	v_add_co_ci_u32_e64 v39, null, s25, v12, vcc_lo
	v_add_co_u32 v40, vcc_lo, s24, v19
	v_add_co_ci_u32_e64 v41, null, s25, v20, vcc_lo
	;; [unrolled: 2-line block ×4, first 2 shown]
	v_cndmask_b32_e64 v38, v40, v38, s0
	v_add_co_u32 v40, vcc_lo, v36, v1
	v_cndmask_b32_e64 v39, v41, v39, s0
	v_add_co_ci_u32_e64 v41, null, 0, v37, vcc_lo
	v_add_co_u32 v42, vcc_lo, v34, v7
	global_load_dword v44, v[38:39], off
	v_add_co_u32 v38, s14, s11, v2
	v_add_co_ci_u32_e64 v39, null, s12, 0, s14
	v_add_co_ci_u32_e64 v43, null, 0, v35, vcc_lo
	global_store_dwordx2 v[40:41], v[38:39], off offset:256
	s_waitcnt vmcnt(0)
	global_store_dword v[42:43], v44, off offset:128
	s_or_b32 exec_lo, exec_lo, s13
	s_and_saveexec_b32 s13, s43
	s_cbranch_execz .LBB154_24
.LBB154_39:                             ;   in Loop: Header=BB154_13 Depth=1
	v_add_co_u32 v38, vcc_lo, s24, v11
	v_add_co_ci_u32_e64 v39, null, s25, v12, vcc_lo
	v_add_co_u32 v40, vcc_lo, s24, v21
	v_add_co_ci_u32_e64 v41, null, s25, v22, vcc_lo
	v_cndmask_b32_e64 v38, v40, v38, s0
	v_add_co_u32 v40, vcc_lo, v36, v1
	v_cndmask_b32_e64 v39, v41, v39, s0
	v_add_co_ci_u32_e64 v41, null, 0, v37, vcc_lo
	v_add_co_u32 v42, vcc_lo, v34, v7
	global_load_dword v44, v[38:39], off offset:256
	v_add_co_u32 v38, s14, s11, v4
	v_add_co_ci_u32_e64 v39, null, s12, 0, s14
	v_add_co_ci_u32_e64 v43, null, 0, v35, vcc_lo
	global_store_dwordx2 v[40:41], v[38:39], off offset:512
	s_waitcnt vmcnt(0)
	global_store_dword v[42:43], v44, off offset:256
	s_or_b32 exec_lo, exec_lo, s13
	s_and_saveexec_b32 s13, s44
	s_cbranch_execz .LBB154_25
.LBB154_40:                             ;   in Loop: Header=BB154_13 Depth=1
	v_add_co_u32 v38, vcc_lo, s24, v11
	v_add_co_ci_u32_e64 v39, null, s25, v12, vcc_lo
	v_add_co_u32 v40, vcc_lo, s24, v23
	v_add_co_ci_u32_e64 v41, null, s25, v24, vcc_lo
	;; [unrolled: 2-line block ×4, first 2 shown]
	v_cndmask_b32_e64 v38, v40, v38, s0
	v_add_co_u32 v40, vcc_lo, v36, v1
	v_cndmask_b32_e64 v39, v41, v39, s0
	v_add_co_ci_u32_e64 v41, null, 0, v37, vcc_lo
	v_add_co_u32 v42, vcc_lo, v34, v7
	global_load_dword v44, v[38:39], off
	v_add_co_u32 v38, s14, s11, v6
	v_add_co_ci_u32_e64 v39, null, s12, 0, s14
	v_add_co_ci_u32_e64 v43, null, 0, v35, vcc_lo
	global_store_dwordx2 v[40:41], v[38:39], off offset:768
	s_waitcnt vmcnt(0)
	global_store_dword v[42:43], v44, off offset:384
	s_or_b32 exec_lo, exec_lo, s13
	s_and_saveexec_b32 s13, s45
	s_cbranch_execz .LBB154_26
.LBB154_41:                             ;   in Loop: Header=BB154_13 Depth=1
	v_add_co_u32 v38, vcc_lo, s24, v17
	v_add_co_ci_u32_e64 v39, null, s25, v18, vcc_lo
	v_add_co_u32 v40, vcc_lo, s24, v9
	v_add_co_ci_u32_e64 v41, null, s25, v10, vcc_lo
	;; [unrolled: 2-line block ×3, first 2 shown]
	v_cndmask_b32_e64 v38, v38, v40, s0
	v_add_co_u32 v40, vcc_lo, v30, v1
	v_cndmask_b32_e64 v39, v39, v41, s0
	v_add_co_ci_u32_e64 v41, null, 0, v31, vcc_lo
	v_add_co_u32 v42, vcc_lo, v32, v7
	global_load_dword v44, v[38:39], off
	v_add_co_u32 v38, s14, s11, v0
	v_add_co_ci_u32_e64 v39, null, s12, 0, s14
	v_add_co_ci_u32_e64 v43, null, 0, v33, vcc_lo
	global_store_dwordx2 v[40:41], v[38:39], off
	s_waitcnt vmcnt(0)
	global_store_dword v[42:43], v44, off
	s_or_b32 exec_lo, exec_lo, s13
	s_and_saveexec_b32 s13, s46
	s_cbranch_execz .LBB154_27
.LBB154_42:                             ;   in Loop: Header=BB154_13 Depth=1
	v_add_co_u32 v38, vcc_lo, s24, v9
	v_add_co_ci_u32_e64 v39, null, s25, v10, vcc_lo
	v_add_co_u32 v40, vcc_lo, s24, v19
	v_add_co_ci_u32_e64 v41, null, s25, v20, vcc_lo
	;; [unrolled: 2-line block ×4, first 2 shown]
	v_cndmask_b32_e64 v38, v40, v38, s0
	v_add_co_u32 v40, vcc_lo, v30, v1
	v_cndmask_b32_e64 v39, v41, v39, s0
	v_add_co_ci_u32_e64 v41, null, 0, v31, vcc_lo
	v_add_co_u32 v42, vcc_lo, v32, v7
	global_load_dword v44, v[38:39], off
	v_add_co_u32 v38, s14, s11, v2
	v_add_co_ci_u32_e64 v39, null, s12, 0, s14
	v_add_co_ci_u32_e64 v43, null, 0, v33, vcc_lo
	global_store_dwordx2 v[40:41], v[38:39], off offset:256
	s_waitcnt vmcnt(0)
	global_store_dword v[42:43], v44, off offset:128
	s_or_b32 exec_lo, exec_lo, s13
	s_and_saveexec_b32 s13, s47
	s_cbranch_execz .LBB154_28
.LBB154_43:                             ;   in Loop: Header=BB154_13 Depth=1
	v_add_co_u32 v38, vcc_lo, s24, v9
	v_add_co_ci_u32_e64 v39, null, s25, v10, vcc_lo
	v_add_co_u32 v40, vcc_lo, s24, v21
	v_add_co_ci_u32_e64 v41, null, s25, v22, vcc_lo
	;; [unrolled: 2-line block ×4, first 2 shown]
	v_cndmask_b32_e64 v38, v40, v38, s0
	v_add_co_u32 v40, vcc_lo, v30, v1
	v_cndmask_b32_e64 v39, v41, v39, s0
	v_add_co_ci_u32_e64 v41, null, 0, v31, vcc_lo
	v_add_co_u32 v42, vcc_lo, v32, v7
	global_load_dword v44, v[38:39], off
	v_add_co_u32 v38, s14, s11, v4
	v_add_co_ci_u32_e64 v39, null, s12, 0, s14
	v_add_co_ci_u32_e64 v43, null, 0, v33, vcc_lo
	global_store_dwordx2 v[40:41], v[38:39], off offset:512
	s_waitcnt vmcnt(0)
	global_store_dword v[42:43], v44, off offset:256
	s_or_b32 exec_lo, exec_lo, s13
	s_and_saveexec_b32 s13, s48
	s_cbranch_execz .LBB154_12
.LBB154_44:                             ;   in Loop: Header=BB154_13 Depth=1
	v_add_co_u32 v38, vcc_lo, s24, v9
	v_add_co_ci_u32_e64 v39, null, s25, v10, vcc_lo
	v_add_co_u32 v40, vcc_lo, s24, v23
	v_add_co_ci_u32_e64 v41, null, s25, v24, vcc_lo
	v_cndmask_b32_e64 v38, v40, v38, s0
	v_add_co_u32 v40, vcc_lo, v30, v1
	v_cndmask_b32_e64 v39, v41, v39, s0
	v_add_co_ci_u32_e64 v41, null, 0, v31, vcc_lo
	v_add_co_u32 v42, vcc_lo, v32, v7
	global_load_dword v44, v[38:39], off offset:384
	v_add_co_u32 v38, s11, s11, v6
	v_add_co_ci_u32_e64 v39, null, s12, 0, s11
	v_add_co_ci_u32_e64 v43, null, 0, v33, vcc_lo
	global_store_dwordx2 v[40:41], v[38:39], off offset:768
	s_waitcnt vmcnt(0)
	global_store_dword v[42:43], v44, off offset:384
	s_branch .LBB154_12
.LBB154_45:
	s_endpgm
	.section	.rodata,"a",@progbits
	.p2align	6, 0x0
	.amdhsa_kernel _ZN9rocsparseL35bsr2csr_block_per_row_33_256_kernelILj1024ELj128ELj32EfllEEv20rocsparse_direction_T4_S2_21rocsparse_index_base_PKT2_PKT3_PKS2_S2_S3_PS4_PS7_PS2_
		.amdhsa_group_segment_fixed_size 0
		.amdhsa_private_segment_fixed_size 0
		.amdhsa_kernarg_size 96
		.amdhsa_user_sgpr_count 6
		.amdhsa_user_sgpr_private_segment_buffer 1
		.amdhsa_user_sgpr_dispatch_ptr 0
		.amdhsa_user_sgpr_queue_ptr 0
		.amdhsa_user_sgpr_kernarg_segment_ptr 1
		.amdhsa_user_sgpr_dispatch_id 0
		.amdhsa_user_sgpr_flat_scratch_init 0
		.amdhsa_user_sgpr_private_segment_size 0
		.amdhsa_wavefront_size32 1
		.amdhsa_uses_dynamic_stack 0
		.amdhsa_system_sgpr_private_segment_wavefront_offset 0
		.amdhsa_system_sgpr_workgroup_id_x 1
		.amdhsa_system_sgpr_workgroup_id_y 0
		.amdhsa_system_sgpr_workgroup_id_z 0
		.amdhsa_system_sgpr_workgroup_info 0
		.amdhsa_system_vgpr_workitem_id 0
		.amdhsa_next_free_vgpr 45
		.amdhsa_next_free_sgpr 51
		.amdhsa_reserve_vcc 1
		.amdhsa_reserve_flat_scratch 0
		.amdhsa_float_round_mode_32 0
		.amdhsa_float_round_mode_16_64 0
		.amdhsa_float_denorm_mode_32 3
		.amdhsa_float_denorm_mode_16_64 3
		.amdhsa_dx10_clamp 1
		.amdhsa_ieee_mode 1
		.amdhsa_fp16_overflow 0
		.amdhsa_workgroup_processor_mode 1
		.amdhsa_memory_ordered 1
		.amdhsa_forward_progress 1
		.amdhsa_shared_vgpr_count 0
		.amdhsa_exception_fp_ieee_invalid_op 0
		.amdhsa_exception_fp_denorm_src 0
		.amdhsa_exception_fp_ieee_div_zero 0
		.amdhsa_exception_fp_ieee_overflow 0
		.amdhsa_exception_fp_ieee_underflow 0
		.amdhsa_exception_fp_ieee_inexact 0
		.amdhsa_exception_int_div_zero 0
	.end_amdhsa_kernel
	.section	.text._ZN9rocsparseL35bsr2csr_block_per_row_33_256_kernelILj1024ELj128ELj32EfllEEv20rocsparse_direction_T4_S2_21rocsparse_index_base_PKT2_PKT3_PKS2_S2_S3_PS4_PS7_PS2_,"axG",@progbits,_ZN9rocsparseL35bsr2csr_block_per_row_33_256_kernelILj1024ELj128ELj32EfllEEv20rocsparse_direction_T4_S2_21rocsparse_index_base_PKT2_PKT3_PKS2_S2_S3_PS4_PS7_PS2_,comdat
.Lfunc_end154:
	.size	_ZN9rocsparseL35bsr2csr_block_per_row_33_256_kernelILj1024ELj128ELj32EfllEEv20rocsparse_direction_T4_S2_21rocsparse_index_base_PKT2_PKT3_PKS2_S2_S3_PS4_PS7_PS2_, .Lfunc_end154-_ZN9rocsparseL35bsr2csr_block_per_row_33_256_kernelILj1024ELj128ELj32EfllEEv20rocsparse_direction_T4_S2_21rocsparse_index_base_PKT2_PKT3_PKS2_S2_S3_PS4_PS7_PS2_
                                        ; -- End function
	.set _ZN9rocsparseL35bsr2csr_block_per_row_33_256_kernelILj1024ELj128ELj32EfllEEv20rocsparse_direction_T4_S2_21rocsparse_index_base_PKT2_PKT3_PKS2_S2_S3_PS4_PS7_PS2_.num_vgpr, 45
	.set _ZN9rocsparseL35bsr2csr_block_per_row_33_256_kernelILj1024ELj128ELj32EfllEEv20rocsparse_direction_T4_S2_21rocsparse_index_base_PKT2_PKT3_PKS2_S2_S3_PS4_PS7_PS2_.num_agpr, 0
	.set _ZN9rocsparseL35bsr2csr_block_per_row_33_256_kernelILj1024ELj128ELj32EfllEEv20rocsparse_direction_T4_S2_21rocsparse_index_base_PKT2_PKT3_PKS2_S2_S3_PS4_PS7_PS2_.numbered_sgpr, 51
	.set _ZN9rocsparseL35bsr2csr_block_per_row_33_256_kernelILj1024ELj128ELj32EfllEEv20rocsparse_direction_T4_S2_21rocsparse_index_base_PKT2_PKT3_PKS2_S2_S3_PS4_PS7_PS2_.num_named_barrier, 0
	.set _ZN9rocsparseL35bsr2csr_block_per_row_33_256_kernelILj1024ELj128ELj32EfllEEv20rocsparse_direction_T4_S2_21rocsparse_index_base_PKT2_PKT3_PKS2_S2_S3_PS4_PS7_PS2_.private_seg_size, 0
	.set _ZN9rocsparseL35bsr2csr_block_per_row_33_256_kernelILj1024ELj128ELj32EfllEEv20rocsparse_direction_T4_S2_21rocsparse_index_base_PKT2_PKT3_PKS2_S2_S3_PS4_PS7_PS2_.uses_vcc, 1
	.set _ZN9rocsparseL35bsr2csr_block_per_row_33_256_kernelILj1024ELj128ELj32EfllEEv20rocsparse_direction_T4_S2_21rocsparse_index_base_PKT2_PKT3_PKS2_S2_S3_PS4_PS7_PS2_.uses_flat_scratch, 0
	.set _ZN9rocsparseL35bsr2csr_block_per_row_33_256_kernelILj1024ELj128ELj32EfllEEv20rocsparse_direction_T4_S2_21rocsparse_index_base_PKT2_PKT3_PKS2_S2_S3_PS4_PS7_PS2_.has_dyn_sized_stack, 0
	.set _ZN9rocsparseL35bsr2csr_block_per_row_33_256_kernelILj1024ELj128ELj32EfllEEv20rocsparse_direction_T4_S2_21rocsparse_index_base_PKT2_PKT3_PKS2_S2_S3_PS4_PS7_PS2_.has_recursion, 0
	.set _ZN9rocsparseL35bsr2csr_block_per_row_33_256_kernelILj1024ELj128ELj32EfllEEv20rocsparse_direction_T4_S2_21rocsparse_index_base_PKT2_PKT3_PKS2_S2_S3_PS4_PS7_PS2_.has_indirect_call, 0
	.section	.AMDGPU.csdata,"",@progbits
; Kernel info:
; codeLenInByte = 4652
; TotalNumSgprs: 53
; NumVgprs: 45
; ScratchSize: 0
; MemoryBound: 0
; FloatMode: 240
; IeeeMode: 1
; LDSByteSize: 0 bytes/workgroup (compile time only)
; SGPRBlocks: 0
; VGPRBlocks: 5
; NumSGPRsForWavesPerEU: 53
; NumVGPRsForWavesPerEU: 45
; Occupancy: 16
; WaveLimiterHint : 1
; COMPUTE_PGM_RSRC2:SCRATCH_EN: 0
; COMPUTE_PGM_RSRC2:USER_SGPR: 6
; COMPUTE_PGM_RSRC2:TRAP_HANDLER: 0
; COMPUTE_PGM_RSRC2:TGID_X_EN: 1
; COMPUTE_PGM_RSRC2:TGID_Y_EN: 0
; COMPUTE_PGM_RSRC2:TGID_Z_EN: 0
; COMPUTE_PGM_RSRC2:TIDIG_COMP_CNT: 0
	.section	.text._ZN9rocsparseL35bsr2csr_block_per_row_33_256_kernelILj1024ELj256ELj32EfllEEv20rocsparse_direction_T4_S2_21rocsparse_index_base_PKT2_PKT3_PKS2_S2_S3_PS4_PS7_PS2_,"axG",@progbits,_ZN9rocsparseL35bsr2csr_block_per_row_33_256_kernelILj1024ELj256ELj32EfllEEv20rocsparse_direction_T4_S2_21rocsparse_index_base_PKT2_PKT3_PKS2_S2_S3_PS4_PS7_PS2_,comdat
	.globl	_ZN9rocsparseL35bsr2csr_block_per_row_33_256_kernelILj1024ELj256ELj32EfllEEv20rocsparse_direction_T4_S2_21rocsparse_index_base_PKT2_PKT3_PKS2_S2_S3_PS4_PS7_PS2_ ; -- Begin function _ZN9rocsparseL35bsr2csr_block_per_row_33_256_kernelILj1024ELj256ELj32EfllEEv20rocsparse_direction_T4_S2_21rocsparse_index_base_PKT2_PKT3_PKS2_S2_S3_PS4_PS7_PS2_
	.p2align	8
	.type	_ZN9rocsparseL35bsr2csr_block_per_row_33_256_kernelILj1024ELj256ELj32EfllEEv20rocsparse_direction_T4_S2_21rocsparse_index_base_PKT2_PKT3_PKS2_S2_S3_PS4_PS7_PS2_,@function
_ZN9rocsparseL35bsr2csr_block_per_row_33_256_kernelILj1024ELj256ELj32EfllEEv20rocsparse_direction_T4_S2_21rocsparse_index_base_PKT2_PKT3_PKS2_S2_S3_PS4_PS7_PS2_: ; @_ZN9rocsparseL35bsr2csr_block_per_row_33_256_kernelILj1024ELj256ELj32EfllEEv20rocsparse_direction_T4_S2_21rocsparse_index_base_PKT2_PKT3_PKS2_S2_S3_PS4_PS7_PS2_
; %bb.0:
	s_load_dwordx2 s[0:1], s[4:5], 0x28
	s_mov_b32 s19, 0
	s_clause 0x1
	s_load_dword s18, s[4:5], 0x40
	s_load_dwordx2 s[2:3], s[4:5], 0x50
	s_mov_b32 s7, s19
	v_or_b32_e32 v1, s6, v0
	s_lshl_b64 s[8:9], s[6:7], 3
	s_waitcnt lgkmcnt(0)
	s_add_u32 s0, s0, s8
	s_addc_u32 s1, s1, s9
	s_load_dwordx4 s[12:15], s[0:1], 0x0
	s_mov_b32 s0, exec_lo
	v_cmpx_eq_u32_e32 0, v1
	s_cbranch_execz .LBB155_2
; %bb.1:
	v_mov_b32_e32 v1, s18
	v_mov_b32_e32 v3, 0
	;; [unrolled: 1-line block ×3, first 2 shown]
	global_store_dwordx2 v3, v[1:2], s[2:3]
.LBB155_2:
	s_or_b32 exec_lo, exec_lo, s0
	s_clause 0x1
	s_load_dword s19, s[4:5], 0x18
	s_load_dwordx2 s[20:21], s[4:5], 0x38
	v_mov_b32_e32 v2, 0
	v_lshrrev_b32_e32 v1, 5, v0
	v_lshlrev_b32_e32 v5, 3, v1
	s_waitcnt lgkmcnt(0)
	s_sub_u32 s22, s12, s19
	s_subb_u32 s23, s13, 0
	s_mul_hi_u32 s0, s20, s22
	s_mul_i32 s10, s20, s23
	s_sub_u32 s24, s14, s19
	s_mul_i32 s8, s21, s22
	s_mul_i32 s9, s20, s22
	s_subb_u32 s25, s15, 0
	s_add_i32 s0, s0, s10
	s_mul_i32 s11, s9, s21
	s_mul_hi_u32 s10, s9, s20
	s_add_i32 s0, s0, s8
	s_add_i32 s8, s10, s11
	s_mul_i32 s0, s0, s20
	s_mul_i32 s9, s9, s20
	s_add_i32 s8, s8, s0
	s_sub_u32 s40, s24, s22
	s_subb_u32 s41, s25, s23
	s_mul_i32 s0, s40, s21
	s_mul_hi_u32 s10, s40, s20
	s_mul_i32 s16, s41, s20
	s_add_i32 s0, s10, s0
	s_mul_i32 s11, s40, s20
	s_add_i32 s0, s0, s16
	s_add_u32 s9, s9, s18
	s_mul_i32 s1, s21, s6
	s_mul_hi_u32 s7, s20, s6
	s_addc_u32 s8, s8, 0
	s_add_u32 s16, s9, s11
	s_mul_i32 s6, s20, s6
	s_addc_u32 s17, s8, s0
	s_add_i32 s7, s7, s1
	v_cmp_gt_i64_e64 s1, s[20:21], v[1:2]
	s_lshl_b64 s[6:7], s[6:7], 3
	s_add_u32 s26, s2, s6
	s_addc_u32 s27, s3, s7
	s_and_saveexec_b32 s2, s1
	s_cbranch_execz .LBB155_4
; %bb.3:
	v_mad_u64_u32 v[3:4], null, v1, s11, s[16:17]
	v_mad_u64_u32 v[6:7], null, v1, s0, v[4:5]
	v_mov_b32_e32 v4, v6
	global_store_dwordx2 v5, v[3:4], s[26:27] offset:8
.LBB155_4:
	s_or_b32 exec_lo, exec_lo, s2
	v_or_b32_e32 v3, 32, v1
	v_mov_b32_e32 v4, v2
	v_cmp_gt_i64_e64 s2, s[20:21], v[3:4]
	s_and_saveexec_b32 s3, s2
	s_cbranch_execz .LBB155_6
; %bb.5:
	v_mad_u64_u32 v[6:7], null, v3, s11, s[16:17]
	v_mov_b32_e32 v4, v7
	v_mad_u64_u32 v[3:4], null, v3, s0, v[4:5]
	v_mov_b32_e32 v7, v3
	global_store_dwordx2 v5, v[6:7], s[26:27] offset:264
.LBB155_6:
	s_or_b32 exec_lo, exec_lo, s3
	v_or_b32_e32 v3, 64, v1
	v_mov_b32_e32 v4, v2
	v_cmp_gt_i64_e64 s3, s[20:21], v[3:4]
	s_and_saveexec_b32 s6, s3
	s_cbranch_execz .LBB155_8
; %bb.7:
	v_mad_u64_u32 v[6:7], null, v3, s11, s[16:17]
	v_mov_b32_e32 v4, v7
	v_mad_u64_u32 v[3:4], null, v3, s0, v[4:5]
	v_mov_b32_e32 v7, v3
	global_store_dwordx2 v5, v[6:7], s[26:27] offset:520
.LBB155_8:
	;; [unrolled: 13-line block ×7, first 2 shown]
	s_or_b32 exec_lo, exec_lo, s28
	v_cmp_lt_i64_e64 s0, s[12:13], s[14:15]
	s_and_b32 vcc_lo, exec_lo, s0
	s_cbranch_vccz .LBB155_149
; %bb.19:
	s_clause 0x2
	s_load_dwordx2 s[26:27], s[4:5], 0x30
	s_load_dwordx2 s[28:29], s[4:5], 0x48
	s_load_dword s0, s[4:5], 0x0
	v_and_b32_e32 v2, 31, v0
	s_mul_i32 s11, s20, s21
	s_mul_hi_u32 s12, s20, s20
	v_mov_b32_e32 v3, 0
	s_add_i32 s12, s12, s11
	v_mad_u64_u32 v[15:16], null, v2, s20, 0
	s_add_i32 s17, s12, s11
	s_mul_i32 s33, s20, s20
	s_clause 0x1
	s_load_dwordx2 s[30:31], s[4:5], 0x20
	s_load_dwordx2 s[34:35], s[4:5], 0x58
	s_mul_i32 s4, s22, s17
	s_mul_hi_u32 s5, s22, s33
	v_mov_b32_e32 v0, v16
	v_or_b32_e32 v4, 32, v2
	v_mov_b32_e32 v5, v3
	s_add_i32 s4, s5, s4
	s_mul_i32 s5, s23, s33
	v_mad_u64_u32 v[7:8], null, v2, s21, v[0:1]
	s_add_i32 s37, s4, s5
	s_waitcnt lgkmcnt(0)
	s_cmp_eq_u32 s0, 0
	v_cmp_gt_i64_e64 s4, s[20:21], v[4:5]
	v_or_b32_e32 v5, 64, v2
	v_mov_b32_e32 v6, v3
	s_cselect_b32 s0, -1, 0
	s_lshl_b64 s[38:39], s[20:21], 5
	v_mov_b32_e32 v16, v7
	v_add_co_u32 v17, s5, v15, s38
	v_add_co_ci_u32_e64 v18, null, s39, v7, s5
	v_cmp_gt_i64_e64 s5, s[20:21], v[5:6]
	v_or_b32_e32 v6, 0x60, v2
	v_mov_b32_e32 v7, v3
	v_add_co_u32 v19, s11, v17, s38
	v_add_co_ci_u32_e64 v20, null, s39, v18, s11
	v_cmp_gt_i64_e64 s11, s[20:21], v[6:7]
	v_or_b32_e32 v7, 0x80, v2
	;; [unrolled: 5-line block ×3, first 2 shown]
	v_mov_b32_e32 v9, v3
	v_mad_u64_u32 v[11:12], null, v1, s40, 0
	v_mad_u64_u32 v[25:26], null, v1, s20, 0
	v_add_co_u32 v23, s13, v21, s38
	v_add_co_ci_u32_e64 v24, null, s39, v22, s13
	v_cmp_gt_i64_e64 s13, s[20:21], v[8:9]
	v_or_b32_e32 v9, 0xc0, v2
	v_mov_b32_e32 v10, v3
	v_add_co_u32 v27, s14, v23, s38
	v_mov_b32_e32 v0, v12
	v_add_co_ci_u32_e64 v28, null, s39, v24, s14
	v_cmp_gt_i64_e64 s14, s[20:21], v[9:10]
	v_mov_b32_e32 v10, v26
	v_or_b32_e32 v12, 0xe0, v2
	v_mov_b32_e32 v13, v3
	v_mad_u64_u32 v[29:30], null, v1, s41, v[0:1]
	v_mad_u64_u32 v[30:31], null, v1, s21, v[10:11]
	v_add_co_u32 v31, s15, v27, s38
	v_cmp_gt_i64_e32 vcc_lo, s[20:21], v[2:3]
	v_add_co_ci_u32_e64 v32, null, s39, v28, s15
	v_cmp_gt_i64_e64 s15, s[20:21], v[12:13]
	v_add_co_u32 v33, s16, v31, s38
	s_lshl_b64 s[92:93], s[40:41], 5
	v_add_co_ci_u32_e64 v34, null, s39, v32, s16
	s_and_b32 s16, s1, vcc_lo
	s_and_b32 s42, s1, s4
	s_and_b32 s43, s1, s5
	s_and_b32 s44, s1, s11
	s_and_b32 s45, s1, s12
	s_and_b32 s46, s1, s13
	s_and_b32 s47, s1, s14
	s_and_b32 s48, s1, s15
	v_add_co_u32 v3, s1, v11, s92
	v_add_co_ci_u32_e64 v10, null, s93, v29, s1
	v_mov_b32_e32 v26, v30
	v_add_co_u32 v49, s1, v3, s92
	v_add_co_ci_u32_e64 v50, null, s93, v10, s1
	v_mov_b32_e32 v0, v29
	v_add_co_u32 v51, s1, v49, s92
	v_add_co_ci_u32_e64 v52, null, s93, v50, s1
	v_lshlrev_b64 v[13:14], 2, v[25:26]
	v_add_co_u32 v53, s1, v51, s92
	v_add_co_ci_u32_e64 v54, null, s93, v52, s1
	v_lshlrev_b64 v[15:16], 2, v[15:16]
	;; [unrolled: 3-line block ×4, first 2 shown]
	v_add_co_u32 v59, s1, v57, s92
	v_lshlrev_b64 v[21:22], 2, v[21:22]
	v_lshlrev_b64 v[23:24], 2, v[23:24]
	;; [unrolled: 1-line block ×5, first 2 shown]
	v_add_co_ci_u32_e64 v60, null, s93, v58, s1
	s_mul_i32 s36, s22, s33
	s_and_b32 s40, s2, vcc_lo
	s_and_b32 s41, s2, s4
	s_and_b32 s49, s2, s5
	s_and_b32 s50, s2, s11
	s_and_b32 s51, s2, s12
	s_and_b32 s52, s2, s13
	s_and_b32 s53, s2, s14
	s_and_b32 s54, s2, s15
	s_and_b32 s55, s3, vcc_lo
	s_and_b32 s56, s3, s4
	s_and_b32 s57, s3, s5
	s_and_b32 s58, s3, s11
	s_and_b32 s59, s3, s12
	s_and_b32 s60, s3, s13
	s_and_b32 s61, s3, s14
	s_and_b32 s62, s3, s15
	;; [unrolled: 8-line block ×7, first 2 shown]
	s_mov_b64 s[2:3], s[22:23]
	s_branch .LBB155_21
.LBB155_20:                             ;   in Loop: Header=BB155_21 Depth=1
	s_or_b32 exec_lo, exec_lo, s4
	s_add_u32 s2, s2, 1
	s_addc_u32 s3, s3, 0
	v_cmp_ge_i64_e64 s4, s[2:3], s[24:25]
	s_and_b32 vcc_lo, exec_lo, s4
	s_cbranch_vccnz .LBB155_149
.LBB155_21:                             ; =>This Inner Loop Header: Depth=1
	s_lshl_b64 s[4:5], s[2:3], 3
	s_mul_i32 s95, s2, s17
	s_add_u32 s4, s26, s4
	s_addc_u32 s5, s27, s5
	s_mul_hi_u32 s96, s2, s33
	s_load_dwordx2 s[4:5], s[4:5], 0x0
	s_mul_i32 s97, s3, s33
	s_mul_i32 s94, s2, s33
	v_lshlrev_b32_e32 v33, 2, v1
	v_lshlrev_b32_e32 v63, 2, v2
	s_waitcnt lgkmcnt(0)
	s_sub_u32 s4, s4, s19
	s_subb_u32 s5, s5, 0
	s_sub_u32 s15, s2, s22
	s_mul_i32 s98, s4, s21
	s_mul_hi_u32 s99, s4, s20
	s_subb_u32 s93, s3, s23
	v_add_co_u32 v31, vcc_lo, v11, s15
	s_mul_i32 s5, s5, s20
	s_add_i32 s98, s99, s98
	s_mul_i32 s4, s4, s20
	v_add_co_ci_u32_e64 v32, null, s93, v0, vcc_lo
	s_add_i32 s98, s98, s5
	s_add_u32 s4, s4, s18
	s_addc_u32 s5, s98, 0
	s_add_i32 s95, s96, s95
	v_mul_lo_u32 v34, v31, s21
	v_mad_u64_u32 v[47:48], null, v31, s20, s[36:37]
	s_add_i32 s95, s95, s97
	v_mul_lo_u32 v35, v32, s20
	s_lshl_b64 s[94:95], s[94:95], 2
	v_add_co_u32 v31, s96, s4, v2
	s_add_u32 s94, s30, s94
	v_add_co_ci_u32_e64 v32, null, s5, 0, s96
	s_addc_u32 s95, s31, s95
	v_add_co_u32 v61, s96, s94, v33
	v_add_co_u32 v64, vcc_lo, s94, v13
	v_add_co_ci_u32_e64 v62, null, s95, 0, s96
	v_add3_u32 v48, v35, v48, v34
	v_add_co_ci_u32_e64 v65, null, s95, v14, vcc_lo
	s_and_saveexec_b32 s94, s16
	s_cbranch_execz .LBB155_23
; %bb.22:                               ;   in Loop: Header=BB155_21 Depth=1
	v_add_co_u32 v33, vcc_lo, v64, v63
	v_add_co_ci_u32_e64 v34, null, 0, v65, vcc_lo
	v_add_co_u32 v35, vcc_lo, v61, v15
	v_add_co_ci_u32_e64 v36, null, v62, v16, vcc_lo
	v_cndmask_b32_e64 v33, v35, v33, s0
	v_cndmask_b32_e64 v34, v36, v34, s0
	global_load_dword v37, v[33:34], off
	v_add_co_u32 v33, vcc_lo, v47, v2
	v_add_co_ci_u32_e64 v34, null, 0, v48, vcc_lo
	v_lshlrev_b64 v[35:36], 3, v[33:34]
	v_lshlrev_b64 v[33:34], 2, v[33:34]
	v_add_co_u32 v35, vcc_lo, s34, v35
	v_add_co_ci_u32_e64 v36, null, s35, v36, vcc_lo
	v_add_co_u32 v33, vcc_lo, s28, v33
	v_add_co_ci_u32_e64 v34, null, s29, v34, vcc_lo
	global_store_dwordx2 v[35:36], v[31:32], off
	s_waitcnt vmcnt(0)
	global_store_dword v[33:34], v37, off
.LBB155_23:                             ;   in Loop: Header=BB155_21 Depth=1
	s_or_b32 exec_lo, exec_lo, s94
	v_add_co_u32 v33, s94, s4, v4
	v_add_co_ci_u32_e64 v34, null, s5, 0, s94
	s_and_saveexec_b32 s94, s42
	s_cbranch_execz .LBB155_25
; %bb.24:                               ;   in Loop: Header=BB155_21 Depth=1
	v_add_co_u32 v35, vcc_lo, v64, v63
	v_add_co_ci_u32_e64 v36, null, 0, v65, vcc_lo
	v_add_co_u32 v35, vcc_lo, 0x80, v35
	v_add_co_ci_u32_e64 v36, null, 0, v36, vcc_lo
	v_add_co_u32 v37, vcc_lo, v61, v17
	v_add_co_ci_u32_e64 v38, null, v62, v18, vcc_lo
	v_cndmask_b32_e64 v35, v37, v35, s0
	v_cndmask_b32_e64 v36, v38, v36, s0
	global_load_dword v39, v[35:36], off
	v_add_co_u32 v35, vcc_lo, v47, v2
	v_add_co_ci_u32_e64 v36, null, 0, v48, vcc_lo
	v_lshlrev_b64 v[37:38], 3, v[35:36]
	v_lshlrev_b64 v[35:36], 2, v[35:36]
	v_add_co_u32 v37, vcc_lo, s34, v37
	v_add_co_ci_u32_e64 v38, null, s35, v38, vcc_lo
	v_add_co_u32 v35, vcc_lo, s28, v35
	v_add_co_ci_u32_e64 v36, null, s29, v36, vcc_lo
	global_store_dwordx2 v[37:38], v[33:34], off offset:256
	s_waitcnt vmcnt(0)
	global_store_dword v[35:36], v39, off offset:128
.LBB155_25:                             ;   in Loop: Header=BB155_21 Depth=1
	s_or_b32 exec_lo, exec_lo, s94
	v_add_co_u32 v35, s94, s4, v5
	v_add_co_ci_u32_e64 v36, null, s5, 0, s94
	s_and_saveexec_b32 s94, s43
	s_cbranch_execz .LBB155_27
; %bb.26:                               ;   in Loop: Header=BB155_21 Depth=1
	v_add_co_u32 v37, vcc_lo, v64, v63
	v_add_co_ci_u32_e64 v38, null, 0, v65, vcc_lo
	v_add_co_u32 v37, vcc_lo, 0x100, v37
	v_add_co_ci_u32_e64 v38, null, 0, v38, vcc_lo
	v_add_co_u32 v39, vcc_lo, v61, v19
	v_add_co_ci_u32_e64 v40, null, v62, v20, vcc_lo
	v_cndmask_b32_e64 v37, v39, v37, s0
	v_cndmask_b32_e64 v38, v40, v38, s0
	global_load_dword v41, v[37:38], off
	v_add_co_u32 v37, vcc_lo, v47, v2
	v_add_co_ci_u32_e64 v38, null, 0, v48, vcc_lo
	v_lshlrev_b64 v[39:40], 3, v[37:38]
	v_lshlrev_b64 v[37:38], 2, v[37:38]
	v_add_co_u32 v39, vcc_lo, s34, v39
	v_add_co_ci_u32_e64 v40, null, s35, v40, vcc_lo
	v_add_co_u32 v37, vcc_lo, s28, v37
	v_add_co_ci_u32_e64 v38, null, s29, v38, vcc_lo
	global_store_dwordx2 v[39:40], v[35:36], off offset:512
	s_waitcnt vmcnt(0)
	global_store_dword v[37:38], v41, off offset:256
.LBB155_27:                             ;   in Loop: Header=BB155_21 Depth=1
	;; [unrolled: 27-line block ×6, first 2 shown]
	s_or_b32 exec_lo, exec_lo, s94
	v_add_co_u32 v45, s4, s4, v12
	v_add_co_ci_u32_e64 v46, null, s5, 0, s4
	s_and_saveexec_b32 s4, s48
	s_cbranch_execz .LBB155_37
; %bb.36:                               ;   in Loop: Header=BB155_21 Depth=1
	v_add_co_u32 v66, vcc_lo, v64, v63
	v_add_co_ci_u32_e64 v67, null, 0, v65, vcc_lo
	v_add_co_u32 v66, vcc_lo, 0x380, v66
	v_add_co_ci_u32_e64 v67, null, 0, v67, vcc_lo
	;; [unrolled: 2-line block ×3, first 2 shown]
	v_add_co_u32 v47, vcc_lo, v47, v2
	v_cndmask_b32_e64 v66, v68, v66, s0
	v_cndmask_b32_e64 v67, v69, v67, s0
	v_add_co_ci_u32_e64 v48, null, 0, v48, vcc_lo
	global_load_dword v68, v[66:67], off
	v_lshlrev_b64 v[66:67], 3, v[47:48]
	v_lshlrev_b64 v[47:48], 2, v[47:48]
	v_add_co_u32 v66, vcc_lo, s34, v66
	v_add_co_ci_u32_e64 v67, null, s35, v67, vcc_lo
	v_add_co_u32 v47, vcc_lo, s28, v47
	v_add_co_ci_u32_e64 v48, null, s29, v48, vcc_lo
	global_store_dwordx2 v[66:67], v[45:46], off offset:1792
	s_waitcnt vmcnt(0)
	global_store_dword v[47:48], v68, off offset:896
.LBB155_37:                             ;   in Loop: Header=BB155_21 Depth=1
	s_or_b32 exec_lo, exec_lo, s4
	v_add_co_u32 v47, vcc_lo, v3, s15
	v_add_co_ci_u32_e64 v48, null, s93, v10, vcc_lo
	s_lshl_b64 s[4:5], s[38:39], 2
	v_mul_lo_u32 v66, v47, s21
	v_add_co_u32 v64, vcc_lo, v64, s4
	v_mul_lo_u32 v67, v48, s20
	v_mad_u64_u32 v[47:48], null, v47, s20, s[36:37]
	v_add_co_ci_u32_e64 v65, null, s5, v65, vcc_lo
	v_add3_u32 v48, v67, v48, v66
	s_and_saveexec_b32 s94, s40
	s_cbranch_execnz .LBB155_99
; %bb.38:                               ;   in Loop: Header=BB155_21 Depth=1
	s_or_b32 exec_lo, exec_lo, s94
	s_and_saveexec_b32 s94, s41
	s_cbranch_execnz .LBB155_100
.LBB155_39:                             ;   in Loop: Header=BB155_21 Depth=1
	s_or_b32 exec_lo, exec_lo, s94
	s_and_saveexec_b32 s94, s49
	s_cbranch_execnz .LBB155_101
.LBB155_40:                             ;   in Loop: Header=BB155_21 Depth=1
	s_or_b32 exec_lo, exec_lo, s94
	s_and_saveexec_b32 s94, s50
	s_cbranch_execnz .LBB155_102
.LBB155_41:                             ;   in Loop: Header=BB155_21 Depth=1
	s_or_b32 exec_lo, exec_lo, s94
	s_and_saveexec_b32 s94, s51
	s_cbranch_execnz .LBB155_103
.LBB155_42:                             ;   in Loop: Header=BB155_21 Depth=1
	s_or_b32 exec_lo, exec_lo, s94
	s_and_saveexec_b32 s94, s52
	s_cbranch_execnz .LBB155_104
.LBB155_43:                             ;   in Loop: Header=BB155_21 Depth=1
	s_or_b32 exec_lo, exec_lo, s94
	s_and_saveexec_b32 s94, s53
	s_cbranch_execnz .LBB155_105
.LBB155_44:                             ;   in Loop: Header=BB155_21 Depth=1
	s_or_b32 exec_lo, exec_lo, s94
	s_and_saveexec_b32 s94, s54
	s_cbranch_execz .LBB155_46
.LBB155_45:                             ;   in Loop: Header=BB155_21 Depth=1
	v_add_co_u32 v66, vcc_lo, v64, v63
	v_add_co_ci_u32_e64 v67, null, 0, v65, vcc_lo
	v_add_co_u32 v68, vcc_lo, v61, v29
	v_add_co_ci_u32_e64 v69, null, v62, v30, vcc_lo
	v_add_co_u32 v66, vcc_lo, 0x380, v66
	v_add_co_ci_u32_e64 v67, null, 0, v67, vcc_lo
	v_add_co_u32 v68, vcc_lo, 0x80, v68
	v_add_co_ci_u32_e64 v69, null, 0, v69, vcc_lo
	v_add_co_u32 v47, vcc_lo, v47, v2
	v_cndmask_b32_e64 v66, v68, v66, s0
	v_cndmask_b32_e64 v67, v69, v67, s0
	v_add_co_ci_u32_e64 v48, null, 0, v48, vcc_lo
	global_load_dword v68, v[66:67], off
	v_lshlrev_b64 v[66:67], 3, v[47:48]
	v_lshlrev_b64 v[47:48], 2, v[47:48]
	v_add_co_u32 v66, vcc_lo, s34, v66
	v_add_co_ci_u32_e64 v67, null, s35, v67, vcc_lo
	v_add_co_u32 v47, vcc_lo, s28, v47
	v_add_co_ci_u32_e64 v48, null, s29, v48, vcc_lo
	global_store_dwordx2 v[66:67], v[45:46], off offset:1792
	s_waitcnt vmcnt(0)
	global_store_dword v[47:48], v68, off offset:896
.LBB155_46:                             ;   in Loop: Header=BB155_21 Depth=1
	s_or_b32 exec_lo, exec_lo, s94
	v_add_co_u32 v47, vcc_lo, v49, s15
	v_add_co_ci_u32_e64 v48, null, s93, v50, vcc_lo
	v_add_co_u32 v64, vcc_lo, v64, s4
	v_mul_lo_u32 v66, v47, s21
	v_mul_lo_u32 v67, v48, s20
	v_mad_u64_u32 v[47:48], null, v47, s20, s[36:37]
	v_add_co_ci_u32_e64 v65, null, s5, v65, vcc_lo
	v_add3_u32 v48, v67, v48, v66
	s_and_saveexec_b32 s94, s55
	s_cbranch_execnz .LBB155_106
; %bb.47:                               ;   in Loop: Header=BB155_21 Depth=1
	s_or_b32 exec_lo, exec_lo, s94
	s_and_saveexec_b32 s94, s56
	s_cbranch_execnz .LBB155_107
.LBB155_48:                             ;   in Loop: Header=BB155_21 Depth=1
	s_or_b32 exec_lo, exec_lo, s94
	s_and_saveexec_b32 s94, s57
	s_cbranch_execnz .LBB155_108
.LBB155_49:                             ;   in Loop: Header=BB155_21 Depth=1
	s_or_b32 exec_lo, exec_lo, s94
	s_and_saveexec_b32 s94, s58
	s_cbranch_execnz .LBB155_109
.LBB155_50:                             ;   in Loop: Header=BB155_21 Depth=1
	s_or_b32 exec_lo, exec_lo, s94
	s_and_saveexec_b32 s94, s59
	s_cbranch_execnz .LBB155_110
.LBB155_51:                             ;   in Loop: Header=BB155_21 Depth=1
	s_or_b32 exec_lo, exec_lo, s94
	s_and_saveexec_b32 s94, s60
	s_cbranch_execnz .LBB155_111
.LBB155_52:                             ;   in Loop: Header=BB155_21 Depth=1
	s_or_b32 exec_lo, exec_lo, s94
	s_and_saveexec_b32 s94, s61
	s_cbranch_execnz .LBB155_112
.LBB155_53:                             ;   in Loop: Header=BB155_21 Depth=1
	s_or_b32 exec_lo, exec_lo, s94
	s_and_saveexec_b32 s94, s62
	s_cbranch_execz .LBB155_55
.LBB155_54:                             ;   in Loop: Header=BB155_21 Depth=1
	v_add_co_u32 v66, vcc_lo, v64, v63
	v_add_co_ci_u32_e64 v67, null, 0, v65, vcc_lo
	v_add_co_u32 v68, vcc_lo, v61, v29
	v_add_co_ci_u32_e64 v69, null, v62, v30, vcc_lo
	;; [unrolled: 2-line block ×4, first 2 shown]
	v_add_co_u32 v47, vcc_lo, v47, v2
	v_cndmask_b32_e64 v66, v68, v66, s0
	v_cndmask_b32_e64 v67, v69, v67, s0
	v_add_co_ci_u32_e64 v48, null, 0, v48, vcc_lo
	global_load_dword v68, v[66:67], off
	v_lshlrev_b64 v[66:67], 3, v[47:48]
	v_lshlrev_b64 v[47:48], 2, v[47:48]
	v_add_co_u32 v66, vcc_lo, s34, v66
	v_add_co_ci_u32_e64 v67, null, s35, v67, vcc_lo
	v_add_co_u32 v47, vcc_lo, s28, v47
	v_add_co_ci_u32_e64 v48, null, s29, v48, vcc_lo
	global_store_dwordx2 v[66:67], v[45:46], off offset:1792
	s_waitcnt vmcnt(0)
	global_store_dword v[47:48], v68, off offset:896
.LBB155_55:                             ;   in Loop: Header=BB155_21 Depth=1
	s_or_b32 exec_lo, exec_lo, s94
	v_add_co_u32 v47, vcc_lo, v51, s15
	v_add_co_ci_u32_e64 v48, null, s93, v52, vcc_lo
	v_add_co_u32 v64, vcc_lo, v64, s4
	v_mul_lo_u32 v66, v47, s21
	v_mul_lo_u32 v67, v48, s20
	v_mad_u64_u32 v[47:48], null, v47, s20, s[36:37]
	v_add_co_ci_u32_e64 v65, null, s5, v65, vcc_lo
	v_add3_u32 v48, v67, v48, v66
	s_and_saveexec_b32 s94, s63
	s_cbranch_execnz .LBB155_113
; %bb.56:                               ;   in Loop: Header=BB155_21 Depth=1
	s_or_b32 exec_lo, exec_lo, s94
	s_and_saveexec_b32 s94, s64
	s_cbranch_execnz .LBB155_114
.LBB155_57:                             ;   in Loop: Header=BB155_21 Depth=1
	s_or_b32 exec_lo, exec_lo, s94
	s_and_saveexec_b32 s94, s65
	s_cbranch_execnz .LBB155_115
.LBB155_58:                             ;   in Loop: Header=BB155_21 Depth=1
	s_or_b32 exec_lo, exec_lo, s94
	s_and_saveexec_b32 s94, s66
	s_cbranch_execnz .LBB155_116
.LBB155_59:                             ;   in Loop: Header=BB155_21 Depth=1
	s_or_b32 exec_lo, exec_lo, s94
	s_and_saveexec_b32 s94, s67
	s_cbranch_execnz .LBB155_117
.LBB155_60:                             ;   in Loop: Header=BB155_21 Depth=1
	s_or_b32 exec_lo, exec_lo, s94
	s_and_saveexec_b32 s94, s68
	s_cbranch_execnz .LBB155_118
.LBB155_61:                             ;   in Loop: Header=BB155_21 Depth=1
	s_or_b32 exec_lo, exec_lo, s94
	s_and_saveexec_b32 s94, s69
	s_cbranch_execnz .LBB155_119
.LBB155_62:                             ;   in Loop: Header=BB155_21 Depth=1
	s_or_b32 exec_lo, exec_lo, s94
	s_and_saveexec_b32 s94, s6
	s_cbranch_execz .LBB155_64
.LBB155_63:                             ;   in Loop: Header=BB155_21 Depth=1
	v_add_co_u32 v66, vcc_lo, v64, v63
	v_add_co_ci_u32_e64 v67, null, 0, v65, vcc_lo
	v_add_co_u32 v68, vcc_lo, v61, v29
	v_add_co_ci_u32_e64 v69, null, v62, v30, vcc_lo
	;; [unrolled: 2-line block ×4, first 2 shown]
	v_add_co_u32 v47, vcc_lo, v47, v2
	v_cndmask_b32_e64 v66, v68, v66, s0
	v_cndmask_b32_e64 v67, v69, v67, s0
	v_add_co_ci_u32_e64 v48, null, 0, v48, vcc_lo
	global_load_dword v68, v[66:67], off
	v_lshlrev_b64 v[66:67], 3, v[47:48]
	v_lshlrev_b64 v[47:48], 2, v[47:48]
	v_add_co_u32 v66, vcc_lo, s34, v66
	v_add_co_ci_u32_e64 v67, null, s35, v67, vcc_lo
	v_add_co_u32 v47, vcc_lo, s28, v47
	v_add_co_ci_u32_e64 v48, null, s29, v48, vcc_lo
	global_store_dwordx2 v[66:67], v[45:46], off offset:1792
	s_waitcnt vmcnt(0)
	global_store_dword v[47:48], v68, off offset:896
.LBB155_64:                             ;   in Loop: Header=BB155_21 Depth=1
	s_or_b32 exec_lo, exec_lo, s94
	v_add_co_u32 v47, vcc_lo, v53, s15
	v_add_co_ci_u32_e64 v48, null, s93, v54, vcc_lo
	v_add_co_u32 v64, vcc_lo, v64, s4
	v_mul_lo_u32 v66, v47, s21
	v_mul_lo_u32 v67, v48, s20
	v_mad_u64_u32 v[47:48], null, v47, s20, s[36:37]
	v_add_co_ci_u32_e64 v65, null, s5, v65, vcc_lo
	v_add3_u32 v48, v67, v48, v66
	s_and_saveexec_b32 s94, s70
	s_cbranch_execnz .LBB155_120
; %bb.65:                               ;   in Loop: Header=BB155_21 Depth=1
	s_or_b32 exec_lo, exec_lo, s94
	s_and_saveexec_b32 s94, s71
	s_cbranch_execnz .LBB155_121
.LBB155_66:                             ;   in Loop: Header=BB155_21 Depth=1
	s_or_b32 exec_lo, exec_lo, s94
	s_and_saveexec_b32 s94, s72
	s_cbranch_execnz .LBB155_122
.LBB155_67:                             ;   in Loop: Header=BB155_21 Depth=1
	s_or_b32 exec_lo, exec_lo, s94
	s_and_saveexec_b32 s94, s73
	s_cbranch_execnz .LBB155_123
.LBB155_68:                             ;   in Loop: Header=BB155_21 Depth=1
	s_or_b32 exec_lo, exec_lo, s94
	s_and_saveexec_b32 s94, s74
	s_cbranch_execnz .LBB155_124
.LBB155_69:                             ;   in Loop: Header=BB155_21 Depth=1
	s_or_b32 exec_lo, exec_lo, s94
	s_and_saveexec_b32 s94, s75
	s_cbranch_execnz .LBB155_125
.LBB155_70:                             ;   in Loop: Header=BB155_21 Depth=1
	s_or_b32 exec_lo, exec_lo, s94
	s_and_saveexec_b32 s94, s76
	s_cbranch_execnz .LBB155_126
.LBB155_71:                             ;   in Loop: Header=BB155_21 Depth=1
	s_or_b32 exec_lo, exec_lo, s94
	s_and_saveexec_b32 s94, s7
	s_cbranch_execz .LBB155_73
.LBB155_72:                             ;   in Loop: Header=BB155_21 Depth=1
	v_add_co_u32 v66, vcc_lo, v64, v63
	v_add_co_ci_u32_e64 v67, null, 0, v65, vcc_lo
	v_add_co_u32 v68, vcc_lo, v61, v29
	v_add_co_ci_u32_e64 v69, null, v62, v30, vcc_lo
	;; [unrolled: 2-line block ×4, first 2 shown]
	v_add_co_u32 v47, vcc_lo, v47, v2
	v_cndmask_b32_e64 v66, v68, v66, s0
	v_cndmask_b32_e64 v67, v69, v67, s0
	v_add_co_ci_u32_e64 v48, null, 0, v48, vcc_lo
	global_load_dword v68, v[66:67], off
	v_lshlrev_b64 v[66:67], 3, v[47:48]
	v_lshlrev_b64 v[47:48], 2, v[47:48]
	v_add_co_u32 v66, vcc_lo, s34, v66
	v_add_co_ci_u32_e64 v67, null, s35, v67, vcc_lo
	v_add_co_u32 v47, vcc_lo, s28, v47
	v_add_co_ci_u32_e64 v48, null, s29, v48, vcc_lo
	global_store_dwordx2 v[66:67], v[45:46], off offset:1792
	s_waitcnt vmcnt(0)
	global_store_dword v[47:48], v68, off offset:896
.LBB155_73:                             ;   in Loop: Header=BB155_21 Depth=1
	s_or_b32 exec_lo, exec_lo, s94
	v_add_co_u32 v47, vcc_lo, v55, s15
	v_add_co_ci_u32_e64 v48, null, s93, v56, vcc_lo
	v_add_co_u32 v64, vcc_lo, v64, s4
	v_mul_lo_u32 v66, v47, s21
	v_mul_lo_u32 v67, v48, s20
	v_mad_u64_u32 v[47:48], null, v47, s20, s[36:37]
	v_add_co_ci_u32_e64 v65, null, s5, v65, vcc_lo
	v_add3_u32 v48, v67, v48, v66
	s_and_saveexec_b32 s94, s77
	s_cbranch_execnz .LBB155_127
; %bb.74:                               ;   in Loop: Header=BB155_21 Depth=1
	s_or_b32 exec_lo, exec_lo, s94
	s_and_saveexec_b32 s94, s78
	s_cbranch_execnz .LBB155_128
.LBB155_75:                             ;   in Loop: Header=BB155_21 Depth=1
	s_or_b32 exec_lo, exec_lo, s94
	s_and_saveexec_b32 s94, s79
	s_cbranch_execnz .LBB155_129
.LBB155_76:                             ;   in Loop: Header=BB155_21 Depth=1
	s_or_b32 exec_lo, exec_lo, s94
	s_and_saveexec_b32 s94, s80
	s_cbranch_execnz .LBB155_130
.LBB155_77:                             ;   in Loop: Header=BB155_21 Depth=1
	s_or_b32 exec_lo, exec_lo, s94
	s_and_saveexec_b32 s94, s81
	s_cbranch_execnz .LBB155_131
.LBB155_78:                             ;   in Loop: Header=BB155_21 Depth=1
	s_or_b32 exec_lo, exec_lo, s94
	s_and_saveexec_b32 s94, s82
	s_cbranch_execnz .LBB155_132
.LBB155_79:                             ;   in Loop: Header=BB155_21 Depth=1
	s_or_b32 exec_lo, exec_lo, s94
	s_and_saveexec_b32 s94, s83
	s_cbranch_execnz .LBB155_133
.LBB155_80:                             ;   in Loop: Header=BB155_21 Depth=1
	s_or_b32 exec_lo, exec_lo, s94
	s_and_saveexec_b32 s94, s8
	s_cbranch_execz .LBB155_82
.LBB155_81:                             ;   in Loop: Header=BB155_21 Depth=1
	v_add_co_u32 v66, vcc_lo, v64, v63
	v_add_co_ci_u32_e64 v67, null, 0, v65, vcc_lo
	v_add_co_u32 v68, vcc_lo, v61, v29
	v_add_co_ci_u32_e64 v69, null, v62, v30, vcc_lo
	;; [unrolled: 2-line block ×4, first 2 shown]
	v_add_co_u32 v47, vcc_lo, v47, v2
	v_cndmask_b32_e64 v66, v68, v66, s0
	v_cndmask_b32_e64 v67, v69, v67, s0
	v_add_co_ci_u32_e64 v48, null, 0, v48, vcc_lo
	global_load_dword v68, v[66:67], off
	v_lshlrev_b64 v[66:67], 3, v[47:48]
	v_lshlrev_b64 v[47:48], 2, v[47:48]
	v_add_co_u32 v66, vcc_lo, s34, v66
	v_add_co_ci_u32_e64 v67, null, s35, v67, vcc_lo
	v_add_co_u32 v47, vcc_lo, s28, v47
	v_add_co_ci_u32_e64 v48, null, s29, v48, vcc_lo
	global_store_dwordx2 v[66:67], v[45:46], off offset:1792
	s_waitcnt vmcnt(0)
	global_store_dword v[47:48], v68, off offset:896
.LBB155_82:                             ;   in Loop: Header=BB155_21 Depth=1
	s_or_b32 exec_lo, exec_lo, s94
	v_add_co_u32 v47, vcc_lo, v57, s15
	v_add_co_ci_u32_e64 v48, null, s93, v58, vcc_lo
	v_add_co_u32 v64, vcc_lo, v64, s4
	v_mul_lo_u32 v66, v47, s21
	v_mul_lo_u32 v67, v48, s20
	v_mad_u64_u32 v[47:48], null, v47, s20, s[36:37]
	v_add_co_ci_u32_e64 v65, null, s5, v65, vcc_lo
	v_add3_u32 v48, v67, v48, v66
	s_and_saveexec_b32 s94, s84
	s_cbranch_execnz .LBB155_134
; %bb.83:                               ;   in Loop: Header=BB155_21 Depth=1
	s_or_b32 exec_lo, exec_lo, s94
	s_and_saveexec_b32 s94, s85
	s_cbranch_execnz .LBB155_135
.LBB155_84:                             ;   in Loop: Header=BB155_21 Depth=1
	s_or_b32 exec_lo, exec_lo, s94
	s_and_saveexec_b32 s94, s86
	s_cbranch_execnz .LBB155_136
.LBB155_85:                             ;   in Loop: Header=BB155_21 Depth=1
	s_or_b32 exec_lo, exec_lo, s94
	s_and_saveexec_b32 s94, s87
	s_cbranch_execnz .LBB155_137
.LBB155_86:                             ;   in Loop: Header=BB155_21 Depth=1
	s_or_b32 exec_lo, exec_lo, s94
	s_and_saveexec_b32 s94, s88
	s_cbranch_execnz .LBB155_138
.LBB155_87:                             ;   in Loop: Header=BB155_21 Depth=1
	s_or_b32 exec_lo, exec_lo, s94
	s_and_saveexec_b32 s94, s89
	s_cbranch_execnz .LBB155_139
.LBB155_88:                             ;   in Loop: Header=BB155_21 Depth=1
	s_or_b32 exec_lo, exec_lo, s94
	s_and_saveexec_b32 s94, s90
	s_cbranch_execnz .LBB155_140
.LBB155_89:                             ;   in Loop: Header=BB155_21 Depth=1
	s_or_b32 exec_lo, exec_lo, s94
	s_and_saveexec_b32 s94, s10
	s_cbranch_execz .LBB155_91
.LBB155_90:                             ;   in Loop: Header=BB155_21 Depth=1
	v_add_co_u32 v66, vcc_lo, v64, v63
	v_add_co_ci_u32_e64 v67, null, 0, v65, vcc_lo
	v_add_co_u32 v68, vcc_lo, v61, v29
	v_add_co_ci_u32_e64 v69, null, v62, v30, vcc_lo
	v_add_co_u32 v66, vcc_lo, 0x380, v66
	v_add_co_ci_u32_e64 v67, null, 0, v67, vcc_lo
	v_add_co_u32 v68, vcc_lo, 0x300, v68
	v_add_co_ci_u32_e64 v69, null, 0, v69, vcc_lo
	v_add_co_u32 v47, vcc_lo, v47, v2
	v_cndmask_b32_e64 v66, v68, v66, s0
	v_cndmask_b32_e64 v67, v69, v67, s0
	v_add_co_ci_u32_e64 v48, null, 0, v48, vcc_lo
	global_load_dword v68, v[66:67], off
	v_lshlrev_b64 v[66:67], 3, v[47:48]
	v_lshlrev_b64 v[47:48], 2, v[47:48]
	v_add_co_u32 v66, vcc_lo, s34, v66
	v_add_co_ci_u32_e64 v67, null, s35, v67, vcc_lo
	v_add_co_u32 v47, vcc_lo, s28, v47
	v_add_co_ci_u32_e64 v48, null, s29, v48, vcc_lo
	global_store_dwordx2 v[66:67], v[45:46], off offset:1792
	s_waitcnt vmcnt(0)
	global_store_dword v[47:48], v68, off offset:896
.LBB155_91:                             ;   in Loop: Header=BB155_21 Depth=1
	s_or_b32 exec_lo, exec_lo, s94
	v_add_co_u32 v47, vcc_lo, v59, s15
	v_add_co_ci_u32_e64 v48, null, s93, v60, vcc_lo
	v_add_co_u32 v64, vcc_lo, v64, s4
	v_mul_lo_u32 v66, v47, s21
	v_mul_lo_u32 v67, v48, s20
	v_mad_u64_u32 v[47:48], null, v47, s20, s[36:37]
	v_add_co_ci_u32_e64 v65, null, s5, v65, vcc_lo
	v_add3_u32 v48, v67, v48, v66
	s_and_saveexec_b32 s4, s1
	s_cbranch_execnz .LBB155_141
; %bb.92:                               ;   in Loop: Header=BB155_21 Depth=1
	s_or_b32 exec_lo, exec_lo, s4
	s_and_saveexec_b32 s4, s91
	s_cbranch_execnz .LBB155_142
.LBB155_93:                             ;   in Loop: Header=BB155_21 Depth=1
	s_or_b32 exec_lo, exec_lo, s4
	s_and_saveexec_b32 s4, s92
	s_cbranch_execnz .LBB155_143
.LBB155_94:                             ;   in Loop: Header=BB155_21 Depth=1
	s_or_b32 exec_lo, exec_lo, s4
	s_and_saveexec_b32 s4, s11
	s_cbranch_execnz .LBB155_144
.LBB155_95:                             ;   in Loop: Header=BB155_21 Depth=1
	s_or_b32 exec_lo, exec_lo, s4
	s_and_saveexec_b32 s4, s12
	s_cbranch_execnz .LBB155_145
.LBB155_96:                             ;   in Loop: Header=BB155_21 Depth=1
	s_or_b32 exec_lo, exec_lo, s4
	s_and_saveexec_b32 s4, s13
	s_cbranch_execnz .LBB155_146
.LBB155_97:                             ;   in Loop: Header=BB155_21 Depth=1
	s_or_b32 exec_lo, exec_lo, s4
	s_and_saveexec_b32 s4, s14
	s_cbranch_execnz .LBB155_147
.LBB155_98:                             ;   in Loop: Header=BB155_21 Depth=1
	s_or_b32 exec_lo, exec_lo, s4
	s_and_saveexec_b32 s4, s9
	s_cbranch_execz .LBB155_20
	s_branch .LBB155_148
.LBB155_99:                             ;   in Loop: Header=BB155_21 Depth=1
	v_add_co_u32 v66, vcc_lo, v61, v15
	v_add_co_ci_u32_e64 v67, null, v62, v16, vcc_lo
	v_add_co_u32 v68, vcc_lo, v64, v63
	v_add_co_ci_u32_e64 v69, null, 0, v65, vcc_lo
	;; [unrolled: 2-line block ×3, first 2 shown]
	v_cndmask_b32_e64 v66, v66, v68, s0
	v_cndmask_b32_e64 v67, v67, v69, s0
	global_load_dword v70, v[66:67], off
	v_add_co_u32 v66, vcc_lo, v47, v2
	v_add_co_ci_u32_e64 v67, null, 0, v48, vcc_lo
	v_lshlrev_b64 v[68:69], 3, v[66:67]
	v_lshlrev_b64 v[66:67], 2, v[66:67]
	v_add_co_u32 v68, vcc_lo, s34, v68
	v_add_co_ci_u32_e64 v69, null, s35, v69, vcc_lo
	v_add_co_u32 v66, vcc_lo, s28, v66
	v_add_co_ci_u32_e64 v67, null, s29, v67, vcc_lo
	global_store_dwordx2 v[68:69], v[31:32], off
	s_waitcnt vmcnt(0)
	global_store_dword v[66:67], v70, off
	s_or_b32 exec_lo, exec_lo, s94
	s_and_saveexec_b32 s94, s41
	s_cbranch_execz .LBB155_39
.LBB155_100:                            ;   in Loop: Header=BB155_21 Depth=1
	v_add_co_u32 v66, vcc_lo, v64, v63
	v_add_co_ci_u32_e64 v67, null, 0, v65, vcc_lo
	v_add_co_u32 v68, vcc_lo, v61, v17
	v_add_co_ci_u32_e64 v69, null, v62, v18, vcc_lo
	v_cndmask_b32_e64 v66, v68, v66, s0
	v_cndmask_b32_e64 v67, v69, v67, s0
	global_load_dword v70, v[66:67], off offset:128
	v_add_co_u32 v66, vcc_lo, v47, v2
	v_add_co_ci_u32_e64 v67, null, 0, v48, vcc_lo
	v_lshlrev_b64 v[68:69], 3, v[66:67]
	v_lshlrev_b64 v[66:67], 2, v[66:67]
	v_add_co_u32 v68, vcc_lo, s34, v68
	v_add_co_ci_u32_e64 v69, null, s35, v69, vcc_lo
	v_add_co_u32 v66, vcc_lo, s28, v66
	v_add_co_ci_u32_e64 v67, null, s29, v67, vcc_lo
	global_store_dwordx2 v[68:69], v[33:34], off offset:256
	s_waitcnt vmcnt(0)
	global_store_dword v[66:67], v70, off offset:128
	s_or_b32 exec_lo, exec_lo, s94
	s_and_saveexec_b32 s94, s49
	s_cbranch_execz .LBB155_40
.LBB155_101:                            ;   in Loop: Header=BB155_21 Depth=1
	v_add_co_u32 v66, vcc_lo, v64, v63
	v_add_co_ci_u32_e64 v67, null, 0, v65, vcc_lo
	v_add_co_u32 v68, vcc_lo, v61, v19
	v_add_co_ci_u32_e64 v69, null, v62, v20, vcc_lo
	;; [unrolled: 2-line block ×4, first 2 shown]
	v_cndmask_b32_e64 v66, v68, v66, s0
	v_cndmask_b32_e64 v67, v69, v67, s0
	global_load_dword v70, v[66:67], off
	v_add_co_u32 v66, vcc_lo, v47, v2
	v_add_co_ci_u32_e64 v67, null, 0, v48, vcc_lo
	v_lshlrev_b64 v[68:69], 3, v[66:67]
	v_lshlrev_b64 v[66:67], 2, v[66:67]
	v_add_co_u32 v68, vcc_lo, s34, v68
	v_add_co_ci_u32_e64 v69, null, s35, v69, vcc_lo
	v_add_co_u32 v66, vcc_lo, s28, v66
	v_add_co_ci_u32_e64 v67, null, s29, v67, vcc_lo
	global_store_dwordx2 v[68:69], v[35:36], off offset:512
	s_waitcnt vmcnt(0)
	global_store_dword v[66:67], v70, off offset:256
	s_or_b32 exec_lo, exec_lo, s94
	s_and_saveexec_b32 s94, s50
	s_cbranch_execz .LBB155_41
.LBB155_102:                            ;   in Loop: Header=BB155_21 Depth=1
	v_add_co_u32 v66, vcc_lo, v64, v63
	v_add_co_ci_u32_e64 v67, null, 0, v65, vcc_lo
	v_add_co_u32 v68, vcc_lo, v61, v21
	v_add_co_ci_u32_e64 v69, null, v62, v22, vcc_lo
	;; [unrolled: 2-line block ×4, first 2 shown]
	v_cndmask_b32_e64 v66, v68, v66, s0
	v_cndmask_b32_e64 v67, v69, v67, s0
	global_load_dword v70, v[66:67], off
	v_add_co_u32 v66, vcc_lo, v47, v2
	v_add_co_ci_u32_e64 v67, null, 0, v48, vcc_lo
	v_lshlrev_b64 v[68:69], 3, v[66:67]
	v_lshlrev_b64 v[66:67], 2, v[66:67]
	v_add_co_u32 v68, vcc_lo, s34, v68
	v_add_co_ci_u32_e64 v69, null, s35, v69, vcc_lo
	v_add_co_u32 v66, vcc_lo, s28, v66
	v_add_co_ci_u32_e64 v67, null, s29, v67, vcc_lo
	global_store_dwordx2 v[68:69], v[37:38], off offset:768
	s_waitcnt vmcnt(0)
	global_store_dword v[66:67], v70, off offset:384
	s_or_b32 exec_lo, exec_lo, s94
	s_and_saveexec_b32 s94, s51
	s_cbranch_execz .LBB155_42
.LBB155_103:                            ;   in Loop: Header=BB155_21 Depth=1
	v_add_co_u32 v66, vcc_lo, v64, v63
	v_add_co_ci_u32_e64 v67, null, 0, v65, vcc_lo
	v_add_co_u32 v68, vcc_lo, v61, v23
	v_add_co_ci_u32_e64 v69, null, v62, v24, vcc_lo
	;; [unrolled: 2-line block ×4, first 2 shown]
	v_cndmask_b32_e64 v66, v68, v66, s0
	v_cndmask_b32_e64 v67, v69, v67, s0
	global_load_dword v70, v[66:67], off
	v_add_co_u32 v66, vcc_lo, v47, v2
	v_add_co_ci_u32_e64 v67, null, 0, v48, vcc_lo
	v_lshlrev_b64 v[68:69], 3, v[66:67]
	v_lshlrev_b64 v[66:67], 2, v[66:67]
	v_add_co_u32 v68, vcc_lo, s34, v68
	v_add_co_ci_u32_e64 v69, null, s35, v69, vcc_lo
	v_add_co_u32 v66, vcc_lo, s28, v66
	v_add_co_ci_u32_e64 v67, null, s29, v67, vcc_lo
	global_store_dwordx2 v[68:69], v[39:40], off offset:1024
	s_waitcnt vmcnt(0)
	global_store_dword v[66:67], v70, off offset:512
	s_or_b32 exec_lo, exec_lo, s94
	s_and_saveexec_b32 s94, s52
	s_cbranch_execz .LBB155_43
.LBB155_104:                            ;   in Loop: Header=BB155_21 Depth=1
	v_add_co_u32 v66, vcc_lo, v64, v63
	v_add_co_ci_u32_e64 v67, null, 0, v65, vcc_lo
	v_add_co_u32 v68, vcc_lo, v61, v25
	v_add_co_ci_u32_e64 v69, null, v62, v26, vcc_lo
	;; [unrolled: 2-line block ×4, first 2 shown]
	v_cndmask_b32_e64 v66, v68, v66, s0
	v_cndmask_b32_e64 v67, v69, v67, s0
	global_load_dword v70, v[66:67], off
	v_add_co_u32 v66, vcc_lo, v47, v2
	v_add_co_ci_u32_e64 v67, null, 0, v48, vcc_lo
	v_lshlrev_b64 v[68:69], 3, v[66:67]
	v_lshlrev_b64 v[66:67], 2, v[66:67]
	v_add_co_u32 v68, vcc_lo, s34, v68
	v_add_co_ci_u32_e64 v69, null, s35, v69, vcc_lo
	v_add_co_u32 v66, vcc_lo, s28, v66
	v_add_co_ci_u32_e64 v67, null, s29, v67, vcc_lo
	global_store_dwordx2 v[68:69], v[41:42], off offset:1280
	s_waitcnt vmcnt(0)
	global_store_dword v[66:67], v70, off offset:640
	s_or_b32 exec_lo, exec_lo, s94
	s_and_saveexec_b32 s94, s53
	s_cbranch_execz .LBB155_44
.LBB155_105:                            ;   in Loop: Header=BB155_21 Depth=1
	v_add_co_u32 v66, vcc_lo, v64, v63
	v_add_co_ci_u32_e64 v67, null, 0, v65, vcc_lo
	v_add_co_u32 v68, vcc_lo, v61, v27
	v_add_co_ci_u32_e64 v69, null, v62, v28, vcc_lo
	;; [unrolled: 2-line block ×4, first 2 shown]
	v_cndmask_b32_e64 v66, v68, v66, s0
	v_cndmask_b32_e64 v67, v69, v67, s0
	global_load_dword v70, v[66:67], off
	v_add_co_u32 v66, vcc_lo, v47, v2
	v_add_co_ci_u32_e64 v67, null, 0, v48, vcc_lo
	v_lshlrev_b64 v[68:69], 3, v[66:67]
	v_lshlrev_b64 v[66:67], 2, v[66:67]
	v_add_co_u32 v68, vcc_lo, s34, v68
	v_add_co_ci_u32_e64 v69, null, s35, v69, vcc_lo
	v_add_co_u32 v66, vcc_lo, s28, v66
	v_add_co_ci_u32_e64 v67, null, s29, v67, vcc_lo
	global_store_dwordx2 v[68:69], v[43:44], off offset:1536
	s_waitcnt vmcnt(0)
	global_store_dword v[66:67], v70, off offset:768
	s_or_b32 exec_lo, exec_lo, s94
	s_and_saveexec_b32 s94, s54
	s_cbranch_execnz .LBB155_45
	s_branch .LBB155_46
.LBB155_106:                            ;   in Loop: Header=BB155_21 Depth=1
	v_add_co_u32 v66, vcc_lo, v61, v15
	v_add_co_ci_u32_e64 v67, null, v62, v16, vcc_lo
	v_add_co_u32 v68, vcc_lo, v64, v63
	v_add_co_ci_u32_e64 v69, null, 0, v65, vcc_lo
	;; [unrolled: 2-line block ×3, first 2 shown]
	v_cndmask_b32_e64 v66, v66, v68, s0
	v_cndmask_b32_e64 v67, v67, v69, s0
	global_load_dword v70, v[66:67], off
	v_add_co_u32 v66, vcc_lo, v47, v2
	v_add_co_ci_u32_e64 v67, null, 0, v48, vcc_lo
	v_lshlrev_b64 v[68:69], 3, v[66:67]
	v_lshlrev_b64 v[66:67], 2, v[66:67]
	v_add_co_u32 v68, vcc_lo, s34, v68
	v_add_co_ci_u32_e64 v69, null, s35, v69, vcc_lo
	v_add_co_u32 v66, vcc_lo, s28, v66
	v_add_co_ci_u32_e64 v67, null, s29, v67, vcc_lo
	global_store_dwordx2 v[68:69], v[31:32], off
	s_waitcnt vmcnt(0)
	global_store_dword v[66:67], v70, off
	s_or_b32 exec_lo, exec_lo, s94
	s_and_saveexec_b32 s94, s56
	s_cbranch_execz .LBB155_48
.LBB155_107:                            ;   in Loop: Header=BB155_21 Depth=1
	v_add_co_u32 v66, vcc_lo, v64, v63
	v_add_co_ci_u32_e64 v67, null, 0, v65, vcc_lo
	v_add_co_u32 v68, vcc_lo, v61, v17
	v_add_co_ci_u32_e64 v69, null, v62, v18, vcc_lo
	;; [unrolled: 2-line block ×4, first 2 shown]
	v_cndmask_b32_e64 v66, v68, v66, s0
	v_cndmask_b32_e64 v67, v69, v67, s0
	global_load_dword v70, v[66:67], off
	v_add_co_u32 v66, vcc_lo, v47, v2
	v_add_co_ci_u32_e64 v67, null, 0, v48, vcc_lo
	v_lshlrev_b64 v[68:69], 3, v[66:67]
	v_lshlrev_b64 v[66:67], 2, v[66:67]
	v_add_co_u32 v68, vcc_lo, s34, v68
	v_add_co_ci_u32_e64 v69, null, s35, v69, vcc_lo
	v_add_co_u32 v66, vcc_lo, s28, v66
	v_add_co_ci_u32_e64 v67, null, s29, v67, vcc_lo
	global_store_dwordx2 v[68:69], v[33:34], off offset:256
	s_waitcnt vmcnt(0)
	global_store_dword v[66:67], v70, off offset:128
	s_or_b32 exec_lo, exec_lo, s94
	s_and_saveexec_b32 s94, s57
	s_cbranch_execz .LBB155_49
.LBB155_108:                            ;   in Loop: Header=BB155_21 Depth=1
	v_add_co_u32 v66, vcc_lo, v64, v63
	v_add_co_ci_u32_e64 v67, null, 0, v65, vcc_lo
	v_add_co_u32 v68, vcc_lo, v61, v19
	v_add_co_ci_u32_e64 v69, null, v62, v20, vcc_lo
	v_cndmask_b32_e64 v66, v68, v66, s0
	v_cndmask_b32_e64 v67, v69, v67, s0
	global_load_dword v70, v[66:67], off offset:256
	v_add_co_u32 v66, vcc_lo, v47, v2
	v_add_co_ci_u32_e64 v67, null, 0, v48, vcc_lo
	v_lshlrev_b64 v[68:69], 3, v[66:67]
	v_lshlrev_b64 v[66:67], 2, v[66:67]
	v_add_co_u32 v68, vcc_lo, s34, v68
	v_add_co_ci_u32_e64 v69, null, s35, v69, vcc_lo
	v_add_co_u32 v66, vcc_lo, s28, v66
	v_add_co_ci_u32_e64 v67, null, s29, v67, vcc_lo
	global_store_dwordx2 v[68:69], v[35:36], off offset:512
	s_waitcnt vmcnt(0)
	global_store_dword v[66:67], v70, off offset:256
	s_or_b32 exec_lo, exec_lo, s94
	s_and_saveexec_b32 s94, s58
	s_cbranch_execz .LBB155_50
.LBB155_109:                            ;   in Loop: Header=BB155_21 Depth=1
	v_add_co_u32 v66, vcc_lo, v64, v63
	v_add_co_ci_u32_e64 v67, null, 0, v65, vcc_lo
	v_add_co_u32 v68, vcc_lo, v61, v21
	v_add_co_ci_u32_e64 v69, null, v62, v22, vcc_lo
	;; [unrolled: 2-line block ×4, first 2 shown]
	v_cndmask_b32_e64 v66, v68, v66, s0
	v_cndmask_b32_e64 v67, v69, v67, s0
	global_load_dword v70, v[66:67], off
	v_add_co_u32 v66, vcc_lo, v47, v2
	v_add_co_ci_u32_e64 v67, null, 0, v48, vcc_lo
	v_lshlrev_b64 v[68:69], 3, v[66:67]
	v_lshlrev_b64 v[66:67], 2, v[66:67]
	v_add_co_u32 v68, vcc_lo, s34, v68
	v_add_co_ci_u32_e64 v69, null, s35, v69, vcc_lo
	v_add_co_u32 v66, vcc_lo, s28, v66
	v_add_co_ci_u32_e64 v67, null, s29, v67, vcc_lo
	global_store_dwordx2 v[68:69], v[37:38], off offset:768
	s_waitcnt vmcnt(0)
	global_store_dword v[66:67], v70, off offset:384
	s_or_b32 exec_lo, exec_lo, s94
	s_and_saveexec_b32 s94, s59
	s_cbranch_execz .LBB155_51
.LBB155_110:                            ;   in Loop: Header=BB155_21 Depth=1
	v_add_co_u32 v66, vcc_lo, v64, v63
	v_add_co_ci_u32_e64 v67, null, 0, v65, vcc_lo
	v_add_co_u32 v68, vcc_lo, v61, v23
	v_add_co_ci_u32_e64 v69, null, v62, v24, vcc_lo
	;; [unrolled: 2-line block ×4, first 2 shown]
	v_cndmask_b32_e64 v66, v68, v66, s0
	v_cndmask_b32_e64 v67, v69, v67, s0
	global_load_dword v70, v[66:67], off
	v_add_co_u32 v66, vcc_lo, v47, v2
	v_add_co_ci_u32_e64 v67, null, 0, v48, vcc_lo
	v_lshlrev_b64 v[68:69], 3, v[66:67]
	v_lshlrev_b64 v[66:67], 2, v[66:67]
	v_add_co_u32 v68, vcc_lo, s34, v68
	v_add_co_ci_u32_e64 v69, null, s35, v69, vcc_lo
	v_add_co_u32 v66, vcc_lo, s28, v66
	v_add_co_ci_u32_e64 v67, null, s29, v67, vcc_lo
	global_store_dwordx2 v[68:69], v[39:40], off offset:1024
	s_waitcnt vmcnt(0)
	global_store_dword v[66:67], v70, off offset:512
	s_or_b32 exec_lo, exec_lo, s94
	s_and_saveexec_b32 s94, s60
	s_cbranch_execz .LBB155_52
.LBB155_111:                            ;   in Loop: Header=BB155_21 Depth=1
	v_add_co_u32 v66, vcc_lo, v64, v63
	v_add_co_ci_u32_e64 v67, null, 0, v65, vcc_lo
	v_add_co_u32 v68, vcc_lo, v61, v25
	v_add_co_ci_u32_e64 v69, null, v62, v26, vcc_lo
	;; [unrolled: 2-line block ×4, first 2 shown]
	v_cndmask_b32_e64 v66, v68, v66, s0
	v_cndmask_b32_e64 v67, v69, v67, s0
	global_load_dword v70, v[66:67], off
	v_add_co_u32 v66, vcc_lo, v47, v2
	v_add_co_ci_u32_e64 v67, null, 0, v48, vcc_lo
	v_lshlrev_b64 v[68:69], 3, v[66:67]
	v_lshlrev_b64 v[66:67], 2, v[66:67]
	v_add_co_u32 v68, vcc_lo, s34, v68
	v_add_co_ci_u32_e64 v69, null, s35, v69, vcc_lo
	v_add_co_u32 v66, vcc_lo, s28, v66
	v_add_co_ci_u32_e64 v67, null, s29, v67, vcc_lo
	global_store_dwordx2 v[68:69], v[41:42], off offset:1280
	s_waitcnt vmcnt(0)
	global_store_dword v[66:67], v70, off offset:640
	s_or_b32 exec_lo, exec_lo, s94
	s_and_saveexec_b32 s94, s61
	s_cbranch_execz .LBB155_53
.LBB155_112:                            ;   in Loop: Header=BB155_21 Depth=1
	v_add_co_u32 v66, vcc_lo, v64, v63
	v_add_co_ci_u32_e64 v67, null, 0, v65, vcc_lo
	v_add_co_u32 v68, vcc_lo, v61, v27
	v_add_co_ci_u32_e64 v69, null, v62, v28, vcc_lo
	;; [unrolled: 2-line block ×4, first 2 shown]
	v_cndmask_b32_e64 v66, v68, v66, s0
	v_cndmask_b32_e64 v67, v69, v67, s0
	global_load_dword v70, v[66:67], off
	v_add_co_u32 v66, vcc_lo, v47, v2
	v_add_co_ci_u32_e64 v67, null, 0, v48, vcc_lo
	v_lshlrev_b64 v[68:69], 3, v[66:67]
	v_lshlrev_b64 v[66:67], 2, v[66:67]
	v_add_co_u32 v68, vcc_lo, s34, v68
	v_add_co_ci_u32_e64 v69, null, s35, v69, vcc_lo
	v_add_co_u32 v66, vcc_lo, s28, v66
	v_add_co_ci_u32_e64 v67, null, s29, v67, vcc_lo
	global_store_dwordx2 v[68:69], v[43:44], off offset:1536
	s_waitcnt vmcnt(0)
	global_store_dword v[66:67], v70, off offset:768
	s_or_b32 exec_lo, exec_lo, s94
	s_and_saveexec_b32 s94, s62
	s_cbranch_execnz .LBB155_54
	s_branch .LBB155_55
.LBB155_113:                            ;   in Loop: Header=BB155_21 Depth=1
	v_add_co_u32 v66, vcc_lo, v61, v15
	v_add_co_ci_u32_e64 v67, null, v62, v16, vcc_lo
	v_add_co_u32 v68, vcc_lo, v64, v63
	v_add_co_ci_u32_e64 v69, null, 0, v65, vcc_lo
	v_add_co_u32 v66, vcc_lo, 0x180, v66
	v_add_co_ci_u32_e64 v67, null, 0, v67, vcc_lo
	v_cndmask_b32_e64 v66, v66, v68, s0
	v_cndmask_b32_e64 v67, v67, v69, s0
	global_load_dword v70, v[66:67], off
	v_add_co_u32 v66, vcc_lo, v47, v2
	v_add_co_ci_u32_e64 v67, null, 0, v48, vcc_lo
	v_lshlrev_b64 v[68:69], 3, v[66:67]
	v_lshlrev_b64 v[66:67], 2, v[66:67]
	v_add_co_u32 v68, vcc_lo, s34, v68
	v_add_co_ci_u32_e64 v69, null, s35, v69, vcc_lo
	v_add_co_u32 v66, vcc_lo, s28, v66
	v_add_co_ci_u32_e64 v67, null, s29, v67, vcc_lo
	global_store_dwordx2 v[68:69], v[31:32], off
	s_waitcnt vmcnt(0)
	global_store_dword v[66:67], v70, off
	s_or_b32 exec_lo, exec_lo, s94
	s_and_saveexec_b32 s94, s64
	s_cbranch_execz .LBB155_57
.LBB155_114:                            ;   in Loop: Header=BB155_21 Depth=1
	v_add_co_u32 v66, vcc_lo, v64, v63
	v_add_co_ci_u32_e64 v67, null, 0, v65, vcc_lo
	v_add_co_u32 v68, vcc_lo, v61, v17
	v_add_co_ci_u32_e64 v69, null, v62, v18, vcc_lo
	;; [unrolled: 2-line block ×4, first 2 shown]
	v_cndmask_b32_e64 v66, v68, v66, s0
	v_cndmask_b32_e64 v67, v69, v67, s0
	global_load_dword v70, v[66:67], off
	v_add_co_u32 v66, vcc_lo, v47, v2
	v_add_co_ci_u32_e64 v67, null, 0, v48, vcc_lo
	v_lshlrev_b64 v[68:69], 3, v[66:67]
	v_lshlrev_b64 v[66:67], 2, v[66:67]
	v_add_co_u32 v68, vcc_lo, s34, v68
	v_add_co_ci_u32_e64 v69, null, s35, v69, vcc_lo
	v_add_co_u32 v66, vcc_lo, s28, v66
	v_add_co_ci_u32_e64 v67, null, s29, v67, vcc_lo
	global_store_dwordx2 v[68:69], v[33:34], off offset:256
	s_waitcnt vmcnt(0)
	global_store_dword v[66:67], v70, off offset:128
	s_or_b32 exec_lo, exec_lo, s94
	s_and_saveexec_b32 s94, s65
	s_cbranch_execz .LBB155_58
.LBB155_115:                            ;   in Loop: Header=BB155_21 Depth=1
	v_add_co_u32 v66, vcc_lo, v64, v63
	v_add_co_ci_u32_e64 v67, null, 0, v65, vcc_lo
	v_add_co_u32 v68, vcc_lo, v61, v19
	v_add_co_ci_u32_e64 v69, null, v62, v20, vcc_lo
	v_add_co_u32 v66, vcc_lo, 0x100, v66
	v_add_co_ci_u32_e64 v67, null, 0, v67, vcc_lo
	v_add_co_u32 v68, vcc_lo, 0x180, v68
	v_add_co_ci_u32_e64 v69, null, 0, v69, vcc_lo
	v_cndmask_b32_e64 v66, v68, v66, s0
	v_cndmask_b32_e64 v67, v69, v67, s0
	global_load_dword v70, v[66:67], off
	v_add_co_u32 v66, vcc_lo, v47, v2
	v_add_co_ci_u32_e64 v67, null, 0, v48, vcc_lo
	v_lshlrev_b64 v[68:69], 3, v[66:67]
	v_lshlrev_b64 v[66:67], 2, v[66:67]
	v_add_co_u32 v68, vcc_lo, s34, v68
	v_add_co_ci_u32_e64 v69, null, s35, v69, vcc_lo
	v_add_co_u32 v66, vcc_lo, s28, v66
	v_add_co_ci_u32_e64 v67, null, s29, v67, vcc_lo
	global_store_dwordx2 v[68:69], v[35:36], off offset:512
	s_waitcnt vmcnt(0)
	global_store_dword v[66:67], v70, off offset:256
	s_or_b32 exec_lo, exec_lo, s94
	s_and_saveexec_b32 s94, s66
	s_cbranch_execz .LBB155_59
.LBB155_116:                            ;   in Loop: Header=BB155_21 Depth=1
	v_add_co_u32 v66, vcc_lo, v64, v63
	v_add_co_ci_u32_e64 v67, null, 0, v65, vcc_lo
	v_add_co_u32 v68, vcc_lo, v61, v21
	v_add_co_ci_u32_e64 v69, null, v62, v22, vcc_lo
	v_cndmask_b32_e64 v66, v68, v66, s0
	v_cndmask_b32_e64 v67, v69, v67, s0
	global_load_dword v70, v[66:67], off offset:384
	v_add_co_u32 v66, vcc_lo, v47, v2
	v_add_co_ci_u32_e64 v67, null, 0, v48, vcc_lo
	v_lshlrev_b64 v[68:69], 3, v[66:67]
	v_lshlrev_b64 v[66:67], 2, v[66:67]
	v_add_co_u32 v68, vcc_lo, s34, v68
	v_add_co_ci_u32_e64 v69, null, s35, v69, vcc_lo
	v_add_co_u32 v66, vcc_lo, s28, v66
	v_add_co_ci_u32_e64 v67, null, s29, v67, vcc_lo
	global_store_dwordx2 v[68:69], v[37:38], off offset:768
	s_waitcnt vmcnt(0)
	global_store_dword v[66:67], v70, off offset:384
	s_or_b32 exec_lo, exec_lo, s94
	s_and_saveexec_b32 s94, s67
	s_cbranch_execz .LBB155_60
.LBB155_117:                            ;   in Loop: Header=BB155_21 Depth=1
	v_add_co_u32 v66, vcc_lo, v64, v63
	v_add_co_ci_u32_e64 v67, null, 0, v65, vcc_lo
	v_add_co_u32 v68, vcc_lo, v61, v23
	v_add_co_ci_u32_e64 v69, null, v62, v24, vcc_lo
	;; [unrolled: 2-line block ×4, first 2 shown]
	v_cndmask_b32_e64 v66, v68, v66, s0
	v_cndmask_b32_e64 v67, v69, v67, s0
	global_load_dword v70, v[66:67], off
	v_add_co_u32 v66, vcc_lo, v47, v2
	v_add_co_ci_u32_e64 v67, null, 0, v48, vcc_lo
	v_lshlrev_b64 v[68:69], 3, v[66:67]
	v_lshlrev_b64 v[66:67], 2, v[66:67]
	v_add_co_u32 v68, vcc_lo, s34, v68
	v_add_co_ci_u32_e64 v69, null, s35, v69, vcc_lo
	v_add_co_u32 v66, vcc_lo, s28, v66
	v_add_co_ci_u32_e64 v67, null, s29, v67, vcc_lo
	global_store_dwordx2 v[68:69], v[39:40], off offset:1024
	s_waitcnt vmcnt(0)
	global_store_dword v[66:67], v70, off offset:512
	s_or_b32 exec_lo, exec_lo, s94
	s_and_saveexec_b32 s94, s68
	s_cbranch_execz .LBB155_61
.LBB155_118:                            ;   in Loop: Header=BB155_21 Depth=1
	v_add_co_u32 v66, vcc_lo, v64, v63
	v_add_co_ci_u32_e64 v67, null, 0, v65, vcc_lo
	v_add_co_u32 v68, vcc_lo, v61, v25
	v_add_co_ci_u32_e64 v69, null, v62, v26, vcc_lo
	;; [unrolled: 2-line block ×4, first 2 shown]
	v_cndmask_b32_e64 v66, v68, v66, s0
	v_cndmask_b32_e64 v67, v69, v67, s0
	global_load_dword v70, v[66:67], off
	v_add_co_u32 v66, vcc_lo, v47, v2
	v_add_co_ci_u32_e64 v67, null, 0, v48, vcc_lo
	v_lshlrev_b64 v[68:69], 3, v[66:67]
	v_lshlrev_b64 v[66:67], 2, v[66:67]
	v_add_co_u32 v68, vcc_lo, s34, v68
	v_add_co_ci_u32_e64 v69, null, s35, v69, vcc_lo
	v_add_co_u32 v66, vcc_lo, s28, v66
	v_add_co_ci_u32_e64 v67, null, s29, v67, vcc_lo
	global_store_dwordx2 v[68:69], v[41:42], off offset:1280
	s_waitcnt vmcnt(0)
	global_store_dword v[66:67], v70, off offset:640
	s_or_b32 exec_lo, exec_lo, s94
	s_and_saveexec_b32 s94, s69
	s_cbranch_execz .LBB155_62
.LBB155_119:                            ;   in Loop: Header=BB155_21 Depth=1
	v_add_co_u32 v66, vcc_lo, v64, v63
	v_add_co_ci_u32_e64 v67, null, 0, v65, vcc_lo
	v_add_co_u32 v68, vcc_lo, v61, v27
	v_add_co_ci_u32_e64 v69, null, v62, v28, vcc_lo
	;; [unrolled: 2-line block ×4, first 2 shown]
	v_cndmask_b32_e64 v66, v68, v66, s0
	v_cndmask_b32_e64 v67, v69, v67, s0
	global_load_dword v70, v[66:67], off
	v_add_co_u32 v66, vcc_lo, v47, v2
	v_add_co_ci_u32_e64 v67, null, 0, v48, vcc_lo
	v_lshlrev_b64 v[68:69], 3, v[66:67]
	v_lshlrev_b64 v[66:67], 2, v[66:67]
	v_add_co_u32 v68, vcc_lo, s34, v68
	v_add_co_ci_u32_e64 v69, null, s35, v69, vcc_lo
	v_add_co_u32 v66, vcc_lo, s28, v66
	v_add_co_ci_u32_e64 v67, null, s29, v67, vcc_lo
	global_store_dwordx2 v[68:69], v[43:44], off offset:1536
	s_waitcnt vmcnt(0)
	global_store_dword v[66:67], v70, off offset:768
	s_or_b32 exec_lo, exec_lo, s94
	s_and_saveexec_b32 s94, s6
	s_cbranch_execnz .LBB155_63
	s_branch .LBB155_64
.LBB155_120:                            ;   in Loop: Header=BB155_21 Depth=1
	v_add_co_u32 v66, vcc_lo, v61, v15
	v_add_co_ci_u32_e64 v67, null, v62, v16, vcc_lo
	v_add_co_u32 v68, vcc_lo, v64, v63
	v_add_co_ci_u32_e64 v69, null, 0, v65, vcc_lo
	;; [unrolled: 2-line block ×3, first 2 shown]
	v_cndmask_b32_e64 v66, v66, v68, s0
	v_cndmask_b32_e64 v67, v67, v69, s0
	global_load_dword v70, v[66:67], off
	v_add_co_u32 v66, vcc_lo, v47, v2
	v_add_co_ci_u32_e64 v67, null, 0, v48, vcc_lo
	v_lshlrev_b64 v[68:69], 3, v[66:67]
	v_lshlrev_b64 v[66:67], 2, v[66:67]
	v_add_co_u32 v68, vcc_lo, s34, v68
	v_add_co_ci_u32_e64 v69, null, s35, v69, vcc_lo
	v_add_co_u32 v66, vcc_lo, s28, v66
	v_add_co_ci_u32_e64 v67, null, s29, v67, vcc_lo
	global_store_dwordx2 v[68:69], v[31:32], off
	s_waitcnt vmcnt(0)
	global_store_dword v[66:67], v70, off
	s_or_b32 exec_lo, exec_lo, s94
	s_and_saveexec_b32 s94, s71
	s_cbranch_execz .LBB155_66
.LBB155_121:                            ;   in Loop: Header=BB155_21 Depth=1
	v_add_co_u32 v66, vcc_lo, v64, v63
	v_add_co_ci_u32_e64 v67, null, 0, v65, vcc_lo
	v_add_co_u32 v68, vcc_lo, v61, v17
	v_add_co_ci_u32_e64 v69, null, v62, v18, vcc_lo
	;; [unrolled: 2-line block ×4, first 2 shown]
	v_cndmask_b32_e64 v66, v68, v66, s0
	v_cndmask_b32_e64 v67, v69, v67, s0
	global_load_dword v70, v[66:67], off
	v_add_co_u32 v66, vcc_lo, v47, v2
	v_add_co_ci_u32_e64 v67, null, 0, v48, vcc_lo
	v_lshlrev_b64 v[68:69], 3, v[66:67]
	v_lshlrev_b64 v[66:67], 2, v[66:67]
	v_add_co_u32 v68, vcc_lo, s34, v68
	v_add_co_ci_u32_e64 v69, null, s35, v69, vcc_lo
	v_add_co_u32 v66, vcc_lo, s28, v66
	v_add_co_ci_u32_e64 v67, null, s29, v67, vcc_lo
	global_store_dwordx2 v[68:69], v[33:34], off offset:256
	s_waitcnt vmcnt(0)
	global_store_dword v[66:67], v70, off offset:128
	s_or_b32 exec_lo, exec_lo, s94
	s_and_saveexec_b32 s94, s72
	s_cbranch_execz .LBB155_67
.LBB155_122:                            ;   in Loop: Header=BB155_21 Depth=1
	v_add_co_u32 v66, vcc_lo, v64, v63
	v_add_co_ci_u32_e64 v67, null, 0, v65, vcc_lo
	v_add_co_u32 v68, vcc_lo, v61, v19
	v_add_co_ci_u32_e64 v69, null, v62, v20, vcc_lo
	;; [unrolled: 2-line block ×4, first 2 shown]
	v_cndmask_b32_e64 v66, v68, v66, s0
	v_cndmask_b32_e64 v67, v69, v67, s0
	global_load_dword v70, v[66:67], off
	v_add_co_u32 v66, vcc_lo, v47, v2
	v_add_co_ci_u32_e64 v67, null, 0, v48, vcc_lo
	v_lshlrev_b64 v[68:69], 3, v[66:67]
	v_lshlrev_b64 v[66:67], 2, v[66:67]
	v_add_co_u32 v68, vcc_lo, s34, v68
	v_add_co_ci_u32_e64 v69, null, s35, v69, vcc_lo
	v_add_co_u32 v66, vcc_lo, s28, v66
	v_add_co_ci_u32_e64 v67, null, s29, v67, vcc_lo
	global_store_dwordx2 v[68:69], v[35:36], off offset:512
	s_waitcnt vmcnt(0)
	global_store_dword v[66:67], v70, off offset:256
	s_or_b32 exec_lo, exec_lo, s94
	s_and_saveexec_b32 s94, s73
	s_cbranch_execz .LBB155_68
.LBB155_123:                            ;   in Loop: Header=BB155_21 Depth=1
	v_add_co_u32 v66, vcc_lo, v64, v63
	v_add_co_ci_u32_e64 v67, null, 0, v65, vcc_lo
	v_add_co_u32 v68, vcc_lo, v61, v21
	v_add_co_ci_u32_e64 v69, null, v62, v22, vcc_lo
	;; [unrolled: 2-line block ×4, first 2 shown]
	v_cndmask_b32_e64 v66, v68, v66, s0
	v_cndmask_b32_e64 v67, v69, v67, s0
	global_load_dword v70, v[66:67], off
	v_add_co_u32 v66, vcc_lo, v47, v2
	v_add_co_ci_u32_e64 v67, null, 0, v48, vcc_lo
	v_lshlrev_b64 v[68:69], 3, v[66:67]
	v_lshlrev_b64 v[66:67], 2, v[66:67]
	v_add_co_u32 v68, vcc_lo, s34, v68
	v_add_co_ci_u32_e64 v69, null, s35, v69, vcc_lo
	v_add_co_u32 v66, vcc_lo, s28, v66
	v_add_co_ci_u32_e64 v67, null, s29, v67, vcc_lo
	global_store_dwordx2 v[68:69], v[37:38], off offset:768
	s_waitcnt vmcnt(0)
	global_store_dword v[66:67], v70, off offset:384
	s_or_b32 exec_lo, exec_lo, s94
	s_and_saveexec_b32 s94, s74
	s_cbranch_execz .LBB155_69
.LBB155_124:                            ;   in Loop: Header=BB155_21 Depth=1
	v_add_co_u32 v66, vcc_lo, v64, v63
	v_add_co_ci_u32_e64 v67, null, 0, v65, vcc_lo
	v_add_co_u32 v68, vcc_lo, v61, v23
	v_add_co_ci_u32_e64 v69, null, v62, v24, vcc_lo
	v_cndmask_b32_e64 v66, v68, v66, s0
	v_cndmask_b32_e64 v67, v69, v67, s0
	global_load_dword v70, v[66:67], off offset:512
	v_add_co_u32 v66, vcc_lo, v47, v2
	v_add_co_ci_u32_e64 v67, null, 0, v48, vcc_lo
	v_lshlrev_b64 v[68:69], 3, v[66:67]
	v_lshlrev_b64 v[66:67], 2, v[66:67]
	v_add_co_u32 v68, vcc_lo, s34, v68
	v_add_co_ci_u32_e64 v69, null, s35, v69, vcc_lo
	v_add_co_u32 v66, vcc_lo, s28, v66
	v_add_co_ci_u32_e64 v67, null, s29, v67, vcc_lo
	global_store_dwordx2 v[68:69], v[39:40], off offset:1024
	s_waitcnt vmcnt(0)
	global_store_dword v[66:67], v70, off offset:512
	s_or_b32 exec_lo, exec_lo, s94
	s_and_saveexec_b32 s94, s75
	s_cbranch_execz .LBB155_70
.LBB155_125:                            ;   in Loop: Header=BB155_21 Depth=1
	v_add_co_u32 v66, vcc_lo, v64, v63
	v_add_co_ci_u32_e64 v67, null, 0, v65, vcc_lo
	v_add_co_u32 v68, vcc_lo, v61, v25
	v_add_co_ci_u32_e64 v69, null, v62, v26, vcc_lo
	;; [unrolled: 2-line block ×4, first 2 shown]
	v_cndmask_b32_e64 v66, v68, v66, s0
	v_cndmask_b32_e64 v67, v69, v67, s0
	global_load_dword v70, v[66:67], off
	v_add_co_u32 v66, vcc_lo, v47, v2
	v_add_co_ci_u32_e64 v67, null, 0, v48, vcc_lo
	v_lshlrev_b64 v[68:69], 3, v[66:67]
	v_lshlrev_b64 v[66:67], 2, v[66:67]
	v_add_co_u32 v68, vcc_lo, s34, v68
	v_add_co_ci_u32_e64 v69, null, s35, v69, vcc_lo
	v_add_co_u32 v66, vcc_lo, s28, v66
	v_add_co_ci_u32_e64 v67, null, s29, v67, vcc_lo
	global_store_dwordx2 v[68:69], v[41:42], off offset:1280
	s_waitcnt vmcnt(0)
	global_store_dword v[66:67], v70, off offset:640
	s_or_b32 exec_lo, exec_lo, s94
	s_and_saveexec_b32 s94, s76
	s_cbranch_execz .LBB155_71
.LBB155_126:                            ;   in Loop: Header=BB155_21 Depth=1
	v_add_co_u32 v66, vcc_lo, v64, v63
	v_add_co_ci_u32_e64 v67, null, 0, v65, vcc_lo
	v_add_co_u32 v68, vcc_lo, v61, v27
	v_add_co_ci_u32_e64 v69, null, v62, v28, vcc_lo
	;; [unrolled: 2-line block ×4, first 2 shown]
	v_cndmask_b32_e64 v66, v68, v66, s0
	v_cndmask_b32_e64 v67, v69, v67, s0
	global_load_dword v70, v[66:67], off
	v_add_co_u32 v66, vcc_lo, v47, v2
	v_add_co_ci_u32_e64 v67, null, 0, v48, vcc_lo
	v_lshlrev_b64 v[68:69], 3, v[66:67]
	v_lshlrev_b64 v[66:67], 2, v[66:67]
	v_add_co_u32 v68, vcc_lo, s34, v68
	v_add_co_ci_u32_e64 v69, null, s35, v69, vcc_lo
	v_add_co_u32 v66, vcc_lo, s28, v66
	v_add_co_ci_u32_e64 v67, null, s29, v67, vcc_lo
	global_store_dwordx2 v[68:69], v[43:44], off offset:1536
	s_waitcnt vmcnt(0)
	global_store_dword v[66:67], v70, off offset:768
	s_or_b32 exec_lo, exec_lo, s94
	s_and_saveexec_b32 s94, s7
	s_cbranch_execnz .LBB155_72
	s_branch .LBB155_73
.LBB155_127:                            ;   in Loop: Header=BB155_21 Depth=1
	v_add_co_u32 v66, vcc_lo, v61, v15
	v_add_co_ci_u32_e64 v67, null, v62, v16, vcc_lo
	v_add_co_u32 v68, vcc_lo, v64, v63
	v_add_co_ci_u32_e64 v69, null, 0, v65, vcc_lo
	v_add_co_u32 v66, vcc_lo, 0x280, v66
	v_add_co_ci_u32_e64 v67, null, 0, v67, vcc_lo
	v_cndmask_b32_e64 v66, v66, v68, s0
	v_cndmask_b32_e64 v67, v67, v69, s0
	global_load_dword v70, v[66:67], off
	v_add_co_u32 v66, vcc_lo, v47, v2
	v_add_co_ci_u32_e64 v67, null, 0, v48, vcc_lo
	v_lshlrev_b64 v[68:69], 3, v[66:67]
	v_lshlrev_b64 v[66:67], 2, v[66:67]
	v_add_co_u32 v68, vcc_lo, s34, v68
	v_add_co_ci_u32_e64 v69, null, s35, v69, vcc_lo
	v_add_co_u32 v66, vcc_lo, s28, v66
	v_add_co_ci_u32_e64 v67, null, s29, v67, vcc_lo
	global_store_dwordx2 v[68:69], v[31:32], off
	s_waitcnt vmcnt(0)
	global_store_dword v[66:67], v70, off
	s_or_b32 exec_lo, exec_lo, s94
	s_and_saveexec_b32 s94, s78
	s_cbranch_execz .LBB155_75
.LBB155_128:                            ;   in Loop: Header=BB155_21 Depth=1
	v_add_co_u32 v66, vcc_lo, v64, v63
	v_add_co_ci_u32_e64 v67, null, 0, v65, vcc_lo
	v_add_co_u32 v68, vcc_lo, v61, v17
	v_add_co_ci_u32_e64 v69, null, v62, v18, vcc_lo
	;; [unrolled: 2-line block ×4, first 2 shown]
	v_cndmask_b32_e64 v66, v68, v66, s0
	v_cndmask_b32_e64 v67, v69, v67, s0
	global_load_dword v70, v[66:67], off
	v_add_co_u32 v66, vcc_lo, v47, v2
	v_add_co_ci_u32_e64 v67, null, 0, v48, vcc_lo
	v_lshlrev_b64 v[68:69], 3, v[66:67]
	v_lshlrev_b64 v[66:67], 2, v[66:67]
	v_add_co_u32 v68, vcc_lo, s34, v68
	v_add_co_ci_u32_e64 v69, null, s35, v69, vcc_lo
	v_add_co_u32 v66, vcc_lo, s28, v66
	v_add_co_ci_u32_e64 v67, null, s29, v67, vcc_lo
	global_store_dwordx2 v[68:69], v[33:34], off offset:256
	s_waitcnt vmcnt(0)
	global_store_dword v[66:67], v70, off offset:128
	s_or_b32 exec_lo, exec_lo, s94
	s_and_saveexec_b32 s94, s79
	s_cbranch_execz .LBB155_76
.LBB155_129:                            ;   in Loop: Header=BB155_21 Depth=1
	v_add_co_u32 v66, vcc_lo, v64, v63
	v_add_co_ci_u32_e64 v67, null, 0, v65, vcc_lo
	v_add_co_u32 v68, vcc_lo, v61, v19
	v_add_co_ci_u32_e64 v69, null, v62, v20, vcc_lo
	;; [unrolled: 2-line block ×4, first 2 shown]
	v_cndmask_b32_e64 v66, v68, v66, s0
	v_cndmask_b32_e64 v67, v69, v67, s0
	global_load_dword v70, v[66:67], off
	v_add_co_u32 v66, vcc_lo, v47, v2
	v_add_co_ci_u32_e64 v67, null, 0, v48, vcc_lo
	v_lshlrev_b64 v[68:69], 3, v[66:67]
	v_lshlrev_b64 v[66:67], 2, v[66:67]
	v_add_co_u32 v68, vcc_lo, s34, v68
	v_add_co_ci_u32_e64 v69, null, s35, v69, vcc_lo
	v_add_co_u32 v66, vcc_lo, s28, v66
	v_add_co_ci_u32_e64 v67, null, s29, v67, vcc_lo
	global_store_dwordx2 v[68:69], v[35:36], off offset:512
	s_waitcnt vmcnt(0)
	global_store_dword v[66:67], v70, off offset:256
	s_or_b32 exec_lo, exec_lo, s94
	s_and_saveexec_b32 s94, s80
	s_cbranch_execz .LBB155_77
.LBB155_130:                            ;   in Loop: Header=BB155_21 Depth=1
	v_add_co_u32 v66, vcc_lo, v64, v63
	v_add_co_ci_u32_e64 v67, null, 0, v65, vcc_lo
	v_add_co_u32 v68, vcc_lo, v61, v21
	v_add_co_ci_u32_e64 v69, null, v62, v22, vcc_lo
	;; [unrolled: 2-line block ×4, first 2 shown]
	v_cndmask_b32_e64 v66, v68, v66, s0
	v_cndmask_b32_e64 v67, v69, v67, s0
	global_load_dword v70, v[66:67], off
	v_add_co_u32 v66, vcc_lo, v47, v2
	v_add_co_ci_u32_e64 v67, null, 0, v48, vcc_lo
	v_lshlrev_b64 v[68:69], 3, v[66:67]
	v_lshlrev_b64 v[66:67], 2, v[66:67]
	v_add_co_u32 v68, vcc_lo, s34, v68
	v_add_co_ci_u32_e64 v69, null, s35, v69, vcc_lo
	v_add_co_u32 v66, vcc_lo, s28, v66
	v_add_co_ci_u32_e64 v67, null, s29, v67, vcc_lo
	global_store_dwordx2 v[68:69], v[37:38], off offset:768
	s_waitcnt vmcnt(0)
	global_store_dword v[66:67], v70, off offset:384
	s_or_b32 exec_lo, exec_lo, s94
	s_and_saveexec_b32 s94, s81
	s_cbranch_execz .LBB155_78
.LBB155_131:                            ;   in Loop: Header=BB155_21 Depth=1
	v_add_co_u32 v66, vcc_lo, v64, v63
	v_add_co_ci_u32_e64 v67, null, 0, v65, vcc_lo
	v_add_co_u32 v68, vcc_lo, v61, v23
	v_add_co_ci_u32_e64 v69, null, v62, v24, vcc_lo
	;; [unrolled: 2-line block ×4, first 2 shown]
	v_cndmask_b32_e64 v66, v68, v66, s0
	v_cndmask_b32_e64 v67, v69, v67, s0
	global_load_dword v70, v[66:67], off
	v_add_co_u32 v66, vcc_lo, v47, v2
	v_add_co_ci_u32_e64 v67, null, 0, v48, vcc_lo
	v_lshlrev_b64 v[68:69], 3, v[66:67]
	v_lshlrev_b64 v[66:67], 2, v[66:67]
	v_add_co_u32 v68, vcc_lo, s34, v68
	v_add_co_ci_u32_e64 v69, null, s35, v69, vcc_lo
	v_add_co_u32 v66, vcc_lo, s28, v66
	v_add_co_ci_u32_e64 v67, null, s29, v67, vcc_lo
	global_store_dwordx2 v[68:69], v[39:40], off offset:1024
	s_waitcnt vmcnt(0)
	global_store_dword v[66:67], v70, off offset:512
	s_or_b32 exec_lo, exec_lo, s94
	s_and_saveexec_b32 s94, s82
	s_cbranch_execz .LBB155_79
.LBB155_132:                            ;   in Loop: Header=BB155_21 Depth=1
	v_add_co_u32 v66, vcc_lo, v64, v63
	v_add_co_ci_u32_e64 v67, null, 0, v65, vcc_lo
	v_add_co_u32 v68, vcc_lo, v61, v25
	v_add_co_ci_u32_e64 v69, null, v62, v26, vcc_lo
	v_cndmask_b32_e64 v66, v68, v66, s0
	v_cndmask_b32_e64 v67, v69, v67, s0
	global_load_dword v70, v[66:67], off offset:640
	v_add_co_u32 v66, vcc_lo, v47, v2
	v_add_co_ci_u32_e64 v67, null, 0, v48, vcc_lo
	v_lshlrev_b64 v[68:69], 3, v[66:67]
	v_lshlrev_b64 v[66:67], 2, v[66:67]
	v_add_co_u32 v68, vcc_lo, s34, v68
	v_add_co_ci_u32_e64 v69, null, s35, v69, vcc_lo
	v_add_co_u32 v66, vcc_lo, s28, v66
	v_add_co_ci_u32_e64 v67, null, s29, v67, vcc_lo
	global_store_dwordx2 v[68:69], v[41:42], off offset:1280
	s_waitcnt vmcnt(0)
	global_store_dword v[66:67], v70, off offset:640
	s_or_b32 exec_lo, exec_lo, s94
	s_and_saveexec_b32 s94, s83
	s_cbranch_execz .LBB155_80
.LBB155_133:                            ;   in Loop: Header=BB155_21 Depth=1
	v_add_co_u32 v66, vcc_lo, v64, v63
	v_add_co_ci_u32_e64 v67, null, 0, v65, vcc_lo
	v_add_co_u32 v68, vcc_lo, v61, v27
	v_add_co_ci_u32_e64 v69, null, v62, v28, vcc_lo
	;; [unrolled: 2-line block ×4, first 2 shown]
	v_cndmask_b32_e64 v66, v68, v66, s0
	v_cndmask_b32_e64 v67, v69, v67, s0
	global_load_dword v70, v[66:67], off
	v_add_co_u32 v66, vcc_lo, v47, v2
	v_add_co_ci_u32_e64 v67, null, 0, v48, vcc_lo
	v_lshlrev_b64 v[68:69], 3, v[66:67]
	v_lshlrev_b64 v[66:67], 2, v[66:67]
	v_add_co_u32 v68, vcc_lo, s34, v68
	v_add_co_ci_u32_e64 v69, null, s35, v69, vcc_lo
	v_add_co_u32 v66, vcc_lo, s28, v66
	v_add_co_ci_u32_e64 v67, null, s29, v67, vcc_lo
	global_store_dwordx2 v[68:69], v[43:44], off offset:1536
	s_waitcnt vmcnt(0)
	global_store_dword v[66:67], v70, off offset:768
	s_or_b32 exec_lo, exec_lo, s94
	s_and_saveexec_b32 s94, s8
	s_cbranch_execnz .LBB155_81
	s_branch .LBB155_82
.LBB155_134:                            ;   in Loop: Header=BB155_21 Depth=1
	v_add_co_u32 v66, vcc_lo, v61, v15
	v_add_co_ci_u32_e64 v67, null, v62, v16, vcc_lo
	v_add_co_u32 v68, vcc_lo, v64, v63
	v_add_co_ci_u32_e64 v69, null, 0, v65, vcc_lo
	;; [unrolled: 2-line block ×3, first 2 shown]
	v_cndmask_b32_e64 v66, v66, v68, s0
	v_cndmask_b32_e64 v67, v67, v69, s0
	global_load_dword v70, v[66:67], off
	v_add_co_u32 v66, vcc_lo, v47, v2
	v_add_co_ci_u32_e64 v67, null, 0, v48, vcc_lo
	v_lshlrev_b64 v[68:69], 3, v[66:67]
	v_lshlrev_b64 v[66:67], 2, v[66:67]
	v_add_co_u32 v68, vcc_lo, s34, v68
	v_add_co_ci_u32_e64 v69, null, s35, v69, vcc_lo
	v_add_co_u32 v66, vcc_lo, s28, v66
	v_add_co_ci_u32_e64 v67, null, s29, v67, vcc_lo
	global_store_dwordx2 v[68:69], v[31:32], off
	s_waitcnt vmcnt(0)
	global_store_dword v[66:67], v70, off
	s_or_b32 exec_lo, exec_lo, s94
	s_and_saveexec_b32 s94, s85
	s_cbranch_execz .LBB155_84
.LBB155_135:                            ;   in Loop: Header=BB155_21 Depth=1
	v_add_co_u32 v66, vcc_lo, v64, v63
	v_add_co_ci_u32_e64 v67, null, 0, v65, vcc_lo
	v_add_co_u32 v68, vcc_lo, v61, v17
	v_add_co_ci_u32_e64 v69, null, v62, v18, vcc_lo
	;; [unrolled: 2-line block ×4, first 2 shown]
	v_cndmask_b32_e64 v66, v68, v66, s0
	v_cndmask_b32_e64 v67, v69, v67, s0
	global_load_dword v70, v[66:67], off
	v_add_co_u32 v66, vcc_lo, v47, v2
	v_add_co_ci_u32_e64 v67, null, 0, v48, vcc_lo
	v_lshlrev_b64 v[68:69], 3, v[66:67]
	v_lshlrev_b64 v[66:67], 2, v[66:67]
	v_add_co_u32 v68, vcc_lo, s34, v68
	v_add_co_ci_u32_e64 v69, null, s35, v69, vcc_lo
	v_add_co_u32 v66, vcc_lo, s28, v66
	v_add_co_ci_u32_e64 v67, null, s29, v67, vcc_lo
	global_store_dwordx2 v[68:69], v[33:34], off offset:256
	s_waitcnt vmcnt(0)
	global_store_dword v[66:67], v70, off offset:128
	s_or_b32 exec_lo, exec_lo, s94
	s_and_saveexec_b32 s94, s86
	s_cbranch_execz .LBB155_85
.LBB155_136:                            ;   in Loop: Header=BB155_21 Depth=1
	v_add_co_u32 v66, vcc_lo, v64, v63
	v_add_co_ci_u32_e64 v67, null, 0, v65, vcc_lo
	v_add_co_u32 v68, vcc_lo, v61, v19
	v_add_co_ci_u32_e64 v69, null, v62, v20, vcc_lo
	;; [unrolled: 2-line block ×4, first 2 shown]
	v_cndmask_b32_e64 v66, v68, v66, s0
	v_cndmask_b32_e64 v67, v69, v67, s0
	global_load_dword v70, v[66:67], off
	v_add_co_u32 v66, vcc_lo, v47, v2
	v_add_co_ci_u32_e64 v67, null, 0, v48, vcc_lo
	v_lshlrev_b64 v[68:69], 3, v[66:67]
	v_lshlrev_b64 v[66:67], 2, v[66:67]
	v_add_co_u32 v68, vcc_lo, s34, v68
	v_add_co_ci_u32_e64 v69, null, s35, v69, vcc_lo
	v_add_co_u32 v66, vcc_lo, s28, v66
	v_add_co_ci_u32_e64 v67, null, s29, v67, vcc_lo
	global_store_dwordx2 v[68:69], v[35:36], off offset:512
	s_waitcnt vmcnt(0)
	global_store_dword v[66:67], v70, off offset:256
	s_or_b32 exec_lo, exec_lo, s94
	s_and_saveexec_b32 s94, s87
	s_cbranch_execz .LBB155_86
.LBB155_137:                            ;   in Loop: Header=BB155_21 Depth=1
	v_add_co_u32 v66, vcc_lo, v64, v63
	v_add_co_ci_u32_e64 v67, null, 0, v65, vcc_lo
	v_add_co_u32 v68, vcc_lo, v61, v21
	v_add_co_ci_u32_e64 v69, null, v62, v22, vcc_lo
	;; [unrolled: 2-line block ×4, first 2 shown]
	v_cndmask_b32_e64 v66, v68, v66, s0
	v_cndmask_b32_e64 v67, v69, v67, s0
	global_load_dword v70, v[66:67], off
	v_add_co_u32 v66, vcc_lo, v47, v2
	v_add_co_ci_u32_e64 v67, null, 0, v48, vcc_lo
	v_lshlrev_b64 v[68:69], 3, v[66:67]
	v_lshlrev_b64 v[66:67], 2, v[66:67]
	v_add_co_u32 v68, vcc_lo, s34, v68
	v_add_co_ci_u32_e64 v69, null, s35, v69, vcc_lo
	v_add_co_u32 v66, vcc_lo, s28, v66
	v_add_co_ci_u32_e64 v67, null, s29, v67, vcc_lo
	global_store_dwordx2 v[68:69], v[37:38], off offset:768
	s_waitcnt vmcnt(0)
	global_store_dword v[66:67], v70, off offset:384
	s_or_b32 exec_lo, exec_lo, s94
	s_and_saveexec_b32 s94, s88
	s_cbranch_execz .LBB155_87
.LBB155_138:                            ;   in Loop: Header=BB155_21 Depth=1
	v_add_co_u32 v66, vcc_lo, v64, v63
	v_add_co_ci_u32_e64 v67, null, 0, v65, vcc_lo
	v_add_co_u32 v68, vcc_lo, v61, v23
	v_add_co_ci_u32_e64 v69, null, v62, v24, vcc_lo
	;; [unrolled: 2-line block ×4, first 2 shown]
	v_cndmask_b32_e64 v66, v68, v66, s0
	v_cndmask_b32_e64 v67, v69, v67, s0
	global_load_dword v70, v[66:67], off
	v_add_co_u32 v66, vcc_lo, v47, v2
	v_add_co_ci_u32_e64 v67, null, 0, v48, vcc_lo
	v_lshlrev_b64 v[68:69], 3, v[66:67]
	v_lshlrev_b64 v[66:67], 2, v[66:67]
	v_add_co_u32 v68, vcc_lo, s34, v68
	v_add_co_ci_u32_e64 v69, null, s35, v69, vcc_lo
	v_add_co_u32 v66, vcc_lo, s28, v66
	v_add_co_ci_u32_e64 v67, null, s29, v67, vcc_lo
	global_store_dwordx2 v[68:69], v[39:40], off offset:1024
	s_waitcnt vmcnt(0)
	global_store_dword v[66:67], v70, off offset:512
	s_or_b32 exec_lo, exec_lo, s94
	s_and_saveexec_b32 s94, s89
	s_cbranch_execz .LBB155_88
.LBB155_139:                            ;   in Loop: Header=BB155_21 Depth=1
	v_add_co_u32 v66, vcc_lo, v64, v63
	v_add_co_ci_u32_e64 v67, null, 0, v65, vcc_lo
	v_add_co_u32 v68, vcc_lo, v61, v25
	v_add_co_ci_u32_e64 v69, null, v62, v26, vcc_lo
	;; [unrolled: 2-line block ×4, first 2 shown]
	v_cndmask_b32_e64 v66, v68, v66, s0
	v_cndmask_b32_e64 v67, v69, v67, s0
	global_load_dword v70, v[66:67], off
	v_add_co_u32 v66, vcc_lo, v47, v2
	v_add_co_ci_u32_e64 v67, null, 0, v48, vcc_lo
	v_lshlrev_b64 v[68:69], 3, v[66:67]
	v_lshlrev_b64 v[66:67], 2, v[66:67]
	v_add_co_u32 v68, vcc_lo, s34, v68
	v_add_co_ci_u32_e64 v69, null, s35, v69, vcc_lo
	v_add_co_u32 v66, vcc_lo, s28, v66
	v_add_co_ci_u32_e64 v67, null, s29, v67, vcc_lo
	global_store_dwordx2 v[68:69], v[41:42], off offset:1280
	s_waitcnt vmcnt(0)
	global_store_dword v[66:67], v70, off offset:640
	s_or_b32 exec_lo, exec_lo, s94
	s_and_saveexec_b32 s94, s90
	s_cbranch_execz .LBB155_89
.LBB155_140:                            ;   in Loop: Header=BB155_21 Depth=1
	v_add_co_u32 v66, vcc_lo, v64, v63
	v_add_co_ci_u32_e64 v67, null, 0, v65, vcc_lo
	v_add_co_u32 v68, vcc_lo, v61, v27
	v_add_co_ci_u32_e64 v69, null, v62, v28, vcc_lo
	v_cndmask_b32_e64 v66, v68, v66, s0
	v_cndmask_b32_e64 v67, v69, v67, s0
	global_load_dword v70, v[66:67], off offset:768
	v_add_co_u32 v66, vcc_lo, v47, v2
	v_add_co_ci_u32_e64 v67, null, 0, v48, vcc_lo
	v_lshlrev_b64 v[68:69], 3, v[66:67]
	v_lshlrev_b64 v[66:67], 2, v[66:67]
	v_add_co_u32 v68, vcc_lo, s34, v68
	v_add_co_ci_u32_e64 v69, null, s35, v69, vcc_lo
	v_add_co_u32 v66, vcc_lo, s28, v66
	v_add_co_ci_u32_e64 v67, null, s29, v67, vcc_lo
	global_store_dwordx2 v[68:69], v[43:44], off offset:1536
	s_waitcnt vmcnt(0)
	global_store_dword v[66:67], v70, off offset:768
	s_or_b32 exec_lo, exec_lo, s94
	s_and_saveexec_b32 s94, s10
	s_cbranch_execnz .LBB155_90
	s_branch .LBB155_91
.LBB155_141:                            ;   in Loop: Header=BB155_21 Depth=1
	v_add_co_u32 v66, vcc_lo, v61, v15
	v_add_co_ci_u32_e64 v67, null, v62, v16, vcc_lo
	v_add_co_u32 v68, vcc_lo, v64, v63
	v_add_co_ci_u32_e64 v69, null, 0, v65, vcc_lo
	;; [unrolled: 2-line block ×3, first 2 shown]
	v_cndmask_b32_e64 v66, v66, v68, s0
	v_cndmask_b32_e64 v67, v67, v69, s0
	global_load_dword v70, v[66:67], off
	v_add_co_u32 v66, vcc_lo, v47, v2
	v_add_co_ci_u32_e64 v67, null, 0, v48, vcc_lo
	v_lshlrev_b64 v[68:69], 3, v[66:67]
	v_lshlrev_b64 v[66:67], 2, v[66:67]
	v_add_co_u32 v68, vcc_lo, s34, v68
	v_add_co_ci_u32_e64 v69, null, s35, v69, vcc_lo
	v_add_co_u32 v66, vcc_lo, s28, v66
	v_add_co_ci_u32_e64 v67, null, s29, v67, vcc_lo
	global_store_dwordx2 v[68:69], v[31:32], off
	s_waitcnt vmcnt(0)
	global_store_dword v[66:67], v70, off
	s_or_b32 exec_lo, exec_lo, s4
	s_and_saveexec_b32 s4, s91
	s_cbranch_execz .LBB155_93
.LBB155_142:                            ;   in Loop: Header=BB155_21 Depth=1
	v_add_co_u32 v31, vcc_lo, v64, v63
	v_add_co_ci_u32_e64 v32, null, 0, v65, vcc_lo
	v_add_co_u32 v66, vcc_lo, v61, v17
	v_add_co_ci_u32_e64 v67, null, v62, v18, vcc_lo
	v_add_co_u32 v31, vcc_lo, 0x80, v31
	v_add_co_ci_u32_e64 v32, null, 0, v32, vcc_lo
	v_add_co_u32 v66, vcc_lo, 0x380, v66
	v_add_co_ci_u32_e64 v67, null, 0, v67, vcc_lo
	v_cndmask_b32_e64 v31, v66, v31, s0
	v_cndmask_b32_e64 v32, v67, v32, s0
	global_load_dword v68, v[31:32], off
	v_add_co_u32 v31, vcc_lo, v47, v2
	v_add_co_ci_u32_e64 v32, null, 0, v48, vcc_lo
	v_lshlrev_b64 v[66:67], 3, v[31:32]
	v_lshlrev_b64 v[31:32], 2, v[31:32]
	v_add_co_u32 v66, vcc_lo, s34, v66
	v_add_co_ci_u32_e64 v67, null, s35, v67, vcc_lo
	v_add_co_u32 v31, vcc_lo, s28, v31
	v_add_co_ci_u32_e64 v32, null, s29, v32, vcc_lo
	global_store_dwordx2 v[66:67], v[33:34], off offset:256
	s_waitcnt vmcnt(0)
	global_store_dword v[31:32], v68, off offset:128
	s_or_b32 exec_lo, exec_lo, s4
	s_and_saveexec_b32 s4, s92
	s_cbranch_execz .LBB155_94
.LBB155_143:                            ;   in Loop: Header=BB155_21 Depth=1
	v_add_co_u32 v31, vcc_lo, v64, v63
	v_add_co_ci_u32_e64 v32, null, 0, v65, vcc_lo
	v_add_co_u32 v33, vcc_lo, v61, v19
	v_add_co_ci_u32_e64 v34, null, v62, v20, vcc_lo
	;; [unrolled: 2-line block ×4, first 2 shown]
	v_cndmask_b32_e64 v31, v33, v31, s0
	v_cndmask_b32_e64 v32, v34, v32, s0
	global_load_dword v66, v[31:32], off
	v_add_co_u32 v31, vcc_lo, v47, v2
	v_add_co_ci_u32_e64 v32, null, 0, v48, vcc_lo
	v_lshlrev_b64 v[33:34], 3, v[31:32]
	v_lshlrev_b64 v[31:32], 2, v[31:32]
	v_add_co_u32 v33, vcc_lo, s34, v33
	v_add_co_ci_u32_e64 v34, null, s35, v34, vcc_lo
	v_add_co_u32 v31, vcc_lo, s28, v31
	v_add_co_ci_u32_e64 v32, null, s29, v32, vcc_lo
	global_store_dwordx2 v[33:34], v[35:36], off offset:512
	s_waitcnt vmcnt(0)
	global_store_dword v[31:32], v66, off offset:256
	s_or_b32 exec_lo, exec_lo, s4
	s_and_saveexec_b32 s4, s11
	s_cbranch_execz .LBB155_95
.LBB155_144:                            ;   in Loop: Header=BB155_21 Depth=1
	v_add_co_u32 v31, vcc_lo, v64, v63
	v_add_co_ci_u32_e64 v32, null, 0, v65, vcc_lo
	v_add_co_u32 v33, vcc_lo, v61, v21
	v_add_co_ci_u32_e64 v34, null, v62, v22, vcc_lo
	;; [unrolled: 2-line block ×4, first 2 shown]
	v_cndmask_b32_e64 v31, v33, v31, s0
	v_cndmask_b32_e64 v32, v34, v32, s0
	global_load_dword v35, v[31:32], off
	v_add_co_u32 v31, vcc_lo, v47, v2
	v_add_co_ci_u32_e64 v32, null, 0, v48, vcc_lo
	v_lshlrev_b64 v[33:34], 3, v[31:32]
	v_lshlrev_b64 v[31:32], 2, v[31:32]
	v_add_co_u32 v33, vcc_lo, s34, v33
	v_add_co_ci_u32_e64 v34, null, s35, v34, vcc_lo
	v_add_co_u32 v31, vcc_lo, s28, v31
	v_add_co_ci_u32_e64 v32, null, s29, v32, vcc_lo
	global_store_dwordx2 v[33:34], v[37:38], off offset:768
	s_waitcnt vmcnt(0)
	global_store_dword v[31:32], v35, off offset:384
	s_or_b32 exec_lo, exec_lo, s4
	s_and_saveexec_b32 s4, s12
	s_cbranch_execz .LBB155_96
.LBB155_145:                            ;   in Loop: Header=BB155_21 Depth=1
	v_add_co_u32 v31, vcc_lo, v64, v63
	v_add_co_ci_u32_e64 v32, null, 0, v65, vcc_lo
	v_add_co_u32 v33, vcc_lo, v61, v23
	v_add_co_ci_u32_e64 v34, null, v62, v24, vcc_lo
	;; [unrolled: 2-line block ×4, first 2 shown]
	v_cndmask_b32_e64 v31, v33, v31, s0
	v_cndmask_b32_e64 v32, v34, v32, s0
	global_load_dword v35, v[31:32], off
	v_add_co_u32 v31, vcc_lo, v47, v2
	v_add_co_ci_u32_e64 v32, null, 0, v48, vcc_lo
	v_lshlrev_b64 v[33:34], 3, v[31:32]
	v_lshlrev_b64 v[31:32], 2, v[31:32]
	v_add_co_u32 v33, vcc_lo, s34, v33
	v_add_co_ci_u32_e64 v34, null, s35, v34, vcc_lo
	v_add_co_u32 v31, vcc_lo, s28, v31
	v_add_co_ci_u32_e64 v32, null, s29, v32, vcc_lo
	global_store_dwordx2 v[33:34], v[39:40], off offset:1024
	s_waitcnt vmcnt(0)
	global_store_dword v[31:32], v35, off offset:512
	s_or_b32 exec_lo, exec_lo, s4
	s_and_saveexec_b32 s4, s13
	s_cbranch_execz .LBB155_97
.LBB155_146:                            ;   in Loop: Header=BB155_21 Depth=1
	v_add_co_u32 v31, vcc_lo, v64, v63
	v_add_co_ci_u32_e64 v32, null, 0, v65, vcc_lo
	v_add_co_u32 v33, vcc_lo, v61, v25
	v_add_co_ci_u32_e64 v34, null, v62, v26, vcc_lo
	;; [unrolled: 2-line block ×4, first 2 shown]
	v_cndmask_b32_e64 v31, v33, v31, s0
	v_cndmask_b32_e64 v32, v34, v32, s0
	global_load_dword v35, v[31:32], off
	v_add_co_u32 v31, vcc_lo, v47, v2
	v_add_co_ci_u32_e64 v32, null, 0, v48, vcc_lo
	v_lshlrev_b64 v[33:34], 3, v[31:32]
	v_lshlrev_b64 v[31:32], 2, v[31:32]
	v_add_co_u32 v33, vcc_lo, s34, v33
	v_add_co_ci_u32_e64 v34, null, s35, v34, vcc_lo
	v_add_co_u32 v31, vcc_lo, s28, v31
	v_add_co_ci_u32_e64 v32, null, s29, v32, vcc_lo
	global_store_dwordx2 v[33:34], v[41:42], off offset:1280
	s_waitcnt vmcnt(0)
	global_store_dword v[31:32], v35, off offset:640
	s_or_b32 exec_lo, exec_lo, s4
	s_and_saveexec_b32 s4, s14
	s_cbranch_execz .LBB155_98
.LBB155_147:                            ;   in Loop: Header=BB155_21 Depth=1
	v_add_co_u32 v31, vcc_lo, v64, v63
	v_add_co_ci_u32_e64 v32, null, 0, v65, vcc_lo
	v_add_co_u32 v33, vcc_lo, v61, v27
	v_add_co_ci_u32_e64 v34, null, v62, v28, vcc_lo
	;; [unrolled: 2-line block ×4, first 2 shown]
	v_cndmask_b32_e64 v31, v33, v31, s0
	v_cndmask_b32_e64 v32, v34, v32, s0
	global_load_dword v35, v[31:32], off
	v_add_co_u32 v31, vcc_lo, v47, v2
	v_add_co_ci_u32_e64 v32, null, 0, v48, vcc_lo
	v_lshlrev_b64 v[33:34], 3, v[31:32]
	v_lshlrev_b64 v[31:32], 2, v[31:32]
	v_add_co_u32 v33, vcc_lo, s34, v33
	v_add_co_ci_u32_e64 v34, null, s35, v34, vcc_lo
	v_add_co_u32 v31, vcc_lo, s28, v31
	v_add_co_ci_u32_e64 v32, null, s29, v32, vcc_lo
	global_store_dwordx2 v[33:34], v[43:44], off offset:1536
	s_waitcnt vmcnt(0)
	global_store_dword v[31:32], v35, off offset:768
	s_or_b32 exec_lo, exec_lo, s4
	s_and_saveexec_b32 s4, s9
	s_cbranch_execz .LBB155_20
.LBB155_148:                            ;   in Loop: Header=BB155_21 Depth=1
	v_add_co_u32 v31, vcc_lo, v64, v63
	v_add_co_ci_u32_e64 v32, null, 0, v65, vcc_lo
	v_add_co_u32 v33, vcc_lo, v61, v29
	v_add_co_ci_u32_e64 v34, null, v62, v30, vcc_lo
	v_cndmask_b32_e64 v31, v33, v31, s0
	v_cndmask_b32_e64 v32, v34, v32, s0
	global_load_dword v35, v[31:32], off offset:896
	v_add_co_u32 v31, vcc_lo, v47, v2
	v_add_co_ci_u32_e64 v32, null, 0, v48, vcc_lo
	v_lshlrev_b64 v[33:34], 3, v[31:32]
	v_lshlrev_b64 v[31:32], 2, v[31:32]
	v_add_co_u32 v33, vcc_lo, s34, v33
	v_add_co_ci_u32_e64 v34, null, s35, v34, vcc_lo
	v_add_co_u32 v31, vcc_lo, s28, v31
	v_add_co_ci_u32_e64 v32, null, s29, v32, vcc_lo
	global_store_dwordx2 v[33:34], v[45:46], off offset:1792
	s_waitcnt vmcnt(0)
	global_store_dword v[31:32], v35, off offset:896
	s_branch .LBB155_20
.LBB155_149:
	s_endpgm
	.section	.rodata,"a",@progbits
	.p2align	6, 0x0
	.amdhsa_kernel _ZN9rocsparseL35bsr2csr_block_per_row_33_256_kernelILj1024ELj256ELj32EfllEEv20rocsparse_direction_T4_S2_21rocsparse_index_base_PKT2_PKT3_PKS2_S2_S3_PS4_PS7_PS2_
		.amdhsa_group_segment_fixed_size 0
		.amdhsa_private_segment_fixed_size 0
		.amdhsa_kernarg_size 96
		.amdhsa_user_sgpr_count 6
		.amdhsa_user_sgpr_private_segment_buffer 1
		.amdhsa_user_sgpr_dispatch_ptr 0
		.amdhsa_user_sgpr_queue_ptr 0
		.amdhsa_user_sgpr_kernarg_segment_ptr 1
		.amdhsa_user_sgpr_dispatch_id 0
		.amdhsa_user_sgpr_flat_scratch_init 0
		.amdhsa_user_sgpr_private_segment_size 0
		.amdhsa_wavefront_size32 1
		.amdhsa_uses_dynamic_stack 0
		.amdhsa_system_sgpr_private_segment_wavefront_offset 0
		.amdhsa_system_sgpr_workgroup_id_x 1
		.amdhsa_system_sgpr_workgroup_id_y 0
		.amdhsa_system_sgpr_workgroup_id_z 0
		.amdhsa_system_sgpr_workgroup_info 0
		.amdhsa_system_vgpr_workitem_id 0
		.amdhsa_next_free_vgpr 71
		.amdhsa_next_free_sgpr 100
		.amdhsa_reserve_vcc 1
		.amdhsa_reserve_flat_scratch 0
		.amdhsa_float_round_mode_32 0
		.amdhsa_float_round_mode_16_64 0
		.amdhsa_float_denorm_mode_32 3
		.amdhsa_float_denorm_mode_16_64 3
		.amdhsa_dx10_clamp 1
		.amdhsa_ieee_mode 1
		.amdhsa_fp16_overflow 0
		.amdhsa_workgroup_processor_mode 1
		.amdhsa_memory_ordered 1
		.amdhsa_forward_progress 1
		.amdhsa_shared_vgpr_count 0
		.amdhsa_exception_fp_ieee_invalid_op 0
		.amdhsa_exception_fp_denorm_src 0
		.amdhsa_exception_fp_ieee_div_zero 0
		.amdhsa_exception_fp_ieee_overflow 0
		.amdhsa_exception_fp_ieee_underflow 0
		.amdhsa_exception_fp_ieee_inexact 0
		.amdhsa_exception_int_div_zero 0
	.end_amdhsa_kernel
	.section	.text._ZN9rocsparseL35bsr2csr_block_per_row_33_256_kernelILj1024ELj256ELj32EfllEEv20rocsparse_direction_T4_S2_21rocsparse_index_base_PKT2_PKT3_PKS2_S2_S3_PS4_PS7_PS2_,"axG",@progbits,_ZN9rocsparseL35bsr2csr_block_per_row_33_256_kernelILj1024ELj256ELj32EfllEEv20rocsparse_direction_T4_S2_21rocsparse_index_base_PKT2_PKT3_PKS2_S2_S3_PS4_PS7_PS2_,comdat
.Lfunc_end155:
	.size	_ZN9rocsparseL35bsr2csr_block_per_row_33_256_kernelILj1024ELj256ELj32EfllEEv20rocsparse_direction_T4_S2_21rocsparse_index_base_PKT2_PKT3_PKS2_S2_S3_PS4_PS7_PS2_, .Lfunc_end155-_ZN9rocsparseL35bsr2csr_block_per_row_33_256_kernelILj1024ELj256ELj32EfllEEv20rocsparse_direction_T4_S2_21rocsparse_index_base_PKT2_PKT3_PKS2_S2_S3_PS4_PS7_PS2_
                                        ; -- End function
	.set _ZN9rocsparseL35bsr2csr_block_per_row_33_256_kernelILj1024ELj256ELj32EfllEEv20rocsparse_direction_T4_S2_21rocsparse_index_base_PKT2_PKT3_PKS2_S2_S3_PS4_PS7_PS2_.num_vgpr, 71
	.set _ZN9rocsparseL35bsr2csr_block_per_row_33_256_kernelILj1024ELj256ELj32EfllEEv20rocsparse_direction_T4_S2_21rocsparse_index_base_PKT2_PKT3_PKS2_S2_S3_PS4_PS7_PS2_.num_agpr, 0
	.set _ZN9rocsparseL35bsr2csr_block_per_row_33_256_kernelILj1024ELj256ELj32EfllEEv20rocsparse_direction_T4_S2_21rocsparse_index_base_PKT2_PKT3_PKS2_S2_S3_PS4_PS7_PS2_.numbered_sgpr, 100
	.set _ZN9rocsparseL35bsr2csr_block_per_row_33_256_kernelILj1024ELj256ELj32EfllEEv20rocsparse_direction_T4_S2_21rocsparse_index_base_PKT2_PKT3_PKS2_S2_S3_PS4_PS7_PS2_.num_named_barrier, 0
	.set _ZN9rocsparseL35bsr2csr_block_per_row_33_256_kernelILj1024ELj256ELj32EfllEEv20rocsparse_direction_T4_S2_21rocsparse_index_base_PKT2_PKT3_PKS2_S2_S3_PS4_PS7_PS2_.private_seg_size, 0
	.set _ZN9rocsparseL35bsr2csr_block_per_row_33_256_kernelILj1024ELj256ELj32EfllEEv20rocsparse_direction_T4_S2_21rocsparse_index_base_PKT2_PKT3_PKS2_S2_S3_PS4_PS7_PS2_.uses_vcc, 1
	.set _ZN9rocsparseL35bsr2csr_block_per_row_33_256_kernelILj1024ELj256ELj32EfllEEv20rocsparse_direction_T4_S2_21rocsparse_index_base_PKT2_PKT3_PKS2_S2_S3_PS4_PS7_PS2_.uses_flat_scratch, 0
	.set _ZN9rocsparseL35bsr2csr_block_per_row_33_256_kernelILj1024ELj256ELj32EfllEEv20rocsparse_direction_T4_S2_21rocsparse_index_base_PKT2_PKT3_PKS2_S2_S3_PS4_PS7_PS2_.has_dyn_sized_stack, 0
	.set _ZN9rocsparseL35bsr2csr_block_per_row_33_256_kernelILj1024ELj256ELj32EfllEEv20rocsparse_direction_T4_S2_21rocsparse_index_base_PKT2_PKT3_PKS2_S2_S3_PS4_PS7_PS2_.has_recursion, 0
	.set _ZN9rocsparseL35bsr2csr_block_per_row_33_256_kernelILj1024ELj256ELj32EfllEEv20rocsparse_direction_T4_S2_21rocsparse_index_base_PKT2_PKT3_PKS2_S2_S3_PS4_PS7_PS2_.has_indirect_call, 0
	.section	.AMDGPU.csdata,"",@progbits
; Kernel info:
; codeLenInByte = 14780
; TotalNumSgprs: 102
; NumVgprs: 71
; ScratchSize: 0
; MemoryBound: 0
; FloatMode: 240
; IeeeMode: 1
; LDSByteSize: 0 bytes/workgroup (compile time only)
; SGPRBlocks: 0
; VGPRBlocks: 8
; NumSGPRsForWavesPerEU: 102
; NumVGPRsForWavesPerEU: 71
; Occupancy: 12
; WaveLimiterHint : 1
; COMPUTE_PGM_RSRC2:SCRATCH_EN: 0
; COMPUTE_PGM_RSRC2:USER_SGPR: 6
; COMPUTE_PGM_RSRC2:TRAP_HANDLER: 0
; COMPUTE_PGM_RSRC2:TGID_X_EN: 1
; COMPUTE_PGM_RSRC2:TGID_Y_EN: 0
; COMPUTE_PGM_RSRC2:TGID_Z_EN: 0
; COMPUTE_PGM_RSRC2:TIDIG_COMP_CNT: 0
	.section	.text._ZN9rocsparseL35bsr2csr_block_dim_equals_one_kernelILj1024E21rocsparse_complex_numIfEiiEEvT2_S3_21rocsparse_index_base_PKT0_PKT1_PKS3_S4_PS5_PS8_PS3_,"axG",@progbits,_ZN9rocsparseL35bsr2csr_block_dim_equals_one_kernelILj1024E21rocsparse_complex_numIfEiiEEvT2_S3_21rocsparse_index_base_PKT0_PKT1_PKS3_S4_PS5_PS8_PS3_,comdat
	.globl	_ZN9rocsparseL35bsr2csr_block_dim_equals_one_kernelILj1024E21rocsparse_complex_numIfEiiEEvT2_S3_21rocsparse_index_base_PKT0_PKT1_PKS3_S4_PS5_PS8_PS3_ ; -- Begin function _ZN9rocsparseL35bsr2csr_block_dim_equals_one_kernelILj1024E21rocsparse_complex_numIfEiiEEvT2_S3_21rocsparse_index_base_PKT0_PKT1_PKS3_S4_PS5_PS8_PS3_
	.p2align	8
	.type	_ZN9rocsparseL35bsr2csr_block_dim_equals_one_kernelILj1024E21rocsparse_complex_numIfEiiEEvT2_S3_21rocsparse_index_base_PKT0_PKT1_PKS3_S4_PS5_PS8_PS3_,@function
_ZN9rocsparseL35bsr2csr_block_dim_equals_one_kernelILj1024E21rocsparse_complex_numIfEiiEEvT2_S3_21rocsparse_index_base_PKT0_PKT1_PKS3_S4_PS5_PS8_PS3_: ; @_ZN9rocsparseL35bsr2csr_block_dim_equals_one_kernelILj1024E21rocsparse_complex_numIfEiiEEvT2_S3_21rocsparse_index_base_PKT0_PKT1_PKS3_S4_PS5_PS8_PS3_
; %bb.0:
	s_clause 0x6
	s_load_dword s0, s[4:5], 0x0
	s_load_dword s16, s[4:5], 0x8
	s_load_dwordx4 s[8:11], s[4:5], 0x10
	s_load_dwordx2 s[2:3], s[4:5], 0x20
	s_load_dwordx2 s[12:13], s[4:5], 0x40
	s_load_dword s17, s[4:5], 0x28
	s_load_dwordx2 s[14:15], s[4:5], 0x30
	v_lshl_or_b32 v0, s6, 10, v0
	s_mov_b32 s1, exec_lo
	s_waitcnt lgkmcnt(0)
	v_cmpx_gt_i32_e64 s0, v0
	s_cbranch_execz .LBB156_6
; %bb.1:
	s_load_dwordx2 s[6:7], s[4:5], 0x38
	s_mov_b32 s18, exec_lo
                                        ; implicit-def: $sgpr19
	v_cmpx_ne_u32_e32 0, v0
	s_xor_b32 s18, exec_lo, s18
; %bb.2:
	s_sub_i32 s19, s17, s16
; %bb.3:
	s_or_saveexec_b32 s18, s18
	v_mov_b32_e32 v2, s19
	s_xor_b32 exec_lo, exec_lo, s18
	s_cbranch_execz .LBB156_5
; %bb.4:
	s_load_dword s19, s[10:11], 0x0
	s_sub_i32 s20, s17, s16
	v_mov_b32_e32 v1, 0
	v_mov_b32_e32 v2, s20
	s_waitcnt lgkmcnt(0)
	s_add_i32 s19, s20, s19
	v_mov_b32_e32 v3, s19
	global_store_dword v1, v3, s[6:7]
.LBB156_5:
	s_or_b32 exec_lo, exec_lo, s18
	v_ashrrev_i32_e32 v1, 31, v0
	v_lshlrev_b64 v[3:4], 2, v[0:1]
	v_add_co_u32 v5, vcc_lo, s10, v3
	v_add_co_ci_u32_e64 v6, null, s11, v4, vcc_lo
	global_load_dword v1, v[5:6], off offset:4
	s_waitcnt vmcnt(0)
	v_add_nc_u32_e32 v5, v2, v1
	s_waitcnt lgkmcnt(0)
	v_add_co_u32 v1, vcc_lo, s6, v3
	v_add_co_ci_u32_e64 v2, null, s7, v4, vcc_lo
	global_store_dword v[1:2], v5, off offset:4
.LBB156_6:
	s_or_b32 exec_lo, exec_lo, s1
	s_ashr_i32 s1, s0, 31
	s_lshl_b64 s[0:1], s[0:1], 2
	s_add_u32 s0, s10, s0
	s_addc_u32 s1, s11, s1
	s_clause 0x1
	s_load_dword s0, s[0:1], 0x0
	s_load_dword s1, s[10:11], 0x0
	s_waitcnt lgkmcnt(0)
	s_sub_i32 s1, s0, s1
	s_mov_b32 s0, exec_lo
	v_cmpx_gt_i32_e64 s1, v0
	s_cbranch_execz .LBB156_9
; %bb.7:
	s_load_dword s0, s[4:5], 0x48
	s_sub_i32 s4, s17, s16
	s_mov_b32 s6, 0
	s_waitcnt lgkmcnt(0)
	s_lshl_b32 s5, s0, 10
	s_inst_prefetch 0x1
	.p2align	6
.LBB156_8:                              ; =>This Inner Loop Header: Depth=1
	v_ashrrev_i32_e32 v1, 31, v0
	v_lshlrev_b64 v[2:3], 2, v[0:1]
	v_lshlrev_b64 v[6:7], 3, v[0:1]
	v_add_nc_u32_e32 v0, s5, v0
	v_add_co_u32 v4, vcc_lo, s2, v2
	v_add_co_ci_u32_e64 v5, null, s3, v3, vcc_lo
	v_add_co_u32 v1, s0, s12, v2
	v_add_co_ci_u32_e64 v2, null, s13, v3, s0
	global_load_dword v8, v[4:5], off
	v_add_co_u32 v4, vcc_lo, s8, v6
	v_add_co_ci_u32_e64 v5, null, s9, v7, vcc_lo
	v_cmp_le_i32_e32 vcc_lo, s1, v0
	v_add_co_u32 v6, s0, s14, v6
	global_load_dwordx2 v[4:5], v[4:5], off
	v_add_co_ci_u32_e64 v7, null, s15, v7, s0
	s_or_b32 s6, vcc_lo, s6
	s_waitcnt vmcnt(1)
	v_add_nc_u32_e32 v3, s4, v8
	global_store_dword v[1:2], v3, off
	s_waitcnt vmcnt(0)
	global_store_dwordx2 v[6:7], v[4:5], off
	s_andn2_b32 exec_lo, exec_lo, s6
	s_cbranch_execnz .LBB156_8
.LBB156_9:
	s_inst_prefetch 0x2
	s_endpgm
	.section	.rodata,"a",@progbits
	.p2align	6, 0x0
	.amdhsa_kernel _ZN9rocsparseL35bsr2csr_block_dim_equals_one_kernelILj1024E21rocsparse_complex_numIfEiiEEvT2_S3_21rocsparse_index_base_PKT0_PKT1_PKS3_S4_PS5_PS8_PS3_
		.amdhsa_group_segment_fixed_size 0
		.amdhsa_private_segment_fixed_size 0
		.amdhsa_kernarg_size 328
		.amdhsa_user_sgpr_count 6
		.amdhsa_user_sgpr_private_segment_buffer 1
		.amdhsa_user_sgpr_dispatch_ptr 0
		.amdhsa_user_sgpr_queue_ptr 0
		.amdhsa_user_sgpr_kernarg_segment_ptr 1
		.amdhsa_user_sgpr_dispatch_id 0
		.amdhsa_user_sgpr_flat_scratch_init 0
		.amdhsa_user_sgpr_private_segment_size 0
		.amdhsa_wavefront_size32 1
		.amdhsa_uses_dynamic_stack 0
		.amdhsa_system_sgpr_private_segment_wavefront_offset 0
		.amdhsa_system_sgpr_workgroup_id_x 1
		.amdhsa_system_sgpr_workgroup_id_y 0
		.amdhsa_system_sgpr_workgroup_id_z 0
		.amdhsa_system_sgpr_workgroup_info 0
		.amdhsa_system_vgpr_workitem_id 0
		.amdhsa_next_free_vgpr 9
		.amdhsa_next_free_sgpr 21
		.amdhsa_reserve_vcc 1
		.amdhsa_reserve_flat_scratch 0
		.amdhsa_float_round_mode_32 0
		.amdhsa_float_round_mode_16_64 0
		.amdhsa_float_denorm_mode_32 3
		.amdhsa_float_denorm_mode_16_64 3
		.amdhsa_dx10_clamp 1
		.amdhsa_ieee_mode 1
		.amdhsa_fp16_overflow 0
		.amdhsa_workgroup_processor_mode 1
		.amdhsa_memory_ordered 1
		.amdhsa_forward_progress 1
		.amdhsa_shared_vgpr_count 0
		.amdhsa_exception_fp_ieee_invalid_op 0
		.amdhsa_exception_fp_denorm_src 0
		.amdhsa_exception_fp_ieee_div_zero 0
		.amdhsa_exception_fp_ieee_overflow 0
		.amdhsa_exception_fp_ieee_underflow 0
		.amdhsa_exception_fp_ieee_inexact 0
		.amdhsa_exception_int_div_zero 0
	.end_amdhsa_kernel
	.section	.text._ZN9rocsparseL35bsr2csr_block_dim_equals_one_kernelILj1024E21rocsparse_complex_numIfEiiEEvT2_S3_21rocsparse_index_base_PKT0_PKT1_PKS3_S4_PS5_PS8_PS3_,"axG",@progbits,_ZN9rocsparseL35bsr2csr_block_dim_equals_one_kernelILj1024E21rocsparse_complex_numIfEiiEEvT2_S3_21rocsparse_index_base_PKT0_PKT1_PKS3_S4_PS5_PS8_PS3_,comdat
.Lfunc_end156:
	.size	_ZN9rocsparseL35bsr2csr_block_dim_equals_one_kernelILj1024E21rocsparse_complex_numIfEiiEEvT2_S3_21rocsparse_index_base_PKT0_PKT1_PKS3_S4_PS5_PS8_PS3_, .Lfunc_end156-_ZN9rocsparseL35bsr2csr_block_dim_equals_one_kernelILj1024E21rocsparse_complex_numIfEiiEEvT2_S3_21rocsparse_index_base_PKT0_PKT1_PKS3_S4_PS5_PS8_PS3_
                                        ; -- End function
	.set _ZN9rocsparseL35bsr2csr_block_dim_equals_one_kernelILj1024E21rocsparse_complex_numIfEiiEEvT2_S3_21rocsparse_index_base_PKT0_PKT1_PKS3_S4_PS5_PS8_PS3_.num_vgpr, 9
	.set _ZN9rocsparseL35bsr2csr_block_dim_equals_one_kernelILj1024E21rocsparse_complex_numIfEiiEEvT2_S3_21rocsparse_index_base_PKT0_PKT1_PKS3_S4_PS5_PS8_PS3_.num_agpr, 0
	.set _ZN9rocsparseL35bsr2csr_block_dim_equals_one_kernelILj1024E21rocsparse_complex_numIfEiiEEvT2_S3_21rocsparse_index_base_PKT0_PKT1_PKS3_S4_PS5_PS8_PS3_.numbered_sgpr, 21
	.set _ZN9rocsparseL35bsr2csr_block_dim_equals_one_kernelILj1024E21rocsparse_complex_numIfEiiEEvT2_S3_21rocsparse_index_base_PKT0_PKT1_PKS3_S4_PS5_PS8_PS3_.num_named_barrier, 0
	.set _ZN9rocsparseL35bsr2csr_block_dim_equals_one_kernelILj1024E21rocsparse_complex_numIfEiiEEvT2_S3_21rocsparse_index_base_PKT0_PKT1_PKS3_S4_PS5_PS8_PS3_.private_seg_size, 0
	.set _ZN9rocsparseL35bsr2csr_block_dim_equals_one_kernelILj1024E21rocsparse_complex_numIfEiiEEvT2_S3_21rocsparse_index_base_PKT0_PKT1_PKS3_S4_PS5_PS8_PS3_.uses_vcc, 1
	.set _ZN9rocsparseL35bsr2csr_block_dim_equals_one_kernelILj1024E21rocsparse_complex_numIfEiiEEvT2_S3_21rocsparse_index_base_PKT0_PKT1_PKS3_S4_PS5_PS8_PS3_.uses_flat_scratch, 0
	.set _ZN9rocsparseL35bsr2csr_block_dim_equals_one_kernelILj1024E21rocsparse_complex_numIfEiiEEvT2_S3_21rocsparse_index_base_PKT0_PKT1_PKS3_S4_PS5_PS8_PS3_.has_dyn_sized_stack, 0
	.set _ZN9rocsparseL35bsr2csr_block_dim_equals_one_kernelILj1024E21rocsparse_complex_numIfEiiEEvT2_S3_21rocsparse_index_base_PKT0_PKT1_PKS3_S4_PS5_PS8_PS3_.has_recursion, 0
	.set _ZN9rocsparseL35bsr2csr_block_dim_equals_one_kernelILj1024E21rocsparse_complex_numIfEiiEEvT2_S3_21rocsparse_index_base_PKT0_PKT1_PKS3_S4_PS5_PS8_PS3_.has_indirect_call, 0
	.section	.AMDGPU.csdata,"",@progbits
; Kernel info:
; codeLenInByte = 540
; TotalNumSgprs: 23
; NumVgprs: 9
; ScratchSize: 0
; MemoryBound: 0
; FloatMode: 240
; IeeeMode: 1
; LDSByteSize: 0 bytes/workgroup (compile time only)
; SGPRBlocks: 0
; VGPRBlocks: 1
; NumSGPRsForWavesPerEU: 23
; NumVGPRsForWavesPerEU: 9
; Occupancy: 16
; WaveLimiterHint : 0
; COMPUTE_PGM_RSRC2:SCRATCH_EN: 0
; COMPUTE_PGM_RSRC2:USER_SGPR: 6
; COMPUTE_PGM_RSRC2:TRAP_HANDLER: 0
; COMPUTE_PGM_RSRC2:TGID_X_EN: 1
; COMPUTE_PGM_RSRC2:TGID_Y_EN: 0
; COMPUTE_PGM_RSRC2:TGID_Z_EN: 0
; COMPUTE_PGM_RSRC2:TIDIG_COMP_CNT: 0
	.section	.text._ZN9rocsparseL32bsr2csr_block_per_row_2_7_kernelILj256ELj2E21rocsparse_complex_numIfEiiEEv20rocsparse_direction_T3_S4_21rocsparse_index_base_PKT1_PKT2_PKS4_S4_S5_PS6_PS9_PS4_,"axG",@progbits,_ZN9rocsparseL32bsr2csr_block_per_row_2_7_kernelILj256ELj2E21rocsparse_complex_numIfEiiEEv20rocsparse_direction_T3_S4_21rocsparse_index_base_PKT1_PKT2_PKS4_S4_S5_PS6_PS9_PS4_,comdat
	.globl	_ZN9rocsparseL32bsr2csr_block_per_row_2_7_kernelILj256ELj2E21rocsparse_complex_numIfEiiEEv20rocsparse_direction_T3_S4_21rocsparse_index_base_PKT1_PKT2_PKS4_S4_S5_PS6_PS9_PS4_ ; -- Begin function _ZN9rocsparseL32bsr2csr_block_per_row_2_7_kernelILj256ELj2E21rocsparse_complex_numIfEiiEEv20rocsparse_direction_T3_S4_21rocsparse_index_base_PKT1_PKT2_PKS4_S4_S5_PS6_PS9_PS4_
	.p2align	8
	.type	_ZN9rocsparseL32bsr2csr_block_per_row_2_7_kernelILj256ELj2E21rocsparse_complex_numIfEiiEEv20rocsparse_direction_T3_S4_21rocsparse_index_base_PKT1_PKT2_PKS4_S4_S5_PS6_PS9_PS4_,@function
_ZN9rocsparseL32bsr2csr_block_per_row_2_7_kernelILj256ELj2E21rocsparse_complex_numIfEiiEEv20rocsparse_direction_T3_S4_21rocsparse_index_base_PKT1_PKT2_PKS4_S4_S5_PS6_PS9_PS4_: ; @_ZN9rocsparseL32bsr2csr_block_per_row_2_7_kernelILj256ELj2E21rocsparse_complex_numIfEiiEEv20rocsparse_direction_T3_S4_21rocsparse_index_base_PKT1_PKT2_PKS4_S4_S5_PS6_PS9_PS4_
; %bb.0:
	s_load_dwordx2 s[0:1], s[4:5], 0x18
	s_ashr_i32 s7, s6, 31
	s_clause 0x1
	s_load_dword s10, s[4:5], 0x2c
	s_load_dwordx2 s[2:3], s[4:5], 0x38
	s_lshl_b64 s[8:9], s[6:7], 2
	v_or_b32_e32 v1, s6, v0
	s_mov_b32 s7, exec_lo
	s_waitcnt lgkmcnt(0)
	s_add_u32 s0, s0, s8
	s_addc_u32 s1, s1, s9
	s_load_dwordx2 s[0:1], s[0:1], 0x0
	v_cmpx_eq_u32_e32 0, v1
	s_cbranch_execz .LBB157_2
; %bb.1:
	v_mov_b32_e32 v1, 0
	v_mov_b32_e32 v2, s10
	global_store_dword v1, v2, s[2:3]
.LBB157_2:
	s_or_b32 exec_lo, exec_lo, s7
	s_load_dword s11, s[4:5], 0xc
	v_and_b32_e32 v4, 1, v0
	v_mov_b32_e32 v2, 0
	v_lshrrev_b32_e32 v0, 1, v0
	v_lshl_or_b32 v1, s6, 1, v4
	v_add_nc_u32_e32 v1, 1, v1
	v_lshlrev_b64 v[6:7], 2, v[1:2]
	s_waitcnt lgkmcnt(0)
	s_sub_i32 s6, s0, s11
	s_sub_i32 s12, s1, s11
	s_lshl_b32 s7, s6, 2
	s_sub_i32 s1, s12, s6
	v_add_co_u32 v6, vcc_lo, s2, v6
	s_lshl_b32 s1, s1, 1
	v_add_nc_u32_e32 v3, s6, v0
	v_mul_lo_u32 v5, s1, v4
	s_add_i32 s1, s1, s10
	v_add_co_ci_u32_e64 v7, null, s3, v7, vcc_lo
	v_add3_u32 v1, s1, s7, v5
	s_mov_b32 s1, exec_lo
	global_store_dword v[6:7], v1, off
	v_cmpx_gt_i32_e64 s12, v3
	s_cbranch_execz .LBB157_5
; %bb.3:
	s_clause 0x4
	s_load_dwordx2 s[2:3], s[4:5], 0x20
	s_load_dwordx2 s[6:7], s[4:5], 0x30
	s_load_dword s1, s[4:5], 0x0
	s_load_dwordx2 s[8:9], s[4:5], 0x10
	s_load_dwordx2 s[4:5], s[4:5], 0x40
	v_lshlrev_b32_e32 v0, 1, v0
	v_lshlrev_b32_e32 v1, 2, v3
	s_mov_b32 s13, 0
	v_or_b32_e32 v6, v1, v4
	s_waitcnt lgkmcnt(0)
	s_cmp_eq_u32 s1, 0
	s_cselect_b32 vcc_lo, -1, 0
	s_lshl_b32 s0, s0, 2
	v_add3_u32 v0, v5, s0, v0
	s_lshl_b32 s0, s11, 2
	v_lshl_or_b32 v5, v4, 1, v1
	v_subrev_nc_u32_e32 v0, s0, v0
.LBB157_4:                              ; =>This Inner Loop Header: Depth=1
	v_ashrrev_i32_e32 v4, 31, v3
	v_cndmask_b32_e32 v1, v6, v5, vcc_lo
	v_add_nc_u32_e32 v11, 1, v5
	v_add_nc_u32_e32 v5, 0x200, v5
	v_lshlrev_b64 v[7:8], 2, v[3:4]
	v_add_nc_u32_e32 v4, 2, v6
	v_lshlrev_b64 v[9:10], 3, v[1:2]
	v_add_nc_u32_e32 v3, 0x80, v3
	v_add_nc_u32_e32 v6, 0x200, v6
	v_cndmask_b32_e32 v1, v4, v11, vcc_lo
	v_add_co_u32 v7, s0, s2, v7
	v_add_co_ci_u32_e64 v8, null, s3, v8, s0
	v_add_co_u32 v9, s0, s8, v9
	v_add_co_ci_u32_e64 v10, null, s9, v10, s0
	global_load_dword v4, v[7:8], off
	v_lshlrev_b64 v[7:8], 3, v[1:2]
	v_ashrrev_i32_e32 v1, 31, v0
	v_lshlrev_b64 v[13:14], 3, v[0:1]
	v_add_co_u32 v11, s0, s8, v7
	v_add_co_ci_u32_e64 v12, null, s9, v8, s0
	s_clause 0x1
	global_load_dwordx2 v[7:8], v[9:10], off
	global_load_dwordx2 v[9:10], v[11:12], off
	v_lshlrev_b64 v[11:12], 2, v[0:1]
	v_cmp_le_i32_e64 s0, s12, v3
	v_add_nc_u32_e32 v0, 0x100, v0
	v_add_co_u32 v11, s1, s4, v11
	v_add_co_ci_u32_e64 v12, null, s5, v12, s1
	v_add_co_u32 v13, s1, s6, v13
	v_add_co_ci_u32_e64 v14, null, s7, v14, s1
	s_or_b32 s13, s0, s13
	s_waitcnt vmcnt(2)
	v_subrev_nc_u32_e32 v1, s11, v4
	v_lshl_add_u32 v15, v1, 1, s10
	v_add_nc_u32_e32 v16, 1, v15
	s_waitcnt vmcnt(0)
	global_store_dwordx4 v[13:14], v[7:10], off
	global_store_dwordx2 v[11:12], v[15:16], off
	s_andn2_b32 exec_lo, exec_lo, s13
	s_cbranch_execnz .LBB157_4
.LBB157_5:
	s_endpgm
	.section	.rodata,"a",@progbits
	.p2align	6, 0x0
	.amdhsa_kernel _ZN9rocsparseL32bsr2csr_block_per_row_2_7_kernelILj256ELj2E21rocsparse_complex_numIfEiiEEv20rocsparse_direction_T3_S4_21rocsparse_index_base_PKT1_PKT2_PKS4_S4_S5_PS6_PS9_PS4_
		.amdhsa_group_segment_fixed_size 0
		.amdhsa_private_segment_fixed_size 0
		.amdhsa_kernarg_size 72
		.amdhsa_user_sgpr_count 6
		.amdhsa_user_sgpr_private_segment_buffer 1
		.amdhsa_user_sgpr_dispatch_ptr 0
		.amdhsa_user_sgpr_queue_ptr 0
		.amdhsa_user_sgpr_kernarg_segment_ptr 1
		.amdhsa_user_sgpr_dispatch_id 0
		.amdhsa_user_sgpr_flat_scratch_init 0
		.amdhsa_user_sgpr_private_segment_size 0
		.amdhsa_wavefront_size32 1
		.amdhsa_uses_dynamic_stack 0
		.amdhsa_system_sgpr_private_segment_wavefront_offset 0
		.amdhsa_system_sgpr_workgroup_id_x 1
		.amdhsa_system_sgpr_workgroup_id_y 0
		.amdhsa_system_sgpr_workgroup_id_z 0
		.amdhsa_system_sgpr_workgroup_info 0
		.amdhsa_system_vgpr_workitem_id 0
		.amdhsa_next_free_vgpr 17
		.amdhsa_next_free_sgpr 14
		.amdhsa_reserve_vcc 1
		.amdhsa_reserve_flat_scratch 0
		.amdhsa_float_round_mode_32 0
		.amdhsa_float_round_mode_16_64 0
		.amdhsa_float_denorm_mode_32 3
		.amdhsa_float_denorm_mode_16_64 3
		.amdhsa_dx10_clamp 1
		.amdhsa_ieee_mode 1
		.amdhsa_fp16_overflow 0
		.amdhsa_workgroup_processor_mode 1
		.amdhsa_memory_ordered 1
		.amdhsa_forward_progress 1
		.amdhsa_shared_vgpr_count 0
		.amdhsa_exception_fp_ieee_invalid_op 0
		.amdhsa_exception_fp_denorm_src 0
		.amdhsa_exception_fp_ieee_div_zero 0
		.amdhsa_exception_fp_ieee_overflow 0
		.amdhsa_exception_fp_ieee_underflow 0
		.amdhsa_exception_fp_ieee_inexact 0
		.amdhsa_exception_int_div_zero 0
	.end_amdhsa_kernel
	.section	.text._ZN9rocsparseL32bsr2csr_block_per_row_2_7_kernelILj256ELj2E21rocsparse_complex_numIfEiiEEv20rocsparse_direction_T3_S4_21rocsparse_index_base_PKT1_PKT2_PKS4_S4_S5_PS6_PS9_PS4_,"axG",@progbits,_ZN9rocsparseL32bsr2csr_block_per_row_2_7_kernelILj256ELj2E21rocsparse_complex_numIfEiiEEv20rocsparse_direction_T3_S4_21rocsparse_index_base_PKT1_PKT2_PKS4_S4_S5_PS6_PS9_PS4_,comdat
.Lfunc_end157:
	.size	_ZN9rocsparseL32bsr2csr_block_per_row_2_7_kernelILj256ELj2E21rocsparse_complex_numIfEiiEEv20rocsparse_direction_T3_S4_21rocsparse_index_base_PKT1_PKT2_PKS4_S4_S5_PS6_PS9_PS4_, .Lfunc_end157-_ZN9rocsparseL32bsr2csr_block_per_row_2_7_kernelILj256ELj2E21rocsparse_complex_numIfEiiEEv20rocsparse_direction_T3_S4_21rocsparse_index_base_PKT1_PKT2_PKS4_S4_S5_PS6_PS9_PS4_
                                        ; -- End function
	.set _ZN9rocsparseL32bsr2csr_block_per_row_2_7_kernelILj256ELj2E21rocsparse_complex_numIfEiiEEv20rocsparse_direction_T3_S4_21rocsparse_index_base_PKT1_PKT2_PKS4_S4_S5_PS6_PS9_PS4_.num_vgpr, 17
	.set _ZN9rocsparseL32bsr2csr_block_per_row_2_7_kernelILj256ELj2E21rocsparse_complex_numIfEiiEEv20rocsparse_direction_T3_S4_21rocsparse_index_base_PKT1_PKT2_PKS4_S4_S5_PS6_PS9_PS4_.num_agpr, 0
	.set _ZN9rocsparseL32bsr2csr_block_per_row_2_7_kernelILj256ELj2E21rocsparse_complex_numIfEiiEEv20rocsparse_direction_T3_S4_21rocsparse_index_base_PKT1_PKT2_PKS4_S4_S5_PS6_PS9_PS4_.numbered_sgpr, 14
	.set _ZN9rocsparseL32bsr2csr_block_per_row_2_7_kernelILj256ELj2E21rocsparse_complex_numIfEiiEEv20rocsparse_direction_T3_S4_21rocsparse_index_base_PKT1_PKT2_PKS4_S4_S5_PS6_PS9_PS4_.num_named_barrier, 0
	.set _ZN9rocsparseL32bsr2csr_block_per_row_2_7_kernelILj256ELj2E21rocsparse_complex_numIfEiiEEv20rocsparse_direction_T3_S4_21rocsparse_index_base_PKT1_PKT2_PKS4_S4_S5_PS6_PS9_PS4_.private_seg_size, 0
	.set _ZN9rocsparseL32bsr2csr_block_per_row_2_7_kernelILj256ELj2E21rocsparse_complex_numIfEiiEEv20rocsparse_direction_T3_S4_21rocsparse_index_base_PKT1_PKT2_PKS4_S4_S5_PS6_PS9_PS4_.uses_vcc, 1
	.set _ZN9rocsparseL32bsr2csr_block_per_row_2_7_kernelILj256ELj2E21rocsparse_complex_numIfEiiEEv20rocsparse_direction_T3_S4_21rocsparse_index_base_PKT1_PKT2_PKS4_S4_S5_PS6_PS9_PS4_.uses_flat_scratch, 0
	.set _ZN9rocsparseL32bsr2csr_block_per_row_2_7_kernelILj256ELj2E21rocsparse_complex_numIfEiiEEv20rocsparse_direction_T3_S4_21rocsparse_index_base_PKT1_PKT2_PKS4_S4_S5_PS6_PS9_PS4_.has_dyn_sized_stack, 0
	.set _ZN9rocsparseL32bsr2csr_block_per_row_2_7_kernelILj256ELj2E21rocsparse_complex_numIfEiiEEv20rocsparse_direction_T3_S4_21rocsparse_index_base_PKT1_PKT2_PKS4_S4_S5_PS6_PS9_PS4_.has_recursion, 0
	.set _ZN9rocsparseL32bsr2csr_block_per_row_2_7_kernelILj256ELj2E21rocsparse_complex_numIfEiiEEv20rocsparse_direction_T3_S4_21rocsparse_index_base_PKT1_PKT2_PKS4_S4_S5_PS6_PS9_PS4_.has_indirect_call, 0
	.section	.AMDGPU.csdata,"",@progbits
; Kernel info:
; codeLenInByte = 588
; TotalNumSgprs: 16
; NumVgprs: 17
; ScratchSize: 0
; MemoryBound: 0
; FloatMode: 240
; IeeeMode: 1
; LDSByteSize: 0 bytes/workgroup (compile time only)
; SGPRBlocks: 0
; VGPRBlocks: 2
; NumSGPRsForWavesPerEU: 16
; NumVGPRsForWavesPerEU: 17
; Occupancy: 16
; WaveLimiterHint : 0
; COMPUTE_PGM_RSRC2:SCRATCH_EN: 0
; COMPUTE_PGM_RSRC2:USER_SGPR: 6
; COMPUTE_PGM_RSRC2:TRAP_HANDLER: 0
; COMPUTE_PGM_RSRC2:TGID_X_EN: 1
; COMPUTE_PGM_RSRC2:TGID_Y_EN: 0
; COMPUTE_PGM_RSRC2:TGID_Z_EN: 0
; COMPUTE_PGM_RSRC2:TIDIG_COMP_CNT: 0
	.section	.text._ZN9rocsparseL32bsr2csr_block_per_row_2_7_kernelILj256ELj3E21rocsparse_complex_numIfEiiEEv20rocsparse_direction_T3_S4_21rocsparse_index_base_PKT1_PKT2_PKS4_S4_S5_PS6_PS9_PS4_,"axG",@progbits,_ZN9rocsparseL32bsr2csr_block_per_row_2_7_kernelILj256ELj3E21rocsparse_complex_numIfEiiEEv20rocsparse_direction_T3_S4_21rocsparse_index_base_PKT1_PKT2_PKS4_S4_S5_PS6_PS9_PS4_,comdat
	.globl	_ZN9rocsparseL32bsr2csr_block_per_row_2_7_kernelILj256ELj3E21rocsparse_complex_numIfEiiEEv20rocsparse_direction_T3_S4_21rocsparse_index_base_PKT1_PKT2_PKS4_S4_S5_PS6_PS9_PS4_ ; -- Begin function _ZN9rocsparseL32bsr2csr_block_per_row_2_7_kernelILj256ELj3E21rocsparse_complex_numIfEiiEEv20rocsparse_direction_T3_S4_21rocsparse_index_base_PKT1_PKT2_PKS4_S4_S5_PS6_PS9_PS4_
	.p2align	8
	.type	_ZN9rocsparseL32bsr2csr_block_per_row_2_7_kernelILj256ELj3E21rocsparse_complex_numIfEiiEEv20rocsparse_direction_T3_S4_21rocsparse_index_base_PKT1_PKT2_PKS4_S4_S5_PS6_PS9_PS4_,@function
_ZN9rocsparseL32bsr2csr_block_per_row_2_7_kernelILj256ELj3E21rocsparse_complex_numIfEiiEEv20rocsparse_direction_T3_S4_21rocsparse_index_base_PKT1_PKT2_PKS4_S4_S5_PS6_PS9_PS4_: ; @_ZN9rocsparseL32bsr2csr_block_per_row_2_7_kernelILj256ELj3E21rocsparse_complex_numIfEiiEEv20rocsparse_direction_T3_S4_21rocsparse_index_base_PKT1_PKT2_PKS4_S4_S5_PS6_PS9_PS4_
; %bb.0:
	s_clause 0x2
	s_load_dwordx2 s[8:9], s[4:5], 0x18
	s_load_dword s2, s[4:5], 0x2c
	s_load_dwordx2 s[0:1], s[4:5], 0x38
	s_ashr_i32 s7, s6, 31
	v_or_b32_e32 v1, s6, v0
	s_lshl_b64 s[10:11], s[6:7], 2
	s_mov_b32 s3, exec_lo
	s_waitcnt lgkmcnt(0)
	s_add_u32 s8, s8, s10
	s_addc_u32 s9, s9, s11
	v_cmpx_eq_u32_e32 0, v1
	s_cbranch_execz .LBB158_2
; %bb.1:
	v_mov_b32_e32 v1, 0
	v_mov_b32_e32 v2, s2
	global_store_dword v1, v2, s[0:1]
.LBB158_2:
	s_or_b32 exec_lo, exec_lo, s3
	v_and_b32_e32 v3, 3, v0
	s_mov_b32 s3, exec_lo
	v_cmpx_ne_u32_e32 3, v3
	s_cbranch_execz .LBB158_6
; %bb.3:
	s_load_dwordx2 s[12:13], s[8:9], 0x0
	s_load_dword s3, s[4:5], 0xc
	s_mul_i32 s6, s6, 3
	v_mov_b32_e32 v2, 0
	v_add3_u32 v1, v3, s6, 1
	v_lshrrev_b32_e32 v5, 2, v0
	v_lshlrev_b64 v[6:7], 2, v[1:2]
	v_add_co_u32 v6, vcc_lo, s0, v6
	v_add_co_ci_u32_e64 v7, null, s1, v7, vcc_lo
	s_waitcnt lgkmcnt(0)
	s_sub_i32 s7, s12, s3
	s_sub_i32 s13, s13, s3
	v_add_nc_u32_e32 v0, s7, v5
	s_sub_i32 s8, s13, s7
	s_mul_i32 s6, s7, 9
	s_mul_i32 s8, s8, 3
	v_mul_lo_u32 v4, s8, v3
	s_add_i32 s8, s8, s2
	v_cmp_gt_i32_e32 vcc_lo, s13, v0
	v_add3_u32 v1, s8, s6, v4
	global_store_dword v[6:7], v1, off
	s_and_b32 exec_lo, exec_lo, vcc_lo
	s_cbranch_execz .LBB158_6
; %bb.4:
	s_clause 0x3
	s_load_dwordx2 s[6:7], s[4:5], 0x20
	s_load_dwordx2 s[8:9], s[4:5], 0x30
	s_load_dword s0, s[4:5], 0x0
	s_load_dwordx2 s[10:11], s[4:5], 0x10
	v_add_nc_u32_e32 v1, s12, v5
	s_load_dwordx2 s[4:5], s[4:5], 0x40
	v_mul_u32_u24_e32 v5, 3, v5
	s_mul_i32 s1, s12, 9
	s_mov_b32 s12, 0
	v_lshl_add_u32 v1, v1, 3, v1
	s_mov_b32 s14, 0
	v_add3_u32 v5, v4, s1, v5
	s_mul_i32 s1, s3, 9
	v_mad_u32_u24 v1, v3, 3, v1
	v_mad_u64_u32 v[3:4], null, v0, 9, v[3:4]
	v_subrev_nc_u32_e32 v4, s1, v5
	v_subrev_nc_u32_e32 v6, s1, v1
	s_waitcnt lgkmcnt(0)
	s_cmp_eq_u32 s0, 0
	s_cselect_b32 vcc_lo, -1, 0
.LBB158_5:                              ; =>This Inner Loop Header: Depth=1
	v_ashrrev_i32_e32 v1, 31, v0
	v_add_nc_u32_e32 v5, s14, v3
	v_add_nc_u32_e32 v9, s14, v6
	s_addk_i32 s14, 0x240
	v_lshlrev_b64 v[7:8], 2, v[0:1]
	v_add_nc_u32_e32 v12, 3, v5
	v_cndmask_b32_e32 v1, v5, v9, vcc_lo
	v_add_nc_u32_e32 v11, 1, v9
	v_add_nc_u32_e32 v13, 2, v9
	;; [unrolled: 1-line block ×3, first 2 shown]
	v_add_co_u32 v7, s0, s6, v7
	v_lshlrev_b64 v[9:10], 3, v[1:2]
	v_add_co_ci_u32_e64 v8, null, s7, v8, s0
	v_cndmask_b32_e32 v1, v12, v11, vcc_lo
	v_add_nc_u32_e32 v0, 64, v0
	global_load_dword v18, v[7:8], off
	v_add_co_u32 v7, s0, s10, v9
	v_lshlrev_b64 v[11:12], 3, v[1:2]
	v_cndmask_b32_e32 v1, v5, v13, vcc_lo
	v_add_co_ci_u32_e64 v8, null, s11, v10, s0
	v_ashrrev_i32_e32 v5, 31, v4
	v_lshlrev_b64 v[9:10], 3, v[1:2]
	v_add_co_u32 v11, s0, s10, v11
	v_add_co_ci_u32_e64 v12, null, s11, v12, s0
	v_lshlrev_b64 v[16:17], 3, v[4:5]
	v_add_co_u32 v13, s0, s10, v9
	v_add_co_ci_u32_e64 v14, null, s11, v10, s0
	s_clause 0x2
	global_load_dwordx2 v[7:8], v[7:8], off
	global_load_dwordx2 v[9:10], v[11:12], off
	;; [unrolled: 1-line block ×3, first 2 shown]
	v_lshlrev_b64 v[12:13], 2, v[4:5]
	v_cmp_le_i32_e64 s0, s13, v0
	v_add_nc_u32_e32 v4, 0xc0, v4
	s_or_b32 s12, s0, s12
	s_waitcnt vmcnt(3)
	v_subrev_nc_u32_e32 v1, s3, v18
	v_add_co_u32 v18, s1, s4, v12
	v_add_co_ci_u32_e64 v19, null, s5, v13, s1
	v_mad_u64_u32 v[11:12], null, v1, 3, s[2:3]
	v_add_co_u32 v16, s1, s8, v16
	v_add_co_ci_u32_e64 v17, null, s9, v17, s1
	v_add_nc_u32_e32 v12, 1, v11
	v_add_nc_u32_e32 v13, 2, v11
	s_waitcnt vmcnt(1)
	global_store_dwordx4 v[16:17], v[7:10], off
	s_waitcnt vmcnt(0)
	global_store_dwordx2 v[16:17], v[14:15], off offset:16
	global_store_dwordx3 v[18:19], v[11:13], off
	s_andn2_b32 exec_lo, exec_lo, s12
	s_cbranch_execnz .LBB158_5
.LBB158_6:
	s_endpgm
	.section	.rodata,"a",@progbits
	.p2align	6, 0x0
	.amdhsa_kernel _ZN9rocsparseL32bsr2csr_block_per_row_2_7_kernelILj256ELj3E21rocsparse_complex_numIfEiiEEv20rocsparse_direction_T3_S4_21rocsparse_index_base_PKT1_PKT2_PKS4_S4_S5_PS6_PS9_PS4_
		.amdhsa_group_segment_fixed_size 0
		.amdhsa_private_segment_fixed_size 0
		.amdhsa_kernarg_size 72
		.amdhsa_user_sgpr_count 6
		.amdhsa_user_sgpr_private_segment_buffer 1
		.amdhsa_user_sgpr_dispatch_ptr 0
		.amdhsa_user_sgpr_queue_ptr 0
		.amdhsa_user_sgpr_kernarg_segment_ptr 1
		.amdhsa_user_sgpr_dispatch_id 0
		.amdhsa_user_sgpr_flat_scratch_init 0
		.amdhsa_user_sgpr_private_segment_size 0
		.amdhsa_wavefront_size32 1
		.amdhsa_uses_dynamic_stack 0
		.amdhsa_system_sgpr_private_segment_wavefront_offset 0
		.amdhsa_system_sgpr_workgroup_id_x 1
		.amdhsa_system_sgpr_workgroup_id_y 0
		.amdhsa_system_sgpr_workgroup_id_z 0
		.amdhsa_system_sgpr_workgroup_info 0
		.amdhsa_system_vgpr_workitem_id 0
		.amdhsa_next_free_vgpr 20
		.amdhsa_next_free_sgpr 15
		.amdhsa_reserve_vcc 1
		.amdhsa_reserve_flat_scratch 0
		.amdhsa_float_round_mode_32 0
		.amdhsa_float_round_mode_16_64 0
		.amdhsa_float_denorm_mode_32 3
		.amdhsa_float_denorm_mode_16_64 3
		.amdhsa_dx10_clamp 1
		.amdhsa_ieee_mode 1
		.amdhsa_fp16_overflow 0
		.amdhsa_workgroup_processor_mode 1
		.amdhsa_memory_ordered 1
		.amdhsa_forward_progress 1
		.amdhsa_shared_vgpr_count 0
		.amdhsa_exception_fp_ieee_invalid_op 0
		.amdhsa_exception_fp_denorm_src 0
		.amdhsa_exception_fp_ieee_div_zero 0
		.amdhsa_exception_fp_ieee_overflow 0
		.amdhsa_exception_fp_ieee_underflow 0
		.amdhsa_exception_fp_ieee_inexact 0
		.amdhsa_exception_int_div_zero 0
	.end_amdhsa_kernel
	.section	.text._ZN9rocsparseL32bsr2csr_block_per_row_2_7_kernelILj256ELj3E21rocsparse_complex_numIfEiiEEv20rocsparse_direction_T3_S4_21rocsparse_index_base_PKT1_PKT2_PKS4_S4_S5_PS6_PS9_PS4_,"axG",@progbits,_ZN9rocsparseL32bsr2csr_block_per_row_2_7_kernelILj256ELj3E21rocsparse_complex_numIfEiiEEv20rocsparse_direction_T3_S4_21rocsparse_index_base_PKT1_PKT2_PKS4_S4_S5_PS6_PS9_PS4_,comdat
.Lfunc_end158:
	.size	_ZN9rocsparseL32bsr2csr_block_per_row_2_7_kernelILj256ELj3E21rocsparse_complex_numIfEiiEEv20rocsparse_direction_T3_S4_21rocsparse_index_base_PKT1_PKT2_PKS4_S4_S5_PS6_PS9_PS4_, .Lfunc_end158-_ZN9rocsparseL32bsr2csr_block_per_row_2_7_kernelILj256ELj3E21rocsparse_complex_numIfEiiEEv20rocsparse_direction_T3_S4_21rocsparse_index_base_PKT1_PKT2_PKS4_S4_S5_PS6_PS9_PS4_
                                        ; -- End function
	.set _ZN9rocsparseL32bsr2csr_block_per_row_2_7_kernelILj256ELj3E21rocsparse_complex_numIfEiiEEv20rocsparse_direction_T3_S4_21rocsparse_index_base_PKT1_PKT2_PKS4_S4_S5_PS6_PS9_PS4_.num_vgpr, 20
	.set _ZN9rocsparseL32bsr2csr_block_per_row_2_7_kernelILj256ELj3E21rocsparse_complex_numIfEiiEEv20rocsparse_direction_T3_S4_21rocsparse_index_base_PKT1_PKT2_PKS4_S4_S5_PS6_PS9_PS4_.num_agpr, 0
	.set _ZN9rocsparseL32bsr2csr_block_per_row_2_7_kernelILj256ELj3E21rocsparse_complex_numIfEiiEEv20rocsparse_direction_T3_S4_21rocsparse_index_base_PKT1_PKT2_PKS4_S4_S5_PS6_PS9_PS4_.numbered_sgpr, 15
	.set _ZN9rocsparseL32bsr2csr_block_per_row_2_7_kernelILj256ELj3E21rocsparse_complex_numIfEiiEEv20rocsparse_direction_T3_S4_21rocsparse_index_base_PKT1_PKT2_PKS4_S4_S5_PS6_PS9_PS4_.num_named_barrier, 0
	.set _ZN9rocsparseL32bsr2csr_block_per_row_2_7_kernelILj256ELj3E21rocsparse_complex_numIfEiiEEv20rocsparse_direction_T3_S4_21rocsparse_index_base_PKT1_PKT2_PKS4_S4_S5_PS6_PS9_PS4_.private_seg_size, 0
	.set _ZN9rocsparseL32bsr2csr_block_per_row_2_7_kernelILj256ELj3E21rocsparse_complex_numIfEiiEEv20rocsparse_direction_T3_S4_21rocsparse_index_base_PKT1_PKT2_PKS4_S4_S5_PS6_PS9_PS4_.uses_vcc, 1
	.set _ZN9rocsparseL32bsr2csr_block_per_row_2_7_kernelILj256ELj3E21rocsparse_complex_numIfEiiEEv20rocsparse_direction_T3_S4_21rocsparse_index_base_PKT1_PKT2_PKS4_S4_S5_PS6_PS9_PS4_.uses_flat_scratch, 0
	.set _ZN9rocsparseL32bsr2csr_block_per_row_2_7_kernelILj256ELj3E21rocsparse_complex_numIfEiiEEv20rocsparse_direction_T3_S4_21rocsparse_index_base_PKT1_PKT2_PKS4_S4_S5_PS6_PS9_PS4_.has_dyn_sized_stack, 0
	.set _ZN9rocsparseL32bsr2csr_block_per_row_2_7_kernelILj256ELj3E21rocsparse_complex_numIfEiiEEv20rocsparse_direction_T3_S4_21rocsparse_index_base_PKT1_PKT2_PKS4_S4_S5_PS6_PS9_PS4_.has_recursion, 0
	.set _ZN9rocsparseL32bsr2csr_block_per_row_2_7_kernelILj256ELj3E21rocsparse_complex_numIfEiiEEv20rocsparse_direction_T3_S4_21rocsparse_index_base_PKT1_PKT2_PKS4_S4_S5_PS6_PS9_PS4_.has_indirect_call, 0
	.section	.AMDGPU.csdata,"",@progbits
; Kernel info:
; codeLenInByte = 668
; TotalNumSgprs: 17
; NumVgprs: 20
; ScratchSize: 0
; MemoryBound: 0
; FloatMode: 240
; IeeeMode: 1
; LDSByteSize: 0 bytes/workgroup (compile time only)
; SGPRBlocks: 0
; VGPRBlocks: 2
; NumSGPRsForWavesPerEU: 17
; NumVGPRsForWavesPerEU: 20
; Occupancy: 16
; WaveLimiterHint : 1
; COMPUTE_PGM_RSRC2:SCRATCH_EN: 0
; COMPUTE_PGM_RSRC2:USER_SGPR: 6
; COMPUTE_PGM_RSRC2:TRAP_HANDLER: 0
; COMPUTE_PGM_RSRC2:TGID_X_EN: 1
; COMPUTE_PGM_RSRC2:TGID_Y_EN: 0
; COMPUTE_PGM_RSRC2:TGID_Z_EN: 0
; COMPUTE_PGM_RSRC2:TIDIG_COMP_CNT: 0
	.section	.text._ZN9rocsparseL32bsr2csr_block_per_row_2_7_kernelILj256ELj4E21rocsparse_complex_numIfEiiEEv20rocsparse_direction_T3_S4_21rocsparse_index_base_PKT1_PKT2_PKS4_S4_S5_PS6_PS9_PS4_,"axG",@progbits,_ZN9rocsparseL32bsr2csr_block_per_row_2_7_kernelILj256ELj4E21rocsparse_complex_numIfEiiEEv20rocsparse_direction_T3_S4_21rocsparse_index_base_PKT1_PKT2_PKS4_S4_S5_PS6_PS9_PS4_,comdat
	.globl	_ZN9rocsparseL32bsr2csr_block_per_row_2_7_kernelILj256ELj4E21rocsparse_complex_numIfEiiEEv20rocsparse_direction_T3_S4_21rocsparse_index_base_PKT1_PKT2_PKS4_S4_S5_PS6_PS9_PS4_ ; -- Begin function _ZN9rocsparseL32bsr2csr_block_per_row_2_7_kernelILj256ELj4E21rocsparse_complex_numIfEiiEEv20rocsparse_direction_T3_S4_21rocsparse_index_base_PKT1_PKT2_PKS4_S4_S5_PS6_PS9_PS4_
	.p2align	8
	.type	_ZN9rocsparseL32bsr2csr_block_per_row_2_7_kernelILj256ELj4E21rocsparse_complex_numIfEiiEEv20rocsparse_direction_T3_S4_21rocsparse_index_base_PKT1_PKT2_PKS4_S4_S5_PS6_PS9_PS4_,@function
_ZN9rocsparseL32bsr2csr_block_per_row_2_7_kernelILj256ELj4E21rocsparse_complex_numIfEiiEEv20rocsparse_direction_T3_S4_21rocsparse_index_base_PKT1_PKT2_PKS4_S4_S5_PS6_PS9_PS4_: ; @_ZN9rocsparseL32bsr2csr_block_per_row_2_7_kernelILj256ELj4E21rocsparse_complex_numIfEiiEEv20rocsparse_direction_T3_S4_21rocsparse_index_base_PKT1_PKT2_PKS4_S4_S5_PS6_PS9_PS4_
; %bb.0:
	s_load_dwordx2 s[0:1], s[4:5], 0x18
	s_ashr_i32 s7, s6, 31
	s_clause 0x1
	s_load_dword s10, s[4:5], 0x2c
	s_load_dwordx2 s[2:3], s[4:5], 0x38
	s_lshl_b64 s[8:9], s[6:7], 2
	v_or_b32_e32 v1, s6, v0
	s_mov_b32 s7, exec_lo
	s_waitcnt lgkmcnt(0)
	s_add_u32 s0, s0, s8
	s_addc_u32 s1, s1, s9
	s_load_dwordx2 s[0:1], s[0:1], 0x0
	v_cmpx_eq_u32_e32 0, v1
	s_cbranch_execz .LBB159_2
; %bb.1:
	v_mov_b32_e32 v1, 0
	v_mov_b32_e32 v2, s10
	global_store_dword v1, v2, s[2:3]
.LBB159_2:
	s_or_b32 exec_lo, exec_lo, s7
	s_load_dword s11, s[4:5], 0xc
	v_and_b32_e32 v5, 3, v0
	v_mov_b32_e32 v2, 0
	v_lshrrev_b32_e32 v4, 2, v0
	v_lshl_or_b32 v1, s6, 2, v5
	v_add_nc_u32_e32 v1, 1, v1
	v_lshlrev_b64 v[6:7], 2, v[1:2]
	s_waitcnt lgkmcnt(0)
	s_sub_i32 s6, s0, s11
	s_sub_i32 s12, s1, s11
	s_lshl_b32 s7, s6, 4
	s_sub_i32 s1, s12, s6
	v_add_co_u32 v6, vcc_lo, s2, v6
	s_lshl_b32 s1, s1, 2
	v_add_nc_u32_e32 v0, s6, v4
	v_mul_lo_u32 v3, s1, v5
	s_add_i32 s1, s1, s10
	v_add_co_ci_u32_e64 v7, null, s3, v7, vcc_lo
	v_add3_u32 v1, s1, s7, v3
	s_mov_b32 s1, exec_lo
	global_store_dword v[6:7], v1, off
	v_cmpx_gt_i32_e64 s12, v0
	s_cbranch_execz .LBB159_5
; %bb.3:
	s_clause 0x4
	s_load_dwordx2 s[2:3], s[4:5], 0x20
	s_load_dwordx2 s[6:7], s[4:5], 0x30
	s_load_dword s1, s[4:5], 0x0
	s_load_dwordx2 s[8:9], s[4:5], 0x10
	s_load_dwordx2 s[4:5], s[4:5], 0x40
	v_lshlrev_b32_e32 v1, 2, v4
	v_lshlrev_b32_e32 v6, 2, v5
	;; [unrolled: 1-line block ×3, first 2 shown]
	s_mov_b32 s13, 0
	s_waitcnt lgkmcnt(0)
	s_cmp_eq_u32 s1, 0
	s_cselect_b32 vcc_lo, -1, 0
	s_lshl_b32 s0, s0, 4
	v_add3_u32 v1, v3, s0, v1
	s_lshl_b32 s0, s11, 4
	v_subrev_nc_u32_e32 v3, s0, v1
.LBB159_4:                              ; =>This Inner Loop Header: Depth=1
	v_ashrrev_i32_e32 v1, 31, v0
	v_add_nc_u32_e32 v4, v5, v7
	v_add_nc_u32_e32 v10, v6, v7
	;; [unrolled: 1-line block ×3, first 2 shown]
	v_lshlrev_b64 v[8:9], 2, v[0:1]
	v_add_nc_u32_e32 v13, 4, v4
	v_cndmask_b32_e32 v1, v4, v10, vcc_lo
	v_add_nc_u32_e32 v12, 1, v10
	v_add_nc_u32_e32 v14, 2, v10
	;; [unrolled: 1-line block ×4, first 2 shown]
	v_lshlrev_b64 v[10:11], 3, v[1:2]
	v_cndmask_b32_e32 v1, v13, v12, vcc_lo
	v_add_co_u32 v8, s0, s2, v8
	v_add_co_ci_u32_e64 v9, null, s3, v9, s0
	v_add_nc_u32_e32 v4, 12, v4
	v_lshlrev_b64 v[12:13], 3, v[1:2]
	v_cndmask_b32_e32 v1, v15, v14, vcc_lo
	global_load_dword v22, v[8:9], off
	v_add_co_u32 v8, s0, s8, v10
	v_add_co_ci_u32_e64 v9, null, s9, v11, s0
	v_lshlrev_b64 v[10:11], 3, v[1:2]
	v_cndmask_b32_e32 v1, v4, v16, vcc_lo
	v_add_co_u32 v12, s0, s8, v12
	v_add_co_ci_u32_e64 v13, null, s9, v13, s0
	v_lshlrev_b64 v[14:15], 3, v[1:2]
	v_add_co_u32 v16, s0, s8, v10
	v_add_co_ci_u32_e64 v17, null, s9, v11, s0
	v_ashrrev_i32_e32 v4, 31, v3
	v_add_co_u32 v14, s0, s8, v14
	v_add_co_ci_u32_e64 v15, null, s9, v15, s0
	s_clause 0x3
	global_load_dwordx2 v[8:9], v[8:9], off
	global_load_dwordx2 v[10:11], v[12:13], off
	;; [unrolled: 1-line block ×4, first 2 shown]
	v_lshlrev_b64 v[16:17], 2, v[3:4]
	v_lshlrev_b64 v[18:19], 3, v[3:4]
	v_add_nc_u32_e32 v0, 64, v0
	v_add_nc_u32_e32 v3, 0x100, v3
	v_add_co_u32 v20, s1, s4, v16
	v_cmp_le_i32_e64 s0, s12, v0
	v_add_co_ci_u32_e64 v21, null, s5, v17, s1
	s_or_b32 s13, s0, s13
	s_waitcnt vmcnt(4)
	v_subrev_nc_u32_e32 v1, s11, v22
	v_add_co_u32 v22, s1, s6, v18
	v_add_co_ci_u32_e64 v23, null, s7, v19, s1
	v_lshl_add_u32 v16, v1, 2, s10
	v_add_nc_u32_e32 v17, 1, v16
	v_add_nc_u32_e32 v18, 2, v16
	;; [unrolled: 1-line block ×3, first 2 shown]
	s_waitcnt vmcnt(2)
	global_store_dwordx4 v[22:23], v[8:11], off
	global_store_dwordx4 v[20:21], v[16:19], off
	s_waitcnt vmcnt(0)
	global_store_dwordx4 v[22:23], v[12:15], off offset:16
	s_andn2_b32 exec_lo, exec_lo, s13
	s_cbranch_execnz .LBB159_4
.LBB159_5:
	s_endpgm
	.section	.rodata,"a",@progbits
	.p2align	6, 0x0
	.amdhsa_kernel _ZN9rocsparseL32bsr2csr_block_per_row_2_7_kernelILj256ELj4E21rocsparse_complex_numIfEiiEEv20rocsparse_direction_T3_S4_21rocsparse_index_base_PKT1_PKT2_PKS4_S4_S5_PS6_PS9_PS4_
		.amdhsa_group_segment_fixed_size 0
		.amdhsa_private_segment_fixed_size 0
		.amdhsa_kernarg_size 72
		.amdhsa_user_sgpr_count 6
		.amdhsa_user_sgpr_private_segment_buffer 1
		.amdhsa_user_sgpr_dispatch_ptr 0
		.amdhsa_user_sgpr_queue_ptr 0
		.amdhsa_user_sgpr_kernarg_segment_ptr 1
		.amdhsa_user_sgpr_dispatch_id 0
		.amdhsa_user_sgpr_flat_scratch_init 0
		.amdhsa_user_sgpr_private_segment_size 0
		.amdhsa_wavefront_size32 1
		.amdhsa_uses_dynamic_stack 0
		.amdhsa_system_sgpr_private_segment_wavefront_offset 0
		.amdhsa_system_sgpr_workgroup_id_x 1
		.amdhsa_system_sgpr_workgroup_id_y 0
		.amdhsa_system_sgpr_workgroup_id_z 0
		.amdhsa_system_sgpr_workgroup_info 0
		.amdhsa_system_vgpr_workitem_id 0
		.amdhsa_next_free_vgpr 24
		.amdhsa_next_free_sgpr 14
		.amdhsa_reserve_vcc 1
		.amdhsa_reserve_flat_scratch 0
		.amdhsa_float_round_mode_32 0
		.amdhsa_float_round_mode_16_64 0
		.amdhsa_float_denorm_mode_32 3
		.amdhsa_float_denorm_mode_16_64 3
		.amdhsa_dx10_clamp 1
		.amdhsa_ieee_mode 1
		.amdhsa_fp16_overflow 0
		.amdhsa_workgroup_processor_mode 1
		.amdhsa_memory_ordered 1
		.amdhsa_forward_progress 1
		.amdhsa_shared_vgpr_count 0
		.amdhsa_exception_fp_ieee_invalid_op 0
		.amdhsa_exception_fp_denorm_src 0
		.amdhsa_exception_fp_ieee_div_zero 0
		.amdhsa_exception_fp_ieee_overflow 0
		.amdhsa_exception_fp_ieee_underflow 0
		.amdhsa_exception_fp_ieee_inexact 0
		.amdhsa_exception_int_div_zero 0
	.end_amdhsa_kernel
	.section	.text._ZN9rocsparseL32bsr2csr_block_per_row_2_7_kernelILj256ELj4E21rocsparse_complex_numIfEiiEEv20rocsparse_direction_T3_S4_21rocsparse_index_base_PKT1_PKT2_PKS4_S4_S5_PS6_PS9_PS4_,"axG",@progbits,_ZN9rocsparseL32bsr2csr_block_per_row_2_7_kernelILj256ELj4E21rocsparse_complex_numIfEiiEEv20rocsparse_direction_T3_S4_21rocsparse_index_base_PKT1_PKT2_PKS4_S4_S5_PS6_PS9_PS4_,comdat
.Lfunc_end159:
	.size	_ZN9rocsparseL32bsr2csr_block_per_row_2_7_kernelILj256ELj4E21rocsparse_complex_numIfEiiEEv20rocsparse_direction_T3_S4_21rocsparse_index_base_PKT1_PKT2_PKS4_S4_S5_PS6_PS9_PS4_, .Lfunc_end159-_ZN9rocsparseL32bsr2csr_block_per_row_2_7_kernelILj256ELj4E21rocsparse_complex_numIfEiiEEv20rocsparse_direction_T3_S4_21rocsparse_index_base_PKT1_PKT2_PKS4_S4_S5_PS6_PS9_PS4_
                                        ; -- End function
	.set _ZN9rocsparseL32bsr2csr_block_per_row_2_7_kernelILj256ELj4E21rocsparse_complex_numIfEiiEEv20rocsparse_direction_T3_S4_21rocsparse_index_base_PKT1_PKT2_PKS4_S4_S5_PS6_PS9_PS4_.num_vgpr, 24
	.set _ZN9rocsparseL32bsr2csr_block_per_row_2_7_kernelILj256ELj4E21rocsparse_complex_numIfEiiEEv20rocsparse_direction_T3_S4_21rocsparse_index_base_PKT1_PKT2_PKS4_S4_S5_PS6_PS9_PS4_.num_agpr, 0
	.set _ZN9rocsparseL32bsr2csr_block_per_row_2_7_kernelILj256ELj4E21rocsparse_complex_numIfEiiEEv20rocsparse_direction_T3_S4_21rocsparse_index_base_PKT1_PKT2_PKS4_S4_S5_PS6_PS9_PS4_.numbered_sgpr, 14
	.set _ZN9rocsparseL32bsr2csr_block_per_row_2_7_kernelILj256ELj4E21rocsparse_complex_numIfEiiEEv20rocsparse_direction_T3_S4_21rocsparse_index_base_PKT1_PKT2_PKS4_S4_S5_PS6_PS9_PS4_.num_named_barrier, 0
	.set _ZN9rocsparseL32bsr2csr_block_per_row_2_7_kernelILj256ELj4E21rocsparse_complex_numIfEiiEEv20rocsparse_direction_T3_S4_21rocsparse_index_base_PKT1_PKT2_PKS4_S4_S5_PS6_PS9_PS4_.private_seg_size, 0
	.set _ZN9rocsparseL32bsr2csr_block_per_row_2_7_kernelILj256ELj4E21rocsparse_complex_numIfEiiEEv20rocsparse_direction_T3_S4_21rocsparse_index_base_PKT1_PKT2_PKS4_S4_S5_PS6_PS9_PS4_.uses_vcc, 1
	.set _ZN9rocsparseL32bsr2csr_block_per_row_2_7_kernelILj256ELj4E21rocsparse_complex_numIfEiiEEv20rocsparse_direction_T3_S4_21rocsparse_index_base_PKT1_PKT2_PKS4_S4_S5_PS6_PS9_PS4_.uses_flat_scratch, 0
	.set _ZN9rocsparseL32bsr2csr_block_per_row_2_7_kernelILj256ELj4E21rocsparse_complex_numIfEiiEEv20rocsparse_direction_T3_S4_21rocsparse_index_base_PKT1_PKT2_PKS4_S4_S5_PS6_PS9_PS4_.has_dyn_sized_stack, 0
	.set _ZN9rocsparseL32bsr2csr_block_per_row_2_7_kernelILj256ELj4E21rocsparse_complex_numIfEiiEEv20rocsparse_direction_T3_S4_21rocsparse_index_base_PKT1_PKT2_PKS4_S4_S5_PS6_PS9_PS4_.has_recursion, 0
	.set _ZN9rocsparseL32bsr2csr_block_per_row_2_7_kernelILj256ELj4E21rocsparse_complex_numIfEiiEEv20rocsparse_direction_T3_S4_21rocsparse_index_base_PKT1_PKT2_PKS4_S4_S5_PS6_PS9_PS4_.has_indirect_call, 0
	.section	.AMDGPU.csdata,"",@progbits
; Kernel info:
; codeLenInByte = 684
; TotalNumSgprs: 16
; NumVgprs: 24
; ScratchSize: 0
; MemoryBound: 0
; FloatMode: 240
; IeeeMode: 1
; LDSByteSize: 0 bytes/workgroup (compile time only)
; SGPRBlocks: 0
; VGPRBlocks: 2
; NumSGPRsForWavesPerEU: 16
; NumVGPRsForWavesPerEU: 24
; Occupancy: 16
; WaveLimiterHint : 0
; COMPUTE_PGM_RSRC2:SCRATCH_EN: 0
; COMPUTE_PGM_RSRC2:USER_SGPR: 6
; COMPUTE_PGM_RSRC2:TRAP_HANDLER: 0
; COMPUTE_PGM_RSRC2:TGID_X_EN: 1
; COMPUTE_PGM_RSRC2:TGID_Y_EN: 0
; COMPUTE_PGM_RSRC2:TGID_Z_EN: 0
; COMPUTE_PGM_RSRC2:TIDIG_COMP_CNT: 0
	.section	.text._ZN9rocsparseL32bsr2csr_block_per_row_2_7_kernelILj256ELj5E21rocsparse_complex_numIfEiiEEv20rocsparse_direction_T3_S4_21rocsparse_index_base_PKT1_PKT2_PKS4_S4_S5_PS6_PS9_PS4_,"axG",@progbits,_ZN9rocsparseL32bsr2csr_block_per_row_2_7_kernelILj256ELj5E21rocsparse_complex_numIfEiiEEv20rocsparse_direction_T3_S4_21rocsparse_index_base_PKT1_PKT2_PKS4_S4_S5_PS6_PS9_PS4_,comdat
	.globl	_ZN9rocsparseL32bsr2csr_block_per_row_2_7_kernelILj256ELj5E21rocsparse_complex_numIfEiiEEv20rocsparse_direction_T3_S4_21rocsparse_index_base_PKT1_PKT2_PKS4_S4_S5_PS6_PS9_PS4_ ; -- Begin function _ZN9rocsparseL32bsr2csr_block_per_row_2_7_kernelILj256ELj5E21rocsparse_complex_numIfEiiEEv20rocsparse_direction_T3_S4_21rocsparse_index_base_PKT1_PKT2_PKS4_S4_S5_PS6_PS9_PS4_
	.p2align	8
	.type	_ZN9rocsparseL32bsr2csr_block_per_row_2_7_kernelILj256ELj5E21rocsparse_complex_numIfEiiEEv20rocsparse_direction_T3_S4_21rocsparse_index_base_PKT1_PKT2_PKS4_S4_S5_PS6_PS9_PS4_,@function
_ZN9rocsparseL32bsr2csr_block_per_row_2_7_kernelILj256ELj5E21rocsparse_complex_numIfEiiEEv20rocsparse_direction_T3_S4_21rocsparse_index_base_PKT1_PKT2_PKS4_S4_S5_PS6_PS9_PS4_: ; @_ZN9rocsparseL32bsr2csr_block_per_row_2_7_kernelILj256ELj5E21rocsparse_complex_numIfEiiEEv20rocsparse_direction_T3_S4_21rocsparse_index_base_PKT1_PKT2_PKS4_S4_S5_PS6_PS9_PS4_
; %bb.0:
	s_clause 0x2
	s_load_dwordx2 s[8:9], s[4:5], 0x18
	s_load_dword s2, s[4:5], 0x2c
	s_load_dwordx2 s[0:1], s[4:5], 0x38
	s_ashr_i32 s7, s6, 31
	v_or_b32_e32 v1, s6, v0
	s_lshl_b64 s[10:11], s[6:7], 2
	s_mov_b32 s3, exec_lo
	s_waitcnt lgkmcnt(0)
	s_add_u32 s8, s8, s10
	s_addc_u32 s9, s9, s11
	v_cmpx_eq_u32_e32 0, v1
	s_cbranch_execz .LBB160_2
; %bb.1:
	v_mov_b32_e32 v1, 0
	v_mov_b32_e32 v2, s2
	global_store_dword v1, v2, s[0:1]
.LBB160_2:
	s_or_b32 exec_lo, exec_lo, s3
	v_and_b32_e32 v3, 7, v0
	s_mov_b32 s3, exec_lo
	v_cmpx_gt_u32_e32 5, v3
	s_cbranch_execz .LBB160_6
; %bb.3:
	s_load_dwordx2 s[12:13], s[8:9], 0x0
	s_load_dword s3, s[4:5], 0xc
	s_mul_i32 s6, s6, 5
	v_mov_b32_e32 v2, 0
	v_add3_u32 v1, v3, s6, 1
	v_lshrrev_b32_e32 v5, 3, v0
	v_lshlrev_b64 v[6:7], 2, v[1:2]
	v_add_co_u32 v6, vcc_lo, s0, v6
	v_add_co_ci_u32_e64 v7, null, s1, v7, vcc_lo
	s_waitcnt lgkmcnt(0)
	s_sub_i32 s7, s12, s3
	s_sub_i32 s13, s13, s3
	v_add_nc_u32_e32 v0, s7, v5
	s_sub_i32 s8, s13, s7
	s_mul_i32 s6, s7, 25
	s_mul_i32 s8, s8, 5
	v_mul_lo_u32 v4, s8, v3
	s_add_i32 s8, s8, s2
	v_cmp_gt_i32_e32 vcc_lo, s13, v0
	v_add3_u32 v1, s8, s6, v4
	global_store_dword v[6:7], v1, off
	s_and_b32 exec_lo, exec_lo, vcc_lo
	s_cbranch_execz .LBB160_6
; %bb.4:
	s_clause 0x2
	s_load_dwordx2 s[6:7], s[4:5], 0x20
	s_load_dwordx2 s[8:9], s[4:5], 0x30
	s_load_dword s0, s[4:5], 0x0
	v_add_nc_u32_e32 v1, s12, v5
	s_clause 0x1
	s_load_dwordx2 s[10:11], s[4:5], 0x10
	s_load_dwordx2 s[4:5], s[4:5], 0x40
	v_mul_u32_u24_e32 v5, 5, v5
	s_mul_i32 s1, s12, 25
	s_mov_b32 s12, 0
	v_mul_lo_u32 v1, v1, 25
	s_mov_b32 s14, 0
	v_add3_u32 v5, v4, s1, v5
	s_mul_i32 s1, s3, 25
	v_mad_u32_u24 v1, v3, 5, v1
	v_mad_u64_u32 v[3:4], null, v0, 25, v[3:4]
	v_subrev_nc_u32_e32 v4, s1, v5
	v_subrev_nc_u32_e32 v6, s1, v1
	s_waitcnt lgkmcnt(0)
	s_cmp_eq_u32 s0, 0
	s_cselect_b32 vcc_lo, -1, 0
.LBB160_5:                              ; =>This Inner Loop Header: Depth=1
	v_ashrrev_i32_e32 v1, 31, v0
	v_add_nc_u32_e32 v5, s14, v3
	v_add_nc_u32_e32 v9, s14, v6
	s_addk_i32 s14, 0x320
	v_lshlrev_b64 v[7:8], 2, v[0:1]
	v_add_nc_u32_e32 v12, 5, v5
	v_cndmask_b32_e32 v1, v5, v9, vcc_lo
	v_add_nc_u32_e32 v11, 1, v9
	v_add_nc_u32_e32 v13, 2, v9
	;; [unrolled: 1-line block ×5, first 2 shown]
	v_lshlrev_b64 v[9:10], 3, v[1:2]
	v_cndmask_b32_e32 v1, v12, v11, vcc_lo
	v_add_co_u32 v7, s0, s6, v7
	v_add_nc_u32_e32 v16, 15, v5
	v_add_co_ci_u32_e64 v8, null, s7, v8, s0
	v_lshlrev_b64 v[11:12], 3, v[1:2]
	v_cndmask_b32_e32 v1, v14, v13, vcc_lo
	v_add_co_u32 v9, s0, s10, v9
	v_add_co_ci_u32_e64 v10, null, s11, v10, s0
	v_add_nc_u32_e32 v5, 20, v5
	v_lshlrev_b64 v[13:14], 3, v[1:2]
	v_cndmask_b32_e32 v1, v16, v15, vcc_lo
	global_load_dword v24, v[7:8], off
	global_load_dwordx2 v[7:8], v[9:10], off
	v_add_co_u32 v9, s0, s10, v11
	v_add_co_ci_u32_e64 v10, null, s11, v12, s0
	v_lshlrev_b64 v[11:12], 3, v[1:2]
	v_cndmask_b32_e32 v1, v5, v17, vcc_lo
	v_add_co_u32 v13, s0, s10, v13
	v_add_co_ci_u32_e64 v14, null, s11, v14, s0
	v_lshlrev_b64 v[15:16], 3, v[1:2]
	v_add_co_u32 v17, s0, s10, v11
	v_add_co_ci_u32_e64 v18, null, s11, v12, s0
	v_ashrrev_i32_e32 v5, 31, v4
	v_add_co_u32 v15, s0, s10, v15
	v_add_co_ci_u32_e64 v16, null, s11, v16, s0
	s_clause 0x3
	global_load_dwordx2 v[9:10], v[9:10], off
	global_load_dwordx2 v[11:12], v[13:14], off
	;; [unrolled: 1-line block ×4, first 2 shown]
	v_lshlrev_b64 v[15:16], 2, v[4:5]
	v_lshlrev_b64 v[17:18], 3, v[4:5]
	v_add_nc_u32_e32 v0, 32, v0
	v_add_nc_u32_e32 v4, 0xa0, v4
	v_add_co_u32 v21, s1, s4, v15
	v_add_co_ci_u32_e64 v22, null, s5, v16, s1
	v_cmp_le_i32_e64 s0, s13, v0
	v_add_co_u32 v23, s1, s8, v17
	s_or_b32 s12, s0, s12
	s_waitcnt vmcnt(5)
	v_subrev_nc_u32_e32 v1, s3, v24
	v_add_co_ci_u32_e64 v24, null, s9, v18, s1
	v_mad_u64_u32 v[15:16], null, v1, 5, s[2:3]
	v_add_nc_u32_e32 v16, 1, v15
	v_add_nc_u32_e32 v17, 2, v15
	v_add_nc_u32_e32 v18, 3, v15
	v_add_nc_u32_e32 v1, 4, v15
	s_waitcnt vmcnt(3)
	global_store_dwordx4 v[23:24], v[7:10], off
	global_store_dwordx4 v[21:22], v[15:18], off
	global_store_dword v[21:22], v1, off offset:16
	s_waitcnt vmcnt(1)
	global_store_dwordx4 v[23:24], v[11:14], off offset:16
	s_waitcnt vmcnt(0)
	global_store_dwordx2 v[23:24], v[19:20], off offset:32
	s_andn2_b32 exec_lo, exec_lo, s12
	s_cbranch_execnz .LBB160_5
.LBB160_6:
	s_endpgm
	.section	.rodata,"a",@progbits
	.p2align	6, 0x0
	.amdhsa_kernel _ZN9rocsparseL32bsr2csr_block_per_row_2_7_kernelILj256ELj5E21rocsparse_complex_numIfEiiEEv20rocsparse_direction_T3_S4_21rocsparse_index_base_PKT1_PKT2_PKS4_S4_S5_PS6_PS9_PS4_
		.amdhsa_group_segment_fixed_size 0
		.amdhsa_private_segment_fixed_size 0
		.amdhsa_kernarg_size 72
		.amdhsa_user_sgpr_count 6
		.amdhsa_user_sgpr_private_segment_buffer 1
		.amdhsa_user_sgpr_dispatch_ptr 0
		.amdhsa_user_sgpr_queue_ptr 0
		.amdhsa_user_sgpr_kernarg_segment_ptr 1
		.amdhsa_user_sgpr_dispatch_id 0
		.amdhsa_user_sgpr_flat_scratch_init 0
		.amdhsa_user_sgpr_private_segment_size 0
		.amdhsa_wavefront_size32 1
		.amdhsa_uses_dynamic_stack 0
		.amdhsa_system_sgpr_private_segment_wavefront_offset 0
		.amdhsa_system_sgpr_workgroup_id_x 1
		.amdhsa_system_sgpr_workgroup_id_y 0
		.amdhsa_system_sgpr_workgroup_id_z 0
		.amdhsa_system_sgpr_workgroup_info 0
		.amdhsa_system_vgpr_workitem_id 0
		.amdhsa_next_free_vgpr 25
		.amdhsa_next_free_sgpr 15
		.amdhsa_reserve_vcc 1
		.amdhsa_reserve_flat_scratch 0
		.amdhsa_float_round_mode_32 0
		.amdhsa_float_round_mode_16_64 0
		.amdhsa_float_denorm_mode_32 3
		.amdhsa_float_denorm_mode_16_64 3
		.amdhsa_dx10_clamp 1
		.amdhsa_ieee_mode 1
		.amdhsa_fp16_overflow 0
		.amdhsa_workgroup_processor_mode 1
		.amdhsa_memory_ordered 1
		.amdhsa_forward_progress 1
		.amdhsa_shared_vgpr_count 0
		.amdhsa_exception_fp_ieee_invalid_op 0
		.amdhsa_exception_fp_denorm_src 0
		.amdhsa_exception_fp_ieee_div_zero 0
		.amdhsa_exception_fp_ieee_overflow 0
		.amdhsa_exception_fp_ieee_underflow 0
		.amdhsa_exception_fp_ieee_inexact 0
		.amdhsa_exception_int_div_zero 0
	.end_amdhsa_kernel
	.section	.text._ZN9rocsparseL32bsr2csr_block_per_row_2_7_kernelILj256ELj5E21rocsparse_complex_numIfEiiEEv20rocsparse_direction_T3_S4_21rocsparse_index_base_PKT1_PKT2_PKS4_S4_S5_PS6_PS9_PS4_,"axG",@progbits,_ZN9rocsparseL32bsr2csr_block_per_row_2_7_kernelILj256ELj5E21rocsparse_complex_numIfEiiEEv20rocsparse_direction_T3_S4_21rocsparse_index_base_PKT1_PKT2_PKS4_S4_S5_PS6_PS9_PS4_,comdat
.Lfunc_end160:
	.size	_ZN9rocsparseL32bsr2csr_block_per_row_2_7_kernelILj256ELj5E21rocsparse_complex_numIfEiiEEv20rocsparse_direction_T3_S4_21rocsparse_index_base_PKT1_PKT2_PKS4_S4_S5_PS6_PS9_PS4_, .Lfunc_end160-_ZN9rocsparseL32bsr2csr_block_per_row_2_7_kernelILj256ELj5E21rocsparse_complex_numIfEiiEEv20rocsparse_direction_T3_S4_21rocsparse_index_base_PKT1_PKT2_PKS4_S4_S5_PS6_PS9_PS4_
                                        ; -- End function
	.set _ZN9rocsparseL32bsr2csr_block_per_row_2_7_kernelILj256ELj5E21rocsparse_complex_numIfEiiEEv20rocsparse_direction_T3_S4_21rocsparse_index_base_PKT1_PKT2_PKS4_S4_S5_PS6_PS9_PS4_.num_vgpr, 25
	.set _ZN9rocsparseL32bsr2csr_block_per_row_2_7_kernelILj256ELj5E21rocsparse_complex_numIfEiiEEv20rocsparse_direction_T3_S4_21rocsparse_index_base_PKT1_PKT2_PKS4_S4_S5_PS6_PS9_PS4_.num_agpr, 0
	.set _ZN9rocsparseL32bsr2csr_block_per_row_2_7_kernelILj256ELj5E21rocsparse_complex_numIfEiiEEv20rocsparse_direction_T3_S4_21rocsparse_index_base_PKT1_PKT2_PKS4_S4_S5_PS6_PS9_PS4_.numbered_sgpr, 15
	.set _ZN9rocsparseL32bsr2csr_block_per_row_2_7_kernelILj256ELj5E21rocsparse_complex_numIfEiiEEv20rocsparse_direction_T3_S4_21rocsparse_index_base_PKT1_PKT2_PKS4_S4_S5_PS6_PS9_PS4_.num_named_barrier, 0
	.set _ZN9rocsparseL32bsr2csr_block_per_row_2_7_kernelILj256ELj5E21rocsparse_complex_numIfEiiEEv20rocsparse_direction_T3_S4_21rocsparse_index_base_PKT1_PKT2_PKS4_S4_S5_PS6_PS9_PS4_.private_seg_size, 0
	.set _ZN9rocsparseL32bsr2csr_block_per_row_2_7_kernelILj256ELj5E21rocsparse_complex_numIfEiiEEv20rocsparse_direction_T3_S4_21rocsparse_index_base_PKT1_PKT2_PKS4_S4_S5_PS6_PS9_PS4_.uses_vcc, 1
	.set _ZN9rocsparseL32bsr2csr_block_per_row_2_7_kernelILj256ELj5E21rocsparse_complex_numIfEiiEEv20rocsparse_direction_T3_S4_21rocsparse_index_base_PKT1_PKT2_PKS4_S4_S5_PS6_PS9_PS4_.uses_flat_scratch, 0
	.set _ZN9rocsparseL32bsr2csr_block_per_row_2_7_kernelILj256ELj5E21rocsparse_complex_numIfEiiEEv20rocsparse_direction_T3_S4_21rocsparse_index_base_PKT1_PKT2_PKS4_S4_S5_PS6_PS9_PS4_.has_dyn_sized_stack, 0
	.set _ZN9rocsparseL32bsr2csr_block_per_row_2_7_kernelILj256ELj5E21rocsparse_complex_numIfEiiEEv20rocsparse_direction_T3_S4_21rocsparse_index_base_PKT1_PKT2_PKS4_S4_S5_PS6_PS9_PS4_.has_recursion, 0
	.set _ZN9rocsparseL32bsr2csr_block_per_row_2_7_kernelILj256ELj5E21rocsparse_complex_numIfEiiEEv20rocsparse_direction_T3_S4_21rocsparse_index_base_PKT1_PKT2_PKS4_S4_S5_PS6_PS9_PS4_.has_indirect_call, 0
	.section	.AMDGPU.csdata,"",@progbits
; Kernel info:
; codeLenInByte = 788
; TotalNumSgprs: 17
; NumVgprs: 25
; ScratchSize: 0
; MemoryBound: 0
; FloatMode: 240
; IeeeMode: 1
; LDSByteSize: 0 bytes/workgroup (compile time only)
; SGPRBlocks: 0
; VGPRBlocks: 3
; NumSGPRsForWavesPerEU: 17
; NumVGPRsForWavesPerEU: 25
; Occupancy: 16
; WaveLimiterHint : 1
; COMPUTE_PGM_RSRC2:SCRATCH_EN: 0
; COMPUTE_PGM_RSRC2:USER_SGPR: 6
; COMPUTE_PGM_RSRC2:TRAP_HANDLER: 0
; COMPUTE_PGM_RSRC2:TGID_X_EN: 1
; COMPUTE_PGM_RSRC2:TGID_Y_EN: 0
; COMPUTE_PGM_RSRC2:TGID_Z_EN: 0
; COMPUTE_PGM_RSRC2:TIDIG_COMP_CNT: 0
	.section	.text._ZN9rocsparseL32bsr2csr_block_per_row_2_7_kernelILj256ELj6E21rocsparse_complex_numIfEiiEEv20rocsparse_direction_T3_S4_21rocsparse_index_base_PKT1_PKT2_PKS4_S4_S5_PS6_PS9_PS4_,"axG",@progbits,_ZN9rocsparseL32bsr2csr_block_per_row_2_7_kernelILj256ELj6E21rocsparse_complex_numIfEiiEEv20rocsparse_direction_T3_S4_21rocsparse_index_base_PKT1_PKT2_PKS4_S4_S5_PS6_PS9_PS4_,comdat
	.globl	_ZN9rocsparseL32bsr2csr_block_per_row_2_7_kernelILj256ELj6E21rocsparse_complex_numIfEiiEEv20rocsparse_direction_T3_S4_21rocsparse_index_base_PKT1_PKT2_PKS4_S4_S5_PS6_PS9_PS4_ ; -- Begin function _ZN9rocsparseL32bsr2csr_block_per_row_2_7_kernelILj256ELj6E21rocsparse_complex_numIfEiiEEv20rocsparse_direction_T3_S4_21rocsparse_index_base_PKT1_PKT2_PKS4_S4_S5_PS6_PS9_PS4_
	.p2align	8
	.type	_ZN9rocsparseL32bsr2csr_block_per_row_2_7_kernelILj256ELj6E21rocsparse_complex_numIfEiiEEv20rocsparse_direction_T3_S4_21rocsparse_index_base_PKT1_PKT2_PKS4_S4_S5_PS6_PS9_PS4_,@function
_ZN9rocsparseL32bsr2csr_block_per_row_2_7_kernelILj256ELj6E21rocsparse_complex_numIfEiiEEv20rocsparse_direction_T3_S4_21rocsparse_index_base_PKT1_PKT2_PKS4_S4_S5_PS6_PS9_PS4_: ; @_ZN9rocsparseL32bsr2csr_block_per_row_2_7_kernelILj256ELj6E21rocsparse_complex_numIfEiiEEv20rocsparse_direction_T3_S4_21rocsparse_index_base_PKT1_PKT2_PKS4_S4_S5_PS6_PS9_PS4_
; %bb.0:
	s_clause 0x2
	s_load_dwordx2 s[8:9], s[4:5], 0x18
	s_load_dword s2, s[4:5], 0x2c
	s_load_dwordx2 s[0:1], s[4:5], 0x38
	s_ashr_i32 s7, s6, 31
	v_or_b32_e32 v1, s6, v0
	s_lshl_b64 s[10:11], s[6:7], 2
	s_mov_b32 s3, exec_lo
	s_waitcnt lgkmcnt(0)
	s_add_u32 s8, s8, s10
	s_addc_u32 s9, s9, s11
	v_cmpx_eq_u32_e32 0, v1
	s_cbranch_execz .LBB161_2
; %bb.1:
	v_mov_b32_e32 v1, 0
	v_mov_b32_e32 v2, s2
	global_store_dword v1, v2, s[0:1]
.LBB161_2:
	s_or_b32 exec_lo, exec_lo, s3
	v_and_b32_e32 v5, 7, v0
	s_mov_b32 s3, exec_lo
	v_cmpx_gt_u32_e32 6, v5
	s_cbranch_execz .LBB161_6
; %bb.3:
	s_load_dwordx2 s[12:13], s[8:9], 0x0
	s_load_dword s3, s[4:5], 0xc
	s_mul_i32 s6, s6, 6
	v_mov_b32_e32 v2, 0
	v_add3_u32 v1, v5, s6, 1
	v_lshrrev_b32_e32 v4, 3, v0
	v_lshlrev_b64 v[6:7], 2, v[1:2]
	v_add_co_u32 v6, vcc_lo, s0, v6
	v_add_co_ci_u32_e64 v7, null, s1, v7, vcc_lo
	s_waitcnt lgkmcnt(0)
	s_sub_i32 s7, s12, s3
	s_sub_i32 s13, s13, s3
	v_add_nc_u32_e32 v0, s7, v4
	s_sub_i32 s8, s13, s7
	s_mul_i32 s6, s7, 36
	s_mul_i32 s8, s8, 6
	v_mul_lo_u32 v3, s8, v5
	s_add_i32 s8, s8, s2
	v_cmp_gt_i32_e32 vcc_lo, s13, v0
	v_add3_u32 v1, s8, s6, v3
	global_store_dword v[6:7], v1, off
	s_and_b32 exec_lo, exec_lo, vcc_lo
	s_cbranch_execz .LBB161_6
; %bb.4:
	s_clause 0x4
	s_load_dwordx2 s[6:7], s[4:5], 0x20
	s_load_dwordx2 s[8:9], s[4:5], 0x30
	s_load_dword s0, s[4:5], 0x0
	s_load_dwordx2 s[10:11], s[4:5], 0x10
	s_load_dwordx2 s[4:5], s[4:5], 0x40
	v_mul_u32_u24_e32 v1, 6, v4
	s_mul_i32 s1, s12, 36
	s_mov_b32 s12, 0
	v_add3_u32 v1, v3, s1, v1
	v_mad_u64_u32 v[3:4], null, v0, 36, v[5:6]
	s_mul_i32 s1, s3, 36
	v_mul_u32_u24_e32 v6, 5, v5
	v_subrev_nc_u32_e32 v4, s1, v1
	s_waitcnt lgkmcnt(0)
	s_cmp_eq_u32 s0, 0
	s_cselect_b32 vcc_lo, -1, 0
.LBB161_5:                              ; =>This Inner Loop Header: Depth=1
	v_ashrrev_i32_e32 v1, 31, v0
	v_add_nc_u32_e32 v5, v6, v3
	v_add_nc_u32_e32 v11, 6, v3
	;; [unrolled: 1-line block ×4, first 2 shown]
	v_lshlrev_b64 v[7:8], 2, v[0:1]
	v_cndmask_b32_e32 v1, v3, v5, vcc_lo
	v_add_nc_u32_e32 v12, 1, v5
	v_add_nc_u32_e32 v14, 2, v5
	;; [unrolled: 1-line block ×4, first 2 shown]
	v_lshlrev_b64 v[9:10], 3, v[1:2]
	v_cndmask_b32_e32 v1, v11, v12, vcc_lo
	v_add_co_u32 v7, s0, s6, v7
	v_add_co_ci_u32_e64 v8, null, s7, v8, s0
	v_lshlrev_b64 v[11:12], 3, v[1:2]
	v_cndmask_b32_e32 v1, v13, v14, vcc_lo
	v_add_co_u32 v9, s0, s10, v9
	v_add_co_ci_u32_e64 v10, null, s11, v10, s0
	v_add_nc_u32_e32 v19, 4, v5
	v_lshlrev_b64 v[13:14], 3, v[1:2]
	v_cndmask_b32_e32 v1, v15, v18, vcc_lo
	global_load_dword v27, v[7:8], off
	global_load_dwordx2 v[7:8], v[9:10], off
	v_add_co_u32 v9, s0, s10, v11
	v_add_nc_u32_e32 v17, 30, v3
	v_add_nc_u32_e32 v5, 5, v5
	v_add_co_ci_u32_e64 v10, null, s11, v12, s0
	v_lshlrev_b64 v[11:12], 3, v[1:2]
	v_cndmask_b32_e32 v1, v16, v19, vcc_lo
	v_add_co_u32 v13, s0, s10, v13
	v_add_co_ci_u32_e64 v14, null, s11, v14, s0
	v_lshlrev_b64 v[15:16], 3, v[1:2]
	v_cndmask_b32_e32 v1, v17, v5, vcc_lo
	v_add_co_u32 v17, s0, s10, v11
	v_add_co_ci_u32_e64 v18, null, s11, v12, s0
	v_lshlrev_b64 v[11:12], 3, v[1:2]
	v_add_co_u32 v15, s0, s10, v15
	v_add_co_ci_u32_e64 v16, null, s11, v16, s0
	v_ashrrev_i32_e32 v5, 31, v4
	v_add_co_u32 v19, s0, s10, v11
	v_add_co_ci_u32_e64 v20, null, s11, v12, s0
	s_clause 0x4
	global_load_dwordx2 v[9:10], v[9:10], off
	global_load_dwordx2 v[11:12], v[13:14], off
	;; [unrolled: 1-line block ×5, first 2 shown]
	v_lshlrev_b64 v[19:20], 2, v[4:5]
	v_lshlrev_b64 v[21:22], 3, v[4:5]
	v_add_nc_u32_e32 v0, 32, v0
	v_add_nc_u32_e32 v3, 0x480, v3
	;; [unrolled: 1-line block ×3, first 2 shown]
	v_add_co_u32 v23, s1, s4, v19
	v_add_co_ci_u32_e64 v24, null, s5, v20, s1
	v_cmp_le_i32_e64 s0, s13, v0
	v_add_co_u32 v25, s1, s8, v21
	v_add_co_ci_u32_e64 v26, null, s9, v22, s1
	s_or_b32 s12, s0, s12
	s_waitcnt vmcnt(6)
	v_subrev_nc_u32_e32 v1, s3, v27
	v_mad_u64_u32 v[19:20], null, v1, 6, s[2:3]
	v_add_nc_u32_e32 v20, 1, v19
	v_add_nc_u32_e32 v21, 2, v19
	v_add_nc_u32_e32 v22, 3, v19
	v_add_nc_u32_e32 v27, 4, v19
	v_add_nc_u32_e32 v28, 5, v19
	s_waitcnt vmcnt(4)
	global_store_dwordx4 v[25:26], v[7:10], off
	global_store_dwordx4 v[23:24], v[19:22], off
	global_store_dwordx2 v[23:24], v[27:28], off offset:16
	s_waitcnt vmcnt(2)
	global_store_dwordx4 v[25:26], v[11:14], off offset:16
	s_waitcnt vmcnt(0)
	global_store_dwordx4 v[25:26], v[15:18], off offset:32
	s_andn2_b32 exec_lo, exec_lo, s12
	s_cbranch_execnz .LBB161_5
.LBB161_6:
	s_endpgm
	.section	.rodata,"a",@progbits
	.p2align	6, 0x0
	.amdhsa_kernel _ZN9rocsparseL32bsr2csr_block_per_row_2_7_kernelILj256ELj6E21rocsparse_complex_numIfEiiEEv20rocsparse_direction_T3_S4_21rocsparse_index_base_PKT1_PKT2_PKS4_S4_S5_PS6_PS9_PS4_
		.amdhsa_group_segment_fixed_size 0
		.amdhsa_private_segment_fixed_size 0
		.amdhsa_kernarg_size 72
		.amdhsa_user_sgpr_count 6
		.amdhsa_user_sgpr_private_segment_buffer 1
		.amdhsa_user_sgpr_dispatch_ptr 0
		.amdhsa_user_sgpr_queue_ptr 0
		.amdhsa_user_sgpr_kernarg_segment_ptr 1
		.amdhsa_user_sgpr_dispatch_id 0
		.amdhsa_user_sgpr_flat_scratch_init 0
		.amdhsa_user_sgpr_private_segment_size 0
		.amdhsa_wavefront_size32 1
		.amdhsa_uses_dynamic_stack 0
		.amdhsa_system_sgpr_private_segment_wavefront_offset 0
		.amdhsa_system_sgpr_workgroup_id_x 1
		.amdhsa_system_sgpr_workgroup_id_y 0
		.amdhsa_system_sgpr_workgroup_id_z 0
		.amdhsa_system_sgpr_workgroup_info 0
		.amdhsa_system_vgpr_workitem_id 0
		.amdhsa_next_free_vgpr 29
		.amdhsa_next_free_sgpr 14
		.amdhsa_reserve_vcc 1
		.amdhsa_reserve_flat_scratch 0
		.amdhsa_float_round_mode_32 0
		.amdhsa_float_round_mode_16_64 0
		.amdhsa_float_denorm_mode_32 3
		.amdhsa_float_denorm_mode_16_64 3
		.amdhsa_dx10_clamp 1
		.amdhsa_ieee_mode 1
		.amdhsa_fp16_overflow 0
		.amdhsa_workgroup_processor_mode 1
		.amdhsa_memory_ordered 1
		.amdhsa_forward_progress 1
		.amdhsa_shared_vgpr_count 0
		.amdhsa_exception_fp_ieee_invalid_op 0
		.amdhsa_exception_fp_denorm_src 0
		.amdhsa_exception_fp_ieee_div_zero 0
		.amdhsa_exception_fp_ieee_overflow 0
		.amdhsa_exception_fp_ieee_underflow 0
		.amdhsa_exception_fp_ieee_inexact 0
		.amdhsa_exception_int_div_zero 0
	.end_amdhsa_kernel
	.section	.text._ZN9rocsparseL32bsr2csr_block_per_row_2_7_kernelILj256ELj6E21rocsparse_complex_numIfEiiEEv20rocsparse_direction_T3_S4_21rocsparse_index_base_PKT1_PKT2_PKS4_S4_S5_PS6_PS9_PS4_,"axG",@progbits,_ZN9rocsparseL32bsr2csr_block_per_row_2_7_kernelILj256ELj6E21rocsparse_complex_numIfEiiEEv20rocsparse_direction_T3_S4_21rocsparse_index_base_PKT1_PKT2_PKS4_S4_S5_PS6_PS9_PS4_,comdat
.Lfunc_end161:
	.size	_ZN9rocsparseL32bsr2csr_block_per_row_2_7_kernelILj256ELj6E21rocsparse_complex_numIfEiiEEv20rocsparse_direction_T3_S4_21rocsparse_index_base_PKT1_PKT2_PKS4_S4_S5_PS6_PS9_PS4_, .Lfunc_end161-_ZN9rocsparseL32bsr2csr_block_per_row_2_7_kernelILj256ELj6E21rocsparse_complex_numIfEiiEEv20rocsparse_direction_T3_S4_21rocsparse_index_base_PKT1_PKT2_PKS4_S4_S5_PS6_PS9_PS4_
                                        ; -- End function
	.set _ZN9rocsparseL32bsr2csr_block_per_row_2_7_kernelILj256ELj6E21rocsparse_complex_numIfEiiEEv20rocsparse_direction_T3_S4_21rocsparse_index_base_PKT1_PKT2_PKS4_S4_S5_PS6_PS9_PS4_.num_vgpr, 29
	.set _ZN9rocsparseL32bsr2csr_block_per_row_2_7_kernelILj256ELj6E21rocsparse_complex_numIfEiiEEv20rocsparse_direction_T3_S4_21rocsparse_index_base_PKT1_PKT2_PKS4_S4_S5_PS6_PS9_PS4_.num_agpr, 0
	.set _ZN9rocsparseL32bsr2csr_block_per_row_2_7_kernelILj256ELj6E21rocsparse_complex_numIfEiiEEv20rocsparse_direction_T3_S4_21rocsparse_index_base_PKT1_PKT2_PKS4_S4_S5_PS6_PS9_PS4_.numbered_sgpr, 14
	.set _ZN9rocsparseL32bsr2csr_block_per_row_2_7_kernelILj256ELj6E21rocsparse_complex_numIfEiiEEv20rocsparse_direction_T3_S4_21rocsparse_index_base_PKT1_PKT2_PKS4_S4_S5_PS6_PS9_PS4_.num_named_barrier, 0
	.set _ZN9rocsparseL32bsr2csr_block_per_row_2_7_kernelILj256ELj6E21rocsparse_complex_numIfEiiEEv20rocsparse_direction_T3_S4_21rocsparse_index_base_PKT1_PKT2_PKS4_S4_S5_PS6_PS9_PS4_.private_seg_size, 0
	.set _ZN9rocsparseL32bsr2csr_block_per_row_2_7_kernelILj256ELj6E21rocsparse_complex_numIfEiiEEv20rocsparse_direction_T3_S4_21rocsparse_index_base_PKT1_PKT2_PKS4_S4_S5_PS6_PS9_PS4_.uses_vcc, 1
	.set _ZN9rocsparseL32bsr2csr_block_per_row_2_7_kernelILj256ELj6E21rocsparse_complex_numIfEiiEEv20rocsparse_direction_T3_S4_21rocsparse_index_base_PKT1_PKT2_PKS4_S4_S5_PS6_PS9_PS4_.uses_flat_scratch, 0
	.set _ZN9rocsparseL32bsr2csr_block_per_row_2_7_kernelILj256ELj6E21rocsparse_complex_numIfEiiEEv20rocsparse_direction_T3_S4_21rocsparse_index_base_PKT1_PKT2_PKS4_S4_S5_PS6_PS9_PS4_.has_dyn_sized_stack, 0
	.set _ZN9rocsparseL32bsr2csr_block_per_row_2_7_kernelILj256ELj6E21rocsparse_complex_numIfEiiEEv20rocsparse_direction_T3_S4_21rocsparse_index_base_PKT1_PKT2_PKS4_S4_S5_PS6_PS9_PS4_.has_recursion, 0
	.set _ZN9rocsparseL32bsr2csr_block_per_row_2_7_kernelILj256ELj6E21rocsparse_complex_numIfEiiEEv20rocsparse_direction_T3_S4_21rocsparse_index_base_PKT1_PKT2_PKS4_S4_S5_PS6_PS9_PS4_.has_indirect_call, 0
	.section	.AMDGPU.csdata,"",@progbits
; Kernel info:
; codeLenInByte = 808
; TotalNumSgprs: 16
; NumVgprs: 29
; ScratchSize: 0
; MemoryBound: 0
; FloatMode: 240
; IeeeMode: 1
; LDSByteSize: 0 bytes/workgroup (compile time only)
; SGPRBlocks: 0
; VGPRBlocks: 3
; NumSGPRsForWavesPerEU: 16
; NumVGPRsForWavesPerEU: 29
; Occupancy: 16
; WaveLimiterHint : 0
; COMPUTE_PGM_RSRC2:SCRATCH_EN: 0
; COMPUTE_PGM_RSRC2:USER_SGPR: 6
; COMPUTE_PGM_RSRC2:TRAP_HANDLER: 0
; COMPUTE_PGM_RSRC2:TGID_X_EN: 1
; COMPUTE_PGM_RSRC2:TGID_Y_EN: 0
; COMPUTE_PGM_RSRC2:TGID_Z_EN: 0
; COMPUTE_PGM_RSRC2:TIDIG_COMP_CNT: 0
	.section	.text._ZN9rocsparseL32bsr2csr_block_per_row_2_7_kernelILj256ELj7E21rocsparse_complex_numIfEiiEEv20rocsparse_direction_T3_S4_21rocsparse_index_base_PKT1_PKT2_PKS4_S4_S5_PS6_PS9_PS4_,"axG",@progbits,_ZN9rocsparseL32bsr2csr_block_per_row_2_7_kernelILj256ELj7E21rocsparse_complex_numIfEiiEEv20rocsparse_direction_T3_S4_21rocsparse_index_base_PKT1_PKT2_PKS4_S4_S5_PS6_PS9_PS4_,comdat
	.globl	_ZN9rocsparseL32bsr2csr_block_per_row_2_7_kernelILj256ELj7E21rocsparse_complex_numIfEiiEEv20rocsparse_direction_T3_S4_21rocsparse_index_base_PKT1_PKT2_PKS4_S4_S5_PS6_PS9_PS4_ ; -- Begin function _ZN9rocsparseL32bsr2csr_block_per_row_2_7_kernelILj256ELj7E21rocsparse_complex_numIfEiiEEv20rocsparse_direction_T3_S4_21rocsparse_index_base_PKT1_PKT2_PKS4_S4_S5_PS6_PS9_PS4_
	.p2align	8
	.type	_ZN9rocsparseL32bsr2csr_block_per_row_2_7_kernelILj256ELj7E21rocsparse_complex_numIfEiiEEv20rocsparse_direction_T3_S4_21rocsparse_index_base_PKT1_PKT2_PKS4_S4_S5_PS6_PS9_PS4_,@function
_ZN9rocsparseL32bsr2csr_block_per_row_2_7_kernelILj256ELj7E21rocsparse_complex_numIfEiiEEv20rocsparse_direction_T3_S4_21rocsparse_index_base_PKT1_PKT2_PKS4_S4_S5_PS6_PS9_PS4_: ; @_ZN9rocsparseL32bsr2csr_block_per_row_2_7_kernelILj256ELj7E21rocsparse_complex_numIfEiiEEv20rocsparse_direction_T3_S4_21rocsparse_index_base_PKT1_PKT2_PKS4_S4_S5_PS6_PS9_PS4_
; %bb.0:
	s_clause 0x2
	s_load_dwordx2 s[8:9], s[4:5], 0x18
	s_load_dword s2, s[4:5], 0x2c
	s_load_dwordx2 s[0:1], s[4:5], 0x38
	s_ashr_i32 s7, s6, 31
	v_or_b32_e32 v1, s6, v0
	s_lshl_b64 s[10:11], s[6:7], 2
	s_mov_b32 s3, exec_lo
	s_waitcnt lgkmcnt(0)
	s_add_u32 s8, s8, s10
	s_addc_u32 s9, s9, s11
	v_cmpx_eq_u32_e32 0, v1
	s_cbranch_execz .LBB162_2
; %bb.1:
	v_mov_b32_e32 v1, 0
	v_mov_b32_e32 v2, s2
	global_store_dword v1, v2, s[0:1]
.LBB162_2:
	s_or_b32 exec_lo, exec_lo, s3
	v_and_b32_e32 v5, 7, v0
	s_mov_b32 s3, exec_lo
	v_cmpx_ne_u32_e32 7, v5
	s_cbranch_execz .LBB162_6
; %bb.3:
	s_load_dwordx2 s[12:13], s[8:9], 0x0
	s_load_dword s3, s[4:5], 0xc
	s_mul_i32 s6, s6, 7
	v_mov_b32_e32 v2, 0
	v_add3_u32 v1, v5, s6, 1
	v_lshrrev_b32_e32 v4, 3, v0
	v_lshlrev_b64 v[6:7], 2, v[1:2]
	v_add_co_u32 v6, vcc_lo, s0, v6
	v_add_co_ci_u32_e64 v7, null, s1, v7, vcc_lo
	s_waitcnt lgkmcnt(0)
	s_sub_i32 s7, s12, s3
	s_sub_i32 s13, s13, s3
	v_add_nc_u32_e32 v0, s7, v4
	s_sub_i32 s8, s13, s7
	s_mul_i32 s6, s7, 49
	s_mul_i32 s8, s8, 7
	v_mul_lo_u32 v3, s8, v5
	s_add_i32 s8, s8, s2
	v_cmp_gt_i32_e32 vcc_lo, s13, v0
	v_add3_u32 v1, s8, s6, v3
	global_store_dword v[6:7], v1, off
	s_and_b32 exec_lo, exec_lo, vcc_lo
	s_cbranch_execz .LBB162_6
; %bb.4:
	s_clause 0x4
	s_load_dwordx2 s[6:7], s[4:5], 0x20
	s_load_dwordx2 s[8:9], s[4:5], 0x30
	s_load_dword s0, s[4:5], 0x0
	s_load_dwordx2 s[10:11], s[4:5], 0x10
	s_load_dwordx2 s[4:5], s[4:5], 0x40
	v_mul_u32_u24_e32 v1, 7, v4
	s_mul_i32 s1, s12, 49
	s_mov_b32 s12, 0
	v_add3_u32 v1, v3, s1, v1
	v_mad_u64_u32 v[3:4], null, v0, 49, v[5:6]
	s_mul_i32 s1, s3, 49
	v_mul_u32_u24_e32 v6, 6, v5
	v_subrev_nc_u32_e32 v4, s1, v1
	s_waitcnt lgkmcnt(0)
	s_cmp_eq_u32 s0, 0
	s_cselect_b32 vcc_lo, -1, 0
.LBB162_5:                              ; =>This Inner Loop Header: Depth=1
	v_ashrrev_i32_e32 v1, 31, v0
	v_add_nc_u32_e32 v5, v6, v3
	v_add_nc_u32_e32 v11, 7, v3
	;; [unrolled: 1-line block ×4, first 2 shown]
	v_lshlrev_b64 v[7:8], 2, v[0:1]
	v_cndmask_b32_e32 v1, v3, v5, vcc_lo
	v_add_nc_u32_e32 v12, 1, v5
	v_add_nc_u32_e32 v14, 2, v5
	;; [unrolled: 1-line block ×4, first 2 shown]
	v_lshlrev_b64 v[9:10], 3, v[1:2]
	v_cndmask_b32_e32 v1, v11, v12, vcc_lo
	v_add_co_u32 v7, s0, s6, v7
	v_add_co_ci_u32_e64 v8, null, s7, v8, s0
	v_lshlrev_b64 v[11:12], 3, v[1:2]
	v_cndmask_b32_e32 v1, v13, v14, vcc_lo
	v_add_nc_u32_e32 v20, 4, v5
	global_load_dword v29, v[7:8], off
	v_add_co_u32 v7, s0, s10, v9
	v_lshlrev_b64 v[13:14], 3, v[1:2]
	v_cndmask_b32_e32 v1, v15, v18, vcc_lo
	v_add_co_ci_u32_e64 v8, null, s11, v10, s0
	v_add_co_u32 v9, s0, s10, v11
	v_add_nc_u32_e32 v17, 35, v3
	v_add_nc_u32_e32 v21, 5, v5
	v_add_co_ci_u32_e64 v10, null, s11, v12, s0
	v_lshlrev_b64 v[11:12], 3, v[1:2]
	v_cndmask_b32_e32 v1, v16, v20, vcc_lo
	v_add_nc_u32_e32 v19, 42, v3
	v_add_nc_u32_e32 v5, 6, v5
	v_add_co_u32 v13, s0, s10, v13
	v_lshlrev_b64 v[15:16], 3, v[1:2]
	v_cndmask_b32_e32 v1, v17, v21, vcc_lo
	v_add_co_ci_u32_e64 v14, null, s11, v14, s0
	v_add_co_u32 v17, s0, s10, v11
	v_add_co_ci_u32_e64 v18, null, s11, v12, s0
	v_lshlrev_b64 v[11:12], 3, v[1:2]
	v_cndmask_b32_e32 v1, v19, v5, vcc_lo
	v_add_co_u32 v15, s0, s10, v15
	v_add_co_ci_u32_e64 v16, null, s11, v16, s0
	v_lshlrev_b64 v[19:20], 3, v[1:2]
	v_add_co_u32 v21, s0, s10, v11
	s_clause 0x1
	global_load_dwordx2 v[7:8], v[7:8], off
	global_load_dwordx2 v[9:10], v[9:10], off
	v_add_co_ci_u32_e64 v22, null, s11, v12, s0
	v_add_co_u32 v19, s0, s10, v19
	v_add_co_ci_u32_e64 v20, null, s11, v20, s0
	s_clause 0x4
	global_load_dwordx2 v[11:12], v[13:14], off
	global_load_dwordx2 v[13:14], v[17:18], off
	;; [unrolled: 1-line block ×5, first 2 shown]
	v_ashrrev_i32_e32 v5, 31, v4
	v_add_nc_u32_e32 v0, 32, v0
	v_add_nc_u32_e32 v3, 0x620, v3
	v_lshlrev_b64 v[19:20], 2, v[4:5]
	v_lshlrev_b64 v[21:22], 3, v[4:5]
	v_cmp_le_i32_e64 s0, s13, v0
	v_add_nc_u32_e32 v4, 0xe0, v4
	v_add_co_u32 v25, s1, s4, v19
	v_add_co_ci_u32_e64 v26, null, s5, v20, s1
	v_add_co_u32 v27, s1, s8, v21
	v_add_co_ci_u32_e64 v28, null, s9, v22, s1
	s_or_b32 s12, s0, s12
	s_waitcnt vmcnt(7)
	v_subrev_nc_u32_e32 v1, s3, v29
	v_mad_u64_u32 v[19:20], null, v1, 7, s[2:3]
	v_add_nc_u32_e32 v20, 1, v19
	v_add_nc_u32_e32 v21, 2, v19
	;; [unrolled: 1-line block ×3, first 2 shown]
	s_waitcnt vmcnt(5)
	global_store_dwordx4 v[27:28], v[7:10], off
	v_add_nc_u32_e32 v7, 4, v19
	v_add_nc_u32_e32 v8, 5, v19
	;; [unrolled: 1-line block ×3, first 2 shown]
	global_store_dwordx4 v[25:26], v[19:22], off
	global_store_dwordx3 v[25:26], v[7:9], off offset:16
	s_waitcnt vmcnt(3)
	global_store_dwordx4 v[27:28], v[11:14], off offset:16
	s_waitcnt vmcnt(1)
	global_store_dwordx4 v[27:28], v[15:18], off offset:32
	s_waitcnt vmcnt(0)
	global_store_dwordx2 v[27:28], v[23:24], off offset:48
	s_andn2_b32 exec_lo, exec_lo, s12
	s_cbranch_execnz .LBB162_5
.LBB162_6:
	s_endpgm
	.section	.rodata,"a",@progbits
	.p2align	6, 0x0
	.amdhsa_kernel _ZN9rocsparseL32bsr2csr_block_per_row_2_7_kernelILj256ELj7E21rocsparse_complex_numIfEiiEEv20rocsparse_direction_T3_S4_21rocsparse_index_base_PKT1_PKT2_PKS4_S4_S5_PS6_PS9_PS4_
		.amdhsa_group_segment_fixed_size 0
		.amdhsa_private_segment_fixed_size 0
		.amdhsa_kernarg_size 72
		.amdhsa_user_sgpr_count 6
		.amdhsa_user_sgpr_private_segment_buffer 1
		.amdhsa_user_sgpr_dispatch_ptr 0
		.amdhsa_user_sgpr_queue_ptr 0
		.amdhsa_user_sgpr_kernarg_segment_ptr 1
		.amdhsa_user_sgpr_dispatch_id 0
		.amdhsa_user_sgpr_flat_scratch_init 0
		.amdhsa_user_sgpr_private_segment_size 0
		.amdhsa_wavefront_size32 1
		.amdhsa_uses_dynamic_stack 0
		.amdhsa_system_sgpr_private_segment_wavefront_offset 0
		.amdhsa_system_sgpr_workgroup_id_x 1
		.amdhsa_system_sgpr_workgroup_id_y 0
		.amdhsa_system_sgpr_workgroup_id_z 0
		.amdhsa_system_sgpr_workgroup_info 0
		.amdhsa_system_vgpr_workitem_id 0
		.amdhsa_next_free_vgpr 30
		.amdhsa_next_free_sgpr 14
		.amdhsa_reserve_vcc 1
		.amdhsa_reserve_flat_scratch 0
		.amdhsa_float_round_mode_32 0
		.amdhsa_float_round_mode_16_64 0
		.amdhsa_float_denorm_mode_32 3
		.amdhsa_float_denorm_mode_16_64 3
		.amdhsa_dx10_clamp 1
		.amdhsa_ieee_mode 1
		.amdhsa_fp16_overflow 0
		.amdhsa_workgroup_processor_mode 1
		.amdhsa_memory_ordered 1
		.amdhsa_forward_progress 1
		.amdhsa_shared_vgpr_count 0
		.amdhsa_exception_fp_ieee_invalid_op 0
		.amdhsa_exception_fp_denorm_src 0
		.amdhsa_exception_fp_ieee_div_zero 0
		.amdhsa_exception_fp_ieee_overflow 0
		.amdhsa_exception_fp_ieee_underflow 0
		.amdhsa_exception_fp_ieee_inexact 0
		.amdhsa_exception_int_div_zero 0
	.end_amdhsa_kernel
	.section	.text._ZN9rocsparseL32bsr2csr_block_per_row_2_7_kernelILj256ELj7E21rocsparse_complex_numIfEiiEEv20rocsparse_direction_T3_S4_21rocsparse_index_base_PKT1_PKT2_PKS4_S4_S5_PS6_PS9_PS4_,"axG",@progbits,_ZN9rocsparseL32bsr2csr_block_per_row_2_7_kernelILj256ELj7E21rocsparse_complex_numIfEiiEEv20rocsparse_direction_T3_S4_21rocsparse_index_base_PKT1_PKT2_PKS4_S4_S5_PS6_PS9_PS4_,comdat
.Lfunc_end162:
	.size	_ZN9rocsparseL32bsr2csr_block_per_row_2_7_kernelILj256ELj7E21rocsparse_complex_numIfEiiEEv20rocsparse_direction_T3_S4_21rocsparse_index_base_PKT1_PKT2_PKS4_S4_S5_PS6_PS9_PS4_, .Lfunc_end162-_ZN9rocsparseL32bsr2csr_block_per_row_2_7_kernelILj256ELj7E21rocsparse_complex_numIfEiiEEv20rocsparse_direction_T3_S4_21rocsparse_index_base_PKT1_PKT2_PKS4_S4_S5_PS6_PS9_PS4_
                                        ; -- End function
	.set _ZN9rocsparseL32bsr2csr_block_per_row_2_7_kernelILj256ELj7E21rocsparse_complex_numIfEiiEEv20rocsparse_direction_T3_S4_21rocsparse_index_base_PKT1_PKT2_PKS4_S4_S5_PS6_PS9_PS4_.num_vgpr, 30
	.set _ZN9rocsparseL32bsr2csr_block_per_row_2_7_kernelILj256ELj7E21rocsparse_complex_numIfEiiEEv20rocsparse_direction_T3_S4_21rocsparse_index_base_PKT1_PKT2_PKS4_S4_S5_PS6_PS9_PS4_.num_agpr, 0
	.set _ZN9rocsparseL32bsr2csr_block_per_row_2_7_kernelILj256ELj7E21rocsparse_complex_numIfEiiEEv20rocsparse_direction_T3_S4_21rocsparse_index_base_PKT1_PKT2_PKS4_S4_S5_PS6_PS9_PS4_.numbered_sgpr, 14
	.set _ZN9rocsparseL32bsr2csr_block_per_row_2_7_kernelILj256ELj7E21rocsparse_complex_numIfEiiEEv20rocsparse_direction_T3_S4_21rocsparse_index_base_PKT1_PKT2_PKS4_S4_S5_PS6_PS9_PS4_.num_named_barrier, 0
	.set _ZN9rocsparseL32bsr2csr_block_per_row_2_7_kernelILj256ELj7E21rocsparse_complex_numIfEiiEEv20rocsparse_direction_T3_S4_21rocsparse_index_base_PKT1_PKT2_PKS4_S4_S5_PS6_PS9_PS4_.private_seg_size, 0
	.set _ZN9rocsparseL32bsr2csr_block_per_row_2_7_kernelILj256ELj7E21rocsparse_complex_numIfEiiEEv20rocsparse_direction_T3_S4_21rocsparse_index_base_PKT1_PKT2_PKS4_S4_S5_PS6_PS9_PS4_.uses_vcc, 1
	.set _ZN9rocsparseL32bsr2csr_block_per_row_2_7_kernelILj256ELj7E21rocsparse_complex_numIfEiiEEv20rocsparse_direction_T3_S4_21rocsparse_index_base_PKT1_PKT2_PKS4_S4_S5_PS6_PS9_PS4_.uses_flat_scratch, 0
	.set _ZN9rocsparseL32bsr2csr_block_per_row_2_7_kernelILj256ELj7E21rocsparse_complex_numIfEiiEEv20rocsparse_direction_T3_S4_21rocsparse_index_base_PKT1_PKT2_PKS4_S4_S5_PS6_PS9_PS4_.has_dyn_sized_stack, 0
	.set _ZN9rocsparseL32bsr2csr_block_per_row_2_7_kernelILj256ELj7E21rocsparse_complex_numIfEiiEEv20rocsparse_direction_T3_S4_21rocsparse_index_base_PKT1_PKT2_PKS4_S4_S5_PS6_PS9_PS4_.has_recursion, 0
	.set _ZN9rocsparseL32bsr2csr_block_per_row_2_7_kernelILj256ELj7E21rocsparse_complex_numIfEiiEEv20rocsparse_direction_T3_S4_21rocsparse_index_base_PKT1_PKT2_PKS4_S4_S5_PS6_PS9_PS4_.has_indirect_call, 0
	.section	.AMDGPU.csdata,"",@progbits
; Kernel info:
; codeLenInByte = 872
; TotalNumSgprs: 16
; NumVgprs: 30
; ScratchSize: 0
; MemoryBound: 0
; FloatMode: 240
; IeeeMode: 1
; LDSByteSize: 0 bytes/workgroup (compile time only)
; SGPRBlocks: 0
; VGPRBlocks: 3
; NumSGPRsForWavesPerEU: 16
; NumVGPRsForWavesPerEU: 30
; Occupancy: 16
; WaveLimiterHint : 0
; COMPUTE_PGM_RSRC2:SCRATCH_EN: 0
; COMPUTE_PGM_RSRC2:USER_SGPR: 6
; COMPUTE_PGM_RSRC2:TRAP_HANDLER: 0
; COMPUTE_PGM_RSRC2:TGID_X_EN: 1
; COMPUTE_PGM_RSRC2:TGID_Y_EN: 0
; COMPUTE_PGM_RSRC2:TGID_Z_EN: 0
; COMPUTE_PGM_RSRC2:TIDIG_COMP_CNT: 0
	.section	.text._ZN9rocsparseL33bsr2csr_block_per_row_8_32_kernelILj1024ELj8E21rocsparse_complex_numIfEiiEEv20rocsparse_direction_T3_S4_21rocsparse_index_base_PKT1_PKT2_PKS4_S4_S5_PS6_PS9_PS4_,"axG",@progbits,_ZN9rocsparseL33bsr2csr_block_per_row_8_32_kernelILj1024ELj8E21rocsparse_complex_numIfEiiEEv20rocsparse_direction_T3_S4_21rocsparse_index_base_PKT1_PKT2_PKS4_S4_S5_PS6_PS9_PS4_,comdat
	.globl	_ZN9rocsparseL33bsr2csr_block_per_row_8_32_kernelILj1024ELj8E21rocsparse_complex_numIfEiiEEv20rocsparse_direction_T3_S4_21rocsparse_index_base_PKT1_PKT2_PKS4_S4_S5_PS6_PS9_PS4_ ; -- Begin function _ZN9rocsparseL33bsr2csr_block_per_row_8_32_kernelILj1024ELj8E21rocsparse_complex_numIfEiiEEv20rocsparse_direction_T3_S4_21rocsparse_index_base_PKT1_PKT2_PKS4_S4_S5_PS6_PS9_PS4_
	.p2align	8
	.type	_ZN9rocsparseL33bsr2csr_block_per_row_8_32_kernelILj1024ELj8E21rocsparse_complex_numIfEiiEEv20rocsparse_direction_T3_S4_21rocsparse_index_base_PKT1_PKT2_PKS4_S4_S5_PS6_PS9_PS4_,@function
_ZN9rocsparseL33bsr2csr_block_per_row_8_32_kernelILj1024ELj8E21rocsparse_complex_numIfEiiEEv20rocsparse_direction_T3_S4_21rocsparse_index_base_PKT1_PKT2_PKS4_S4_S5_PS6_PS9_PS4_: ; @_ZN9rocsparseL33bsr2csr_block_per_row_8_32_kernelILj1024ELj8E21rocsparse_complex_numIfEiiEEv20rocsparse_direction_T3_S4_21rocsparse_index_base_PKT1_PKT2_PKS4_S4_S5_PS6_PS9_PS4_
; %bb.0:
	s_clause 0x2
	s_load_dwordx2 s[8:9], s[4:5], 0x18
	s_load_dwordx2 s[2:3], s[4:5], 0x28
	;; [unrolled: 1-line block ×3, first 2 shown]
	s_ashr_i32 s7, s6, 31
	v_or_b32_e32 v1, s6, v0
	s_lshl_b64 s[10:11], s[6:7], 2
	s_mov_b32 s7, exec_lo
	s_waitcnt lgkmcnt(0)
	s_add_u32 s8, s8, s10
	s_addc_u32 s9, s9, s11
	v_cmpx_eq_u32_e32 0, v1
	s_cbranch_execz .LBB163_2
; %bb.1:
	v_mov_b32_e32 v1, 0
	v_mov_b32_e32 v2, s3
	global_store_dword v1, v2, s[0:1]
.LBB163_2:
	s_or_b32 exec_lo, exec_lo, s7
	v_and_b32_e32 v1, 7, v0
	v_bfe_u32 v2, v0, 3, 3
	s_mov_b32 s7, exec_lo
	v_max_i32_e32 v3, v2, v1
	v_cmpx_gt_i32_e64 s2, v3
	s_cbranch_execz .LBB163_6
; %bb.3:
	s_load_dwordx2 s[8:9], s[8:9], 0x0
	s_load_dword s12, s[4:5], 0xc
	v_mad_u64_u32 v[4:5], null, s2, s6, v[2:3]
	v_lshrrev_b32_e32 v3, 6, v0
	s_mul_i32 s14, s2, s2
	v_ashrrev_i32_e32 v5, 31, v4
	v_lshlrev_b64 v[4:5], 2, v[4:5]
	v_add_co_u32 v4, vcc_lo, s0, v4
	s_waitcnt lgkmcnt(0)
	s_sub_i32 s15, s8, s12
	s_sub_i32 s13, s9, s12
	v_add_nc_u32_e32 v0, s15, v3
	s_sub_i32 s16, s13, s15
	s_mul_i32 s7, s15, s14
	s_mul_i32 s6, s16, s2
	v_add_co_ci_u32_e64 v5, null, s1, v5, vcc_lo
	v_mul_lo_u32 v6, s6, v2
	s_add_i32 s6, s6, s3
	v_cmp_gt_i32_e32 vcc_lo, s13, v0
	v_add3_u32 v6, s6, s7, v6
	global_store_dword v[4:5], v6, off offset:4
	s_and_b32 exec_lo, exec_lo, vcc_lo
	s_cbranch_execz .LBB163_6
; %bb.4:
	s_clause 0x2
	s_load_dwordx2 s[6:7], s[4:5], 0x20
	s_load_dwordx2 s[8:9], s[4:5], 0x30
	s_load_dword s0, s[4:5], 0x0
	v_mad_u64_u32 v[4:5], null, s2, v1, v[2:3]
	v_mad_u64_u32 v[5:6], null, s2, v2, v[1:2]
	v_mul_lo_u32 v6, s16, v2
	s_clause 0x1
	s_load_dwordx2 s[10:11], s[4:5], 0x10
	s_load_dwordx2 s[4:5], s[4:5], 0x40
	s_mov_b32 s1, 0
	s_waitcnt lgkmcnt(0)
	s_cmp_eq_u32 s0, 0
	s_mul_i32 s0, s2, s15
	s_cselect_b32 vcc_lo, -1, 0
	v_cndmask_b32_e32 v2, v4, v5, vcc_lo
	v_add3_u32 v4, v3, s0, v6
	v_add_nc_u32_e32 v6, s3, v1
	s_lshl_b32 s3, s14, 4
	v_mad_u64_u32 v[2:3], null, s14, v0, v[2:3]
	s_lshl_b32 s14, s2, 4
	v_mad_u64_u32 v[4:5], null, s2, v4, v[1:2]
	s_inst_prefetch 0x1
	.p2align	6
.LBB163_5:                              ; =>This Inner Loop Header: Depth=1
	v_ashrrev_i32_e32 v1, 31, v0
	v_ashrrev_i32_e32 v3, 31, v2
	;; [unrolled: 1-line block ×3, first 2 shown]
	v_lshlrev_b64 v[7:8], 2, v[0:1]
	v_add_nc_u32_e32 v0, 16, v0
	v_lshlrev_b64 v[9:10], 2, v[4:5]
	v_lshlrev_b64 v[11:12], 3, v[4:5]
	v_add_nc_u32_e32 v4, s14, v4
	v_add_co_u32 v7, vcc_lo, s6, v7
	v_add_co_ci_u32_e64 v8, null, s7, v8, vcc_lo
	v_add_co_u32 v9, s0, s4, v9
	v_add_co_ci_u32_e64 v10, null, s5, v10, s0
	global_load_dword v1, v[7:8], off
	v_lshlrev_b64 v[7:8], 3, v[2:3]
	v_add_co_u32 v11, s0, s8, v11
	v_add_nc_u32_e32 v2, s3, v2
	v_add_co_ci_u32_e64 v12, null, s9, v12, s0
	v_add_co_u32 v7, vcc_lo, s10, v7
	v_add_co_ci_u32_e64 v8, null, s11, v8, vcc_lo
	v_cmp_le_i32_e32 vcc_lo, s13, v0
	global_load_dwordx2 v[7:8], v[7:8], off
	s_or_b32 s1, vcc_lo, s1
	s_waitcnt vmcnt(1)
	v_subrev_nc_u32_e32 v1, s12, v1
	s_waitcnt vmcnt(0)
	v_mad_u64_u32 v[13:14], null, v1, s2, v[6:7]
	global_store_dword v[9:10], v13, off
	global_store_dwordx2 v[11:12], v[7:8], off
	s_andn2_b32 exec_lo, exec_lo, s1
	s_cbranch_execnz .LBB163_5
.LBB163_6:
	s_inst_prefetch 0x2
	s_endpgm
	.section	.rodata,"a",@progbits
	.p2align	6, 0x0
	.amdhsa_kernel _ZN9rocsparseL33bsr2csr_block_per_row_8_32_kernelILj1024ELj8E21rocsparse_complex_numIfEiiEEv20rocsparse_direction_T3_S4_21rocsparse_index_base_PKT1_PKT2_PKS4_S4_S5_PS6_PS9_PS4_
		.amdhsa_group_segment_fixed_size 0
		.amdhsa_private_segment_fixed_size 0
		.amdhsa_kernarg_size 72
		.amdhsa_user_sgpr_count 6
		.amdhsa_user_sgpr_private_segment_buffer 1
		.amdhsa_user_sgpr_dispatch_ptr 0
		.amdhsa_user_sgpr_queue_ptr 0
		.amdhsa_user_sgpr_kernarg_segment_ptr 1
		.amdhsa_user_sgpr_dispatch_id 0
		.amdhsa_user_sgpr_flat_scratch_init 0
		.amdhsa_user_sgpr_private_segment_size 0
		.amdhsa_wavefront_size32 1
		.amdhsa_uses_dynamic_stack 0
		.amdhsa_system_sgpr_private_segment_wavefront_offset 0
		.amdhsa_system_sgpr_workgroup_id_x 1
		.amdhsa_system_sgpr_workgroup_id_y 0
		.amdhsa_system_sgpr_workgroup_id_z 0
		.amdhsa_system_sgpr_workgroup_info 0
		.amdhsa_system_vgpr_workitem_id 0
		.amdhsa_next_free_vgpr 15
		.amdhsa_next_free_sgpr 17
		.amdhsa_reserve_vcc 1
		.amdhsa_reserve_flat_scratch 0
		.amdhsa_float_round_mode_32 0
		.amdhsa_float_round_mode_16_64 0
		.amdhsa_float_denorm_mode_32 3
		.amdhsa_float_denorm_mode_16_64 3
		.amdhsa_dx10_clamp 1
		.amdhsa_ieee_mode 1
		.amdhsa_fp16_overflow 0
		.amdhsa_workgroup_processor_mode 1
		.amdhsa_memory_ordered 1
		.amdhsa_forward_progress 1
		.amdhsa_shared_vgpr_count 0
		.amdhsa_exception_fp_ieee_invalid_op 0
		.amdhsa_exception_fp_denorm_src 0
		.amdhsa_exception_fp_ieee_div_zero 0
		.amdhsa_exception_fp_ieee_overflow 0
		.amdhsa_exception_fp_ieee_underflow 0
		.amdhsa_exception_fp_ieee_inexact 0
		.amdhsa_exception_int_div_zero 0
	.end_amdhsa_kernel
	.section	.text._ZN9rocsparseL33bsr2csr_block_per_row_8_32_kernelILj1024ELj8E21rocsparse_complex_numIfEiiEEv20rocsparse_direction_T3_S4_21rocsparse_index_base_PKT1_PKT2_PKS4_S4_S5_PS6_PS9_PS4_,"axG",@progbits,_ZN9rocsparseL33bsr2csr_block_per_row_8_32_kernelILj1024ELj8E21rocsparse_complex_numIfEiiEEv20rocsparse_direction_T3_S4_21rocsparse_index_base_PKT1_PKT2_PKS4_S4_S5_PS6_PS9_PS4_,comdat
.Lfunc_end163:
	.size	_ZN9rocsparseL33bsr2csr_block_per_row_8_32_kernelILj1024ELj8E21rocsparse_complex_numIfEiiEEv20rocsparse_direction_T3_S4_21rocsparse_index_base_PKT1_PKT2_PKS4_S4_S5_PS6_PS9_PS4_, .Lfunc_end163-_ZN9rocsparseL33bsr2csr_block_per_row_8_32_kernelILj1024ELj8E21rocsparse_complex_numIfEiiEEv20rocsparse_direction_T3_S4_21rocsparse_index_base_PKT1_PKT2_PKS4_S4_S5_PS6_PS9_PS4_
                                        ; -- End function
	.set _ZN9rocsparseL33bsr2csr_block_per_row_8_32_kernelILj1024ELj8E21rocsparse_complex_numIfEiiEEv20rocsparse_direction_T3_S4_21rocsparse_index_base_PKT1_PKT2_PKS4_S4_S5_PS6_PS9_PS4_.num_vgpr, 15
	.set _ZN9rocsparseL33bsr2csr_block_per_row_8_32_kernelILj1024ELj8E21rocsparse_complex_numIfEiiEEv20rocsparse_direction_T3_S4_21rocsparse_index_base_PKT1_PKT2_PKS4_S4_S5_PS6_PS9_PS4_.num_agpr, 0
	.set _ZN9rocsparseL33bsr2csr_block_per_row_8_32_kernelILj1024ELj8E21rocsparse_complex_numIfEiiEEv20rocsparse_direction_T3_S4_21rocsparse_index_base_PKT1_PKT2_PKS4_S4_S5_PS6_PS9_PS4_.numbered_sgpr, 17
	.set _ZN9rocsparseL33bsr2csr_block_per_row_8_32_kernelILj1024ELj8E21rocsparse_complex_numIfEiiEEv20rocsparse_direction_T3_S4_21rocsparse_index_base_PKT1_PKT2_PKS4_S4_S5_PS6_PS9_PS4_.num_named_barrier, 0
	.set _ZN9rocsparseL33bsr2csr_block_per_row_8_32_kernelILj1024ELj8E21rocsparse_complex_numIfEiiEEv20rocsparse_direction_T3_S4_21rocsparse_index_base_PKT1_PKT2_PKS4_S4_S5_PS6_PS9_PS4_.private_seg_size, 0
	.set _ZN9rocsparseL33bsr2csr_block_per_row_8_32_kernelILj1024ELj8E21rocsparse_complex_numIfEiiEEv20rocsparse_direction_T3_S4_21rocsparse_index_base_PKT1_PKT2_PKS4_S4_S5_PS6_PS9_PS4_.uses_vcc, 1
	.set _ZN9rocsparseL33bsr2csr_block_per_row_8_32_kernelILj1024ELj8E21rocsparse_complex_numIfEiiEEv20rocsparse_direction_T3_S4_21rocsparse_index_base_PKT1_PKT2_PKS4_S4_S5_PS6_PS9_PS4_.uses_flat_scratch, 0
	.set _ZN9rocsparseL33bsr2csr_block_per_row_8_32_kernelILj1024ELj8E21rocsparse_complex_numIfEiiEEv20rocsparse_direction_T3_S4_21rocsparse_index_base_PKT1_PKT2_PKS4_S4_S5_PS6_PS9_PS4_.has_dyn_sized_stack, 0
	.set _ZN9rocsparseL33bsr2csr_block_per_row_8_32_kernelILj1024ELj8E21rocsparse_complex_numIfEiiEEv20rocsparse_direction_T3_S4_21rocsparse_index_base_PKT1_PKT2_PKS4_S4_S5_PS6_PS9_PS4_.has_recursion, 0
	.set _ZN9rocsparseL33bsr2csr_block_per_row_8_32_kernelILj1024ELj8E21rocsparse_complex_numIfEiiEEv20rocsparse_direction_T3_S4_21rocsparse_index_base_PKT1_PKT2_PKS4_S4_S5_PS6_PS9_PS4_.has_indirect_call, 0
	.section	.AMDGPU.csdata,"",@progbits
; Kernel info:
; codeLenInByte = 580
; TotalNumSgprs: 19
; NumVgprs: 15
; ScratchSize: 0
; MemoryBound: 0
; FloatMode: 240
; IeeeMode: 1
; LDSByteSize: 0 bytes/workgroup (compile time only)
; SGPRBlocks: 0
; VGPRBlocks: 1
; NumSGPRsForWavesPerEU: 19
; NumVGPRsForWavesPerEU: 15
; Occupancy: 16
; WaveLimiterHint : 0
; COMPUTE_PGM_RSRC2:SCRATCH_EN: 0
; COMPUTE_PGM_RSRC2:USER_SGPR: 6
; COMPUTE_PGM_RSRC2:TRAP_HANDLER: 0
; COMPUTE_PGM_RSRC2:TGID_X_EN: 1
; COMPUTE_PGM_RSRC2:TGID_Y_EN: 0
; COMPUTE_PGM_RSRC2:TGID_Z_EN: 0
; COMPUTE_PGM_RSRC2:TIDIG_COMP_CNT: 0
	.section	.text._ZN9rocsparseL33bsr2csr_block_per_row_8_32_kernelILj1024ELj16E21rocsparse_complex_numIfEiiEEv20rocsparse_direction_T3_S4_21rocsparse_index_base_PKT1_PKT2_PKS4_S4_S5_PS6_PS9_PS4_,"axG",@progbits,_ZN9rocsparseL33bsr2csr_block_per_row_8_32_kernelILj1024ELj16E21rocsparse_complex_numIfEiiEEv20rocsparse_direction_T3_S4_21rocsparse_index_base_PKT1_PKT2_PKS4_S4_S5_PS6_PS9_PS4_,comdat
	.globl	_ZN9rocsparseL33bsr2csr_block_per_row_8_32_kernelILj1024ELj16E21rocsparse_complex_numIfEiiEEv20rocsparse_direction_T3_S4_21rocsparse_index_base_PKT1_PKT2_PKS4_S4_S5_PS6_PS9_PS4_ ; -- Begin function _ZN9rocsparseL33bsr2csr_block_per_row_8_32_kernelILj1024ELj16E21rocsparse_complex_numIfEiiEEv20rocsparse_direction_T3_S4_21rocsparse_index_base_PKT1_PKT2_PKS4_S4_S5_PS6_PS9_PS4_
	.p2align	8
	.type	_ZN9rocsparseL33bsr2csr_block_per_row_8_32_kernelILj1024ELj16E21rocsparse_complex_numIfEiiEEv20rocsparse_direction_T3_S4_21rocsparse_index_base_PKT1_PKT2_PKS4_S4_S5_PS6_PS9_PS4_,@function
_ZN9rocsparseL33bsr2csr_block_per_row_8_32_kernelILj1024ELj16E21rocsparse_complex_numIfEiiEEv20rocsparse_direction_T3_S4_21rocsparse_index_base_PKT1_PKT2_PKS4_S4_S5_PS6_PS9_PS4_: ; @_ZN9rocsparseL33bsr2csr_block_per_row_8_32_kernelILj1024ELj16E21rocsparse_complex_numIfEiiEEv20rocsparse_direction_T3_S4_21rocsparse_index_base_PKT1_PKT2_PKS4_S4_S5_PS6_PS9_PS4_
; %bb.0:
	s_clause 0x2
	s_load_dwordx2 s[8:9], s[4:5], 0x18
	s_load_dwordx2 s[2:3], s[4:5], 0x28
	;; [unrolled: 1-line block ×3, first 2 shown]
	s_ashr_i32 s7, s6, 31
	v_or_b32_e32 v1, s6, v0
	s_lshl_b64 s[10:11], s[6:7], 2
	s_mov_b32 s7, exec_lo
	s_waitcnt lgkmcnt(0)
	s_add_u32 s8, s8, s10
	s_addc_u32 s9, s9, s11
	v_cmpx_eq_u32_e32 0, v1
	s_cbranch_execz .LBB164_2
; %bb.1:
	v_mov_b32_e32 v1, 0
	v_mov_b32_e32 v2, s3
	global_store_dword v1, v2, s[0:1]
.LBB164_2:
	s_or_b32 exec_lo, exec_lo, s7
	v_and_b32_e32 v1, 15, v0
	v_bfe_u32 v2, v0, 4, 4
	s_mov_b32 s7, exec_lo
	v_max_i32_e32 v3, v2, v1
	v_cmpx_gt_i32_e64 s2, v3
	s_cbranch_execz .LBB164_6
; %bb.3:
	s_load_dwordx2 s[8:9], s[8:9], 0x0
	s_load_dword s12, s[4:5], 0xc
	v_mad_u64_u32 v[4:5], null, s2, s6, v[2:3]
	v_lshrrev_b32_e32 v3, 8, v0
	s_mul_i32 s14, s2, s2
	v_ashrrev_i32_e32 v5, 31, v4
	v_lshlrev_b64 v[4:5], 2, v[4:5]
	v_add_co_u32 v4, vcc_lo, s0, v4
	s_waitcnt lgkmcnt(0)
	s_sub_i32 s15, s8, s12
	s_sub_i32 s13, s9, s12
	v_add_nc_u32_e32 v0, s15, v3
	s_sub_i32 s16, s13, s15
	s_mul_i32 s7, s15, s14
	s_mul_i32 s6, s16, s2
	v_add_co_ci_u32_e64 v5, null, s1, v5, vcc_lo
	v_mul_lo_u32 v6, s6, v2
	s_add_i32 s6, s6, s3
	v_cmp_gt_i32_e32 vcc_lo, s13, v0
	v_add3_u32 v6, s6, s7, v6
	global_store_dword v[4:5], v6, off offset:4
	s_and_b32 exec_lo, exec_lo, vcc_lo
	s_cbranch_execz .LBB164_6
; %bb.4:
	s_clause 0x2
	s_load_dwordx2 s[6:7], s[4:5], 0x20
	s_load_dwordx2 s[8:9], s[4:5], 0x30
	s_load_dword s0, s[4:5], 0x0
	v_mad_u64_u32 v[4:5], null, s2, v1, v[2:3]
	v_mad_u64_u32 v[5:6], null, s2, v2, v[1:2]
	v_mul_lo_u32 v6, s16, v2
	s_clause 0x1
	s_load_dwordx2 s[10:11], s[4:5], 0x10
	s_load_dwordx2 s[4:5], s[4:5], 0x40
	s_mov_b32 s1, 0
	s_waitcnt lgkmcnt(0)
	s_cmp_eq_u32 s0, 0
	s_mul_i32 s0, s2, s15
	s_cselect_b32 vcc_lo, -1, 0
	v_cndmask_b32_e32 v2, v4, v5, vcc_lo
	v_add3_u32 v4, v3, s0, v6
	v_add_nc_u32_e32 v6, s3, v1
	s_lshl_b32 s3, s14, 2
	v_mad_u64_u32 v[2:3], null, s14, v0, v[2:3]
	s_lshl_b32 s14, s2, 2
	v_mad_u64_u32 v[4:5], null, s2, v4, v[1:2]
	s_inst_prefetch 0x1
	.p2align	6
.LBB164_5:                              ; =>This Inner Loop Header: Depth=1
	v_ashrrev_i32_e32 v1, 31, v0
	v_ashrrev_i32_e32 v3, 31, v2
	v_ashrrev_i32_e32 v5, 31, v4
	v_lshlrev_b64 v[7:8], 2, v[0:1]
	v_add_nc_u32_e32 v0, 4, v0
	v_lshlrev_b64 v[9:10], 2, v[4:5]
	v_lshlrev_b64 v[11:12], 3, v[4:5]
	v_add_nc_u32_e32 v4, s14, v4
	v_add_co_u32 v7, vcc_lo, s6, v7
	v_add_co_ci_u32_e64 v8, null, s7, v8, vcc_lo
	v_add_co_u32 v9, s0, s4, v9
	v_add_co_ci_u32_e64 v10, null, s5, v10, s0
	global_load_dword v1, v[7:8], off
	v_lshlrev_b64 v[7:8], 3, v[2:3]
	v_add_co_u32 v11, s0, s8, v11
	v_add_nc_u32_e32 v2, s3, v2
	v_add_co_ci_u32_e64 v12, null, s9, v12, s0
	v_add_co_u32 v7, vcc_lo, s10, v7
	v_add_co_ci_u32_e64 v8, null, s11, v8, vcc_lo
	v_cmp_le_i32_e32 vcc_lo, s13, v0
	global_load_dwordx2 v[7:8], v[7:8], off
	s_or_b32 s1, vcc_lo, s1
	s_waitcnt vmcnt(1)
	v_subrev_nc_u32_e32 v1, s12, v1
	s_waitcnt vmcnt(0)
	v_mad_u64_u32 v[13:14], null, v1, s2, v[6:7]
	global_store_dword v[9:10], v13, off
	global_store_dwordx2 v[11:12], v[7:8], off
	s_andn2_b32 exec_lo, exec_lo, s1
	s_cbranch_execnz .LBB164_5
.LBB164_6:
	s_inst_prefetch 0x2
	s_endpgm
	.section	.rodata,"a",@progbits
	.p2align	6, 0x0
	.amdhsa_kernel _ZN9rocsparseL33bsr2csr_block_per_row_8_32_kernelILj1024ELj16E21rocsparse_complex_numIfEiiEEv20rocsparse_direction_T3_S4_21rocsparse_index_base_PKT1_PKT2_PKS4_S4_S5_PS6_PS9_PS4_
		.amdhsa_group_segment_fixed_size 0
		.amdhsa_private_segment_fixed_size 0
		.amdhsa_kernarg_size 72
		.amdhsa_user_sgpr_count 6
		.amdhsa_user_sgpr_private_segment_buffer 1
		.amdhsa_user_sgpr_dispatch_ptr 0
		.amdhsa_user_sgpr_queue_ptr 0
		.amdhsa_user_sgpr_kernarg_segment_ptr 1
		.amdhsa_user_sgpr_dispatch_id 0
		.amdhsa_user_sgpr_flat_scratch_init 0
		.amdhsa_user_sgpr_private_segment_size 0
		.amdhsa_wavefront_size32 1
		.amdhsa_uses_dynamic_stack 0
		.amdhsa_system_sgpr_private_segment_wavefront_offset 0
		.amdhsa_system_sgpr_workgroup_id_x 1
		.amdhsa_system_sgpr_workgroup_id_y 0
		.amdhsa_system_sgpr_workgroup_id_z 0
		.amdhsa_system_sgpr_workgroup_info 0
		.amdhsa_system_vgpr_workitem_id 0
		.amdhsa_next_free_vgpr 15
		.amdhsa_next_free_sgpr 17
		.amdhsa_reserve_vcc 1
		.amdhsa_reserve_flat_scratch 0
		.amdhsa_float_round_mode_32 0
		.amdhsa_float_round_mode_16_64 0
		.amdhsa_float_denorm_mode_32 3
		.amdhsa_float_denorm_mode_16_64 3
		.amdhsa_dx10_clamp 1
		.amdhsa_ieee_mode 1
		.amdhsa_fp16_overflow 0
		.amdhsa_workgroup_processor_mode 1
		.amdhsa_memory_ordered 1
		.amdhsa_forward_progress 1
		.amdhsa_shared_vgpr_count 0
		.amdhsa_exception_fp_ieee_invalid_op 0
		.amdhsa_exception_fp_denorm_src 0
		.amdhsa_exception_fp_ieee_div_zero 0
		.amdhsa_exception_fp_ieee_overflow 0
		.amdhsa_exception_fp_ieee_underflow 0
		.amdhsa_exception_fp_ieee_inexact 0
		.amdhsa_exception_int_div_zero 0
	.end_amdhsa_kernel
	.section	.text._ZN9rocsparseL33bsr2csr_block_per_row_8_32_kernelILj1024ELj16E21rocsparse_complex_numIfEiiEEv20rocsparse_direction_T3_S4_21rocsparse_index_base_PKT1_PKT2_PKS4_S4_S5_PS6_PS9_PS4_,"axG",@progbits,_ZN9rocsparseL33bsr2csr_block_per_row_8_32_kernelILj1024ELj16E21rocsparse_complex_numIfEiiEEv20rocsparse_direction_T3_S4_21rocsparse_index_base_PKT1_PKT2_PKS4_S4_S5_PS6_PS9_PS4_,comdat
.Lfunc_end164:
	.size	_ZN9rocsparseL33bsr2csr_block_per_row_8_32_kernelILj1024ELj16E21rocsparse_complex_numIfEiiEEv20rocsparse_direction_T3_S4_21rocsparse_index_base_PKT1_PKT2_PKS4_S4_S5_PS6_PS9_PS4_, .Lfunc_end164-_ZN9rocsparseL33bsr2csr_block_per_row_8_32_kernelILj1024ELj16E21rocsparse_complex_numIfEiiEEv20rocsparse_direction_T3_S4_21rocsparse_index_base_PKT1_PKT2_PKS4_S4_S5_PS6_PS9_PS4_
                                        ; -- End function
	.set _ZN9rocsparseL33bsr2csr_block_per_row_8_32_kernelILj1024ELj16E21rocsparse_complex_numIfEiiEEv20rocsparse_direction_T3_S4_21rocsparse_index_base_PKT1_PKT2_PKS4_S4_S5_PS6_PS9_PS4_.num_vgpr, 15
	.set _ZN9rocsparseL33bsr2csr_block_per_row_8_32_kernelILj1024ELj16E21rocsparse_complex_numIfEiiEEv20rocsparse_direction_T3_S4_21rocsparse_index_base_PKT1_PKT2_PKS4_S4_S5_PS6_PS9_PS4_.num_agpr, 0
	.set _ZN9rocsparseL33bsr2csr_block_per_row_8_32_kernelILj1024ELj16E21rocsparse_complex_numIfEiiEEv20rocsparse_direction_T3_S4_21rocsparse_index_base_PKT1_PKT2_PKS4_S4_S5_PS6_PS9_PS4_.numbered_sgpr, 17
	.set _ZN9rocsparseL33bsr2csr_block_per_row_8_32_kernelILj1024ELj16E21rocsparse_complex_numIfEiiEEv20rocsparse_direction_T3_S4_21rocsparse_index_base_PKT1_PKT2_PKS4_S4_S5_PS6_PS9_PS4_.num_named_barrier, 0
	.set _ZN9rocsparseL33bsr2csr_block_per_row_8_32_kernelILj1024ELj16E21rocsparse_complex_numIfEiiEEv20rocsparse_direction_T3_S4_21rocsparse_index_base_PKT1_PKT2_PKS4_S4_S5_PS6_PS9_PS4_.private_seg_size, 0
	.set _ZN9rocsparseL33bsr2csr_block_per_row_8_32_kernelILj1024ELj16E21rocsparse_complex_numIfEiiEEv20rocsparse_direction_T3_S4_21rocsparse_index_base_PKT1_PKT2_PKS4_S4_S5_PS6_PS9_PS4_.uses_vcc, 1
	.set _ZN9rocsparseL33bsr2csr_block_per_row_8_32_kernelILj1024ELj16E21rocsparse_complex_numIfEiiEEv20rocsparse_direction_T3_S4_21rocsparse_index_base_PKT1_PKT2_PKS4_S4_S5_PS6_PS9_PS4_.uses_flat_scratch, 0
	.set _ZN9rocsparseL33bsr2csr_block_per_row_8_32_kernelILj1024ELj16E21rocsparse_complex_numIfEiiEEv20rocsparse_direction_T3_S4_21rocsparse_index_base_PKT1_PKT2_PKS4_S4_S5_PS6_PS9_PS4_.has_dyn_sized_stack, 0
	.set _ZN9rocsparseL33bsr2csr_block_per_row_8_32_kernelILj1024ELj16E21rocsparse_complex_numIfEiiEEv20rocsparse_direction_T3_S4_21rocsparse_index_base_PKT1_PKT2_PKS4_S4_S5_PS6_PS9_PS4_.has_recursion, 0
	.set _ZN9rocsparseL33bsr2csr_block_per_row_8_32_kernelILj1024ELj16E21rocsparse_complex_numIfEiiEEv20rocsparse_direction_T3_S4_21rocsparse_index_base_PKT1_PKT2_PKS4_S4_S5_PS6_PS9_PS4_.has_indirect_call, 0
	.section	.AMDGPU.csdata,"",@progbits
; Kernel info:
; codeLenInByte = 580
; TotalNumSgprs: 19
; NumVgprs: 15
; ScratchSize: 0
; MemoryBound: 0
; FloatMode: 240
; IeeeMode: 1
; LDSByteSize: 0 bytes/workgroup (compile time only)
; SGPRBlocks: 0
; VGPRBlocks: 1
; NumSGPRsForWavesPerEU: 19
; NumVGPRsForWavesPerEU: 15
; Occupancy: 16
; WaveLimiterHint : 0
; COMPUTE_PGM_RSRC2:SCRATCH_EN: 0
; COMPUTE_PGM_RSRC2:USER_SGPR: 6
; COMPUTE_PGM_RSRC2:TRAP_HANDLER: 0
; COMPUTE_PGM_RSRC2:TGID_X_EN: 1
; COMPUTE_PGM_RSRC2:TGID_Y_EN: 0
; COMPUTE_PGM_RSRC2:TGID_Z_EN: 0
; COMPUTE_PGM_RSRC2:TIDIG_COMP_CNT: 0
	.section	.text._ZN9rocsparseL33bsr2csr_block_per_row_8_32_kernelILj1024ELj32E21rocsparse_complex_numIfEiiEEv20rocsparse_direction_T3_S4_21rocsparse_index_base_PKT1_PKT2_PKS4_S4_S5_PS6_PS9_PS4_,"axG",@progbits,_ZN9rocsparseL33bsr2csr_block_per_row_8_32_kernelILj1024ELj32E21rocsparse_complex_numIfEiiEEv20rocsparse_direction_T3_S4_21rocsparse_index_base_PKT1_PKT2_PKS4_S4_S5_PS6_PS9_PS4_,comdat
	.globl	_ZN9rocsparseL33bsr2csr_block_per_row_8_32_kernelILj1024ELj32E21rocsparse_complex_numIfEiiEEv20rocsparse_direction_T3_S4_21rocsparse_index_base_PKT1_PKT2_PKS4_S4_S5_PS6_PS9_PS4_ ; -- Begin function _ZN9rocsparseL33bsr2csr_block_per_row_8_32_kernelILj1024ELj32E21rocsparse_complex_numIfEiiEEv20rocsparse_direction_T3_S4_21rocsparse_index_base_PKT1_PKT2_PKS4_S4_S5_PS6_PS9_PS4_
	.p2align	8
	.type	_ZN9rocsparseL33bsr2csr_block_per_row_8_32_kernelILj1024ELj32E21rocsparse_complex_numIfEiiEEv20rocsparse_direction_T3_S4_21rocsparse_index_base_PKT1_PKT2_PKS4_S4_S5_PS6_PS9_PS4_,@function
_ZN9rocsparseL33bsr2csr_block_per_row_8_32_kernelILj1024ELj32E21rocsparse_complex_numIfEiiEEv20rocsparse_direction_T3_S4_21rocsparse_index_base_PKT1_PKT2_PKS4_S4_S5_PS6_PS9_PS4_: ; @_ZN9rocsparseL33bsr2csr_block_per_row_8_32_kernelILj1024ELj32E21rocsparse_complex_numIfEiiEEv20rocsparse_direction_T3_S4_21rocsparse_index_base_PKT1_PKT2_PKS4_S4_S5_PS6_PS9_PS4_
; %bb.0:
	s_clause 0x2
	s_load_dwordx2 s[2:3], s[4:5], 0x18
	s_load_dwordx2 s[0:1], s[4:5], 0x28
	s_load_dwordx2 s[8:9], s[4:5], 0x38
	s_ashr_i32 s7, s6, 31
	v_or_b32_e32 v1, s6, v0
	s_lshl_b64 s[10:11], s[6:7], 2
	s_mov_b32 s7, exec_lo
	s_waitcnt lgkmcnt(0)
	s_add_u32 s2, s2, s10
	s_addc_u32 s3, s3, s11
	v_cmpx_eq_u32_e32 0, v1
	s_cbranch_execz .LBB165_2
; %bb.1:
	v_mov_b32_e32 v1, 0
	v_mov_b32_e32 v2, s1
	global_store_dword v1, v2, s[8:9]
.LBB165_2:
	s_or_b32 exec_lo, exec_lo, s7
	v_and_b32_e32 v1, 31, v0
	v_lshrrev_b32_e32 v0, 5, v0
	s_mov_b32 s7, exec_lo
	v_max_i32_e32 v2, v0, v1
	v_cmpx_gt_i32_e64 s0, v2
	s_cbranch_execz .LBB165_6
; %bb.3:
	s_load_dwordx2 s[16:17], s[2:3], 0x0
	s_load_dword s12, s[4:5], 0xc
	v_mad_u64_u32 v[2:3], null, s0, s6, v[0:1]
	s_mul_i32 s14, s0, s0
	v_ashrrev_i32_e32 v3, 31, v2
	v_lshlrev_b64 v[2:3], 2, v[2:3]
	v_add_co_u32 v2, vcc_lo, s8, v2
	s_waitcnt lgkmcnt(0)
	s_sub_i32 s2, s16, s12
	s_sub_i32 s13, s17, s12
	s_mul_i32 s10, s2, s14
	s_sub_i32 s3, s13, s2
	v_add_co_ci_u32_e64 v3, null, s9, v3, vcc_lo
	s_mul_i32 s6, s3, s0
	v_mul_lo_u32 v4, s6, v0
	s_add_i32 s6, s6, s1
	s_cmp_ge_i32 s16, s17
	v_add3_u32 v4, s6, s10, v4
	global_store_dword v[2:3], v4, off offset:4
	s_cbranch_scc1 .LBB165_6
; %bb.4:
	s_clause 0x3
	s_load_dwordx2 s[16:17], s[4:5], 0x20
	s_load_dwordx2 s[6:7], s[4:5], 0x30
	s_load_dword s11, s[4:5], 0x0
	s_load_dwordx2 s[8:9], s[4:5], 0x10
	v_mul_lo_u32 v2, v0, s3
	v_mad_u64_u32 v[3:4], null, s0, v1, v[0:1]
	s_load_dwordx2 s[4:5], s[4:5], 0x40
	v_mad_u64_u32 v[4:5], null, s0, v0, v[1:2]
	v_mad_u64_u32 v[5:6], null, s0, s2, v[2:3]
	v_add_nc_u32_e32 v0, s1, v1
	v_mad_u64_u32 v[1:2], null, s0, v5, v[1:2]
	s_waitcnt lgkmcnt(0)
	s_cmp_eq_u32 s11, 0
	s_cselect_b32 vcc_lo, -1, 0
	s_ashr_i32 s3, s2, 31
	v_cndmask_b32_e32 v3, v3, v4, vcc_lo
	v_add_nc_u32_e32 v3, s10, v3
	s_lshl_b64 s[10:11], s[2:3], 2
	s_add_u32 s10, s16, s10
	s_addc_u32 s11, s17, s11
	s_inst_prefetch 0x1
	.p2align	6
.LBB165_5:                              ; =>This Inner Loop Header: Depth=1
	v_ashrrev_i32_e32 v4, 31, v3
	s_load_dword s1, s[10:11], 0x0
	v_ashrrev_i32_e32 v2, 31, v1
	s_add_i32 s2, s2, 1
	v_lshlrev_b64 v[4:5], 3, v[3:4]
	v_add_nc_u32_e32 v3, s14, v3
	v_lshlrev_b64 v[6:7], 2, v[1:2]
	v_lshlrev_b64 v[8:9], 3, v[1:2]
	v_add_nc_u32_e32 v1, s0, v1
	v_add_co_u32 v4, vcc_lo, s8, v4
	v_add_co_ci_u32_e64 v5, null, s9, v5, vcc_lo
	v_add_co_u32 v6, vcc_lo, s4, v6
	v_add_co_ci_u32_e64 v7, null, s5, v7, vcc_lo
	global_load_dwordx2 v[4:5], v[4:5], off
	v_add_co_u32 v8, vcc_lo, s6, v8
	s_waitcnt lgkmcnt(0)
	s_sub_i32 s1, s1, s12
	v_add_co_ci_u32_e64 v9, null, s7, v9, vcc_lo
	v_mad_u64_u32 v[10:11], null, s1, s0, v[0:1]
	s_add_u32 s10, s10, 4
	s_addc_u32 s11, s11, 0
	s_cmp_lt_i32 s2, s13
	global_store_dword v[6:7], v10, off
	s_waitcnt vmcnt(0)
	global_store_dwordx2 v[8:9], v[4:5], off
	s_cbranch_scc1 .LBB165_5
.LBB165_6:
	s_inst_prefetch 0x2
	s_endpgm
	.section	.rodata,"a",@progbits
	.p2align	6, 0x0
	.amdhsa_kernel _ZN9rocsparseL33bsr2csr_block_per_row_8_32_kernelILj1024ELj32E21rocsparse_complex_numIfEiiEEv20rocsparse_direction_T3_S4_21rocsparse_index_base_PKT1_PKT2_PKS4_S4_S5_PS6_PS9_PS4_
		.amdhsa_group_segment_fixed_size 0
		.amdhsa_private_segment_fixed_size 0
		.amdhsa_kernarg_size 72
		.amdhsa_user_sgpr_count 6
		.amdhsa_user_sgpr_private_segment_buffer 1
		.amdhsa_user_sgpr_dispatch_ptr 0
		.amdhsa_user_sgpr_queue_ptr 0
		.amdhsa_user_sgpr_kernarg_segment_ptr 1
		.amdhsa_user_sgpr_dispatch_id 0
		.amdhsa_user_sgpr_flat_scratch_init 0
		.amdhsa_user_sgpr_private_segment_size 0
		.amdhsa_wavefront_size32 1
		.amdhsa_uses_dynamic_stack 0
		.amdhsa_system_sgpr_private_segment_wavefront_offset 0
		.amdhsa_system_sgpr_workgroup_id_x 1
		.amdhsa_system_sgpr_workgroup_id_y 0
		.amdhsa_system_sgpr_workgroup_id_z 0
		.amdhsa_system_sgpr_workgroup_info 0
		.amdhsa_system_vgpr_workitem_id 0
		.amdhsa_next_free_vgpr 12
		.amdhsa_next_free_sgpr 18
		.amdhsa_reserve_vcc 1
		.amdhsa_reserve_flat_scratch 0
		.amdhsa_float_round_mode_32 0
		.amdhsa_float_round_mode_16_64 0
		.amdhsa_float_denorm_mode_32 3
		.amdhsa_float_denorm_mode_16_64 3
		.amdhsa_dx10_clamp 1
		.amdhsa_ieee_mode 1
		.amdhsa_fp16_overflow 0
		.amdhsa_workgroup_processor_mode 1
		.amdhsa_memory_ordered 1
		.amdhsa_forward_progress 1
		.amdhsa_shared_vgpr_count 0
		.amdhsa_exception_fp_ieee_invalid_op 0
		.amdhsa_exception_fp_denorm_src 0
		.amdhsa_exception_fp_ieee_div_zero 0
		.amdhsa_exception_fp_ieee_overflow 0
		.amdhsa_exception_fp_ieee_underflow 0
		.amdhsa_exception_fp_ieee_inexact 0
		.amdhsa_exception_int_div_zero 0
	.end_amdhsa_kernel
	.section	.text._ZN9rocsparseL33bsr2csr_block_per_row_8_32_kernelILj1024ELj32E21rocsparse_complex_numIfEiiEEv20rocsparse_direction_T3_S4_21rocsparse_index_base_PKT1_PKT2_PKS4_S4_S5_PS6_PS9_PS4_,"axG",@progbits,_ZN9rocsparseL33bsr2csr_block_per_row_8_32_kernelILj1024ELj32E21rocsparse_complex_numIfEiiEEv20rocsparse_direction_T3_S4_21rocsparse_index_base_PKT1_PKT2_PKS4_S4_S5_PS6_PS9_PS4_,comdat
.Lfunc_end165:
	.size	_ZN9rocsparseL33bsr2csr_block_per_row_8_32_kernelILj1024ELj32E21rocsparse_complex_numIfEiiEEv20rocsparse_direction_T3_S4_21rocsparse_index_base_PKT1_PKT2_PKS4_S4_S5_PS6_PS9_PS4_, .Lfunc_end165-_ZN9rocsparseL33bsr2csr_block_per_row_8_32_kernelILj1024ELj32E21rocsparse_complex_numIfEiiEEv20rocsparse_direction_T3_S4_21rocsparse_index_base_PKT1_PKT2_PKS4_S4_S5_PS6_PS9_PS4_
                                        ; -- End function
	.set _ZN9rocsparseL33bsr2csr_block_per_row_8_32_kernelILj1024ELj32E21rocsparse_complex_numIfEiiEEv20rocsparse_direction_T3_S4_21rocsparse_index_base_PKT1_PKT2_PKS4_S4_S5_PS6_PS9_PS4_.num_vgpr, 12
	.set _ZN9rocsparseL33bsr2csr_block_per_row_8_32_kernelILj1024ELj32E21rocsparse_complex_numIfEiiEEv20rocsparse_direction_T3_S4_21rocsparse_index_base_PKT1_PKT2_PKS4_S4_S5_PS6_PS9_PS4_.num_agpr, 0
	.set _ZN9rocsparseL33bsr2csr_block_per_row_8_32_kernelILj1024ELj32E21rocsparse_complex_numIfEiiEEv20rocsparse_direction_T3_S4_21rocsparse_index_base_PKT1_PKT2_PKS4_S4_S5_PS6_PS9_PS4_.numbered_sgpr, 18
	.set _ZN9rocsparseL33bsr2csr_block_per_row_8_32_kernelILj1024ELj32E21rocsparse_complex_numIfEiiEEv20rocsparse_direction_T3_S4_21rocsparse_index_base_PKT1_PKT2_PKS4_S4_S5_PS6_PS9_PS4_.num_named_barrier, 0
	.set _ZN9rocsparseL33bsr2csr_block_per_row_8_32_kernelILj1024ELj32E21rocsparse_complex_numIfEiiEEv20rocsparse_direction_T3_S4_21rocsparse_index_base_PKT1_PKT2_PKS4_S4_S5_PS6_PS9_PS4_.private_seg_size, 0
	.set _ZN9rocsparseL33bsr2csr_block_per_row_8_32_kernelILj1024ELj32E21rocsparse_complex_numIfEiiEEv20rocsparse_direction_T3_S4_21rocsparse_index_base_PKT1_PKT2_PKS4_S4_S5_PS6_PS9_PS4_.uses_vcc, 1
	.set _ZN9rocsparseL33bsr2csr_block_per_row_8_32_kernelILj1024ELj32E21rocsparse_complex_numIfEiiEEv20rocsparse_direction_T3_S4_21rocsparse_index_base_PKT1_PKT2_PKS4_S4_S5_PS6_PS9_PS4_.uses_flat_scratch, 0
	.set _ZN9rocsparseL33bsr2csr_block_per_row_8_32_kernelILj1024ELj32E21rocsparse_complex_numIfEiiEEv20rocsparse_direction_T3_S4_21rocsparse_index_base_PKT1_PKT2_PKS4_S4_S5_PS6_PS9_PS4_.has_dyn_sized_stack, 0
	.set _ZN9rocsparseL33bsr2csr_block_per_row_8_32_kernelILj1024ELj32E21rocsparse_complex_numIfEiiEEv20rocsparse_direction_T3_S4_21rocsparse_index_base_PKT1_PKT2_PKS4_S4_S5_PS6_PS9_PS4_.has_recursion, 0
	.set _ZN9rocsparseL33bsr2csr_block_per_row_8_32_kernelILj1024ELj32E21rocsparse_complex_numIfEiiEEv20rocsparse_direction_T3_S4_21rocsparse_index_base_PKT1_PKT2_PKS4_S4_S5_PS6_PS9_PS4_.has_indirect_call, 0
	.section	.AMDGPU.csdata,"",@progbits
; Kernel info:
; codeLenInByte = 552
; TotalNumSgprs: 20
; NumVgprs: 12
; ScratchSize: 0
; MemoryBound: 0
; FloatMode: 240
; IeeeMode: 1
; LDSByteSize: 0 bytes/workgroup (compile time only)
; SGPRBlocks: 0
; VGPRBlocks: 1
; NumSGPRsForWavesPerEU: 20
; NumVGPRsForWavesPerEU: 12
; Occupancy: 16
; WaveLimiterHint : 0
; COMPUTE_PGM_RSRC2:SCRATCH_EN: 0
; COMPUTE_PGM_RSRC2:USER_SGPR: 6
; COMPUTE_PGM_RSRC2:TRAP_HANDLER: 0
; COMPUTE_PGM_RSRC2:TGID_X_EN: 1
; COMPUTE_PGM_RSRC2:TGID_Y_EN: 0
; COMPUTE_PGM_RSRC2:TGID_Z_EN: 0
; COMPUTE_PGM_RSRC2:TIDIG_COMP_CNT: 0
	.section	.text._ZN9rocsparseL35bsr2csr_block_per_row_33_256_kernelILj1024ELj64ELj32E21rocsparse_complex_numIfEiiEEv20rocsparse_direction_T4_S4_21rocsparse_index_base_PKT2_PKT3_PKS4_S4_S5_PS6_PS9_PS4_,"axG",@progbits,_ZN9rocsparseL35bsr2csr_block_per_row_33_256_kernelILj1024ELj64ELj32E21rocsparse_complex_numIfEiiEEv20rocsparse_direction_T4_S4_21rocsparse_index_base_PKT2_PKT3_PKS4_S4_S5_PS6_PS9_PS4_,comdat
	.globl	_ZN9rocsparseL35bsr2csr_block_per_row_33_256_kernelILj1024ELj64ELj32E21rocsparse_complex_numIfEiiEEv20rocsparse_direction_T4_S4_21rocsparse_index_base_PKT2_PKT3_PKS4_S4_S5_PS6_PS9_PS4_ ; -- Begin function _ZN9rocsparseL35bsr2csr_block_per_row_33_256_kernelILj1024ELj64ELj32E21rocsparse_complex_numIfEiiEEv20rocsparse_direction_T4_S4_21rocsparse_index_base_PKT2_PKT3_PKS4_S4_S5_PS6_PS9_PS4_
	.p2align	8
	.type	_ZN9rocsparseL35bsr2csr_block_per_row_33_256_kernelILj1024ELj64ELj32E21rocsparse_complex_numIfEiiEEv20rocsparse_direction_T4_S4_21rocsparse_index_base_PKT2_PKT3_PKS4_S4_S5_PS6_PS9_PS4_,@function
_ZN9rocsparseL35bsr2csr_block_per_row_33_256_kernelILj1024ELj64ELj32E21rocsparse_complex_numIfEiiEEv20rocsparse_direction_T4_S4_21rocsparse_index_base_PKT2_PKT3_PKS4_S4_S5_PS6_PS9_PS4_: ; @_ZN9rocsparseL35bsr2csr_block_per_row_33_256_kernelILj1024ELj64ELj32E21rocsparse_complex_numIfEiiEEv20rocsparse_direction_T4_S4_21rocsparse_index_base_PKT2_PKT3_PKS4_S4_S5_PS6_PS9_PS4_
; %bb.0:
	s_load_dwordx2 s[0:1], s[4:5], 0x18
	s_ashr_i32 s7, s6, 31
	s_clause 0x1
	s_load_dwordx2 s[8:9], s[4:5], 0x28
	s_load_dwordx2 s[2:3], s[4:5], 0x38
	s_lshl_b64 s[10:11], s[6:7], 2
	v_or_b32_e32 v1, s6, v0
	s_waitcnt lgkmcnt(0)
	s_add_u32 s0, s0, s10
	s_addc_u32 s1, s1, s11
	s_load_dwordx2 s[14:15], s[0:1], 0x0
	s_mov_b32 s0, exec_lo
	v_cmpx_eq_u32_e32 0, v1
	s_cbranch_execz .LBB166_2
; %bb.1:
	v_mov_b32_e32 v1, 0
	v_mov_b32_e32 v2, s9
	global_store_dword v1, v2, s[2:3]
.LBB166_2:
	s_or_b32 exec_lo, exec_lo, s0
	s_load_dword s17, s[4:5], 0xc
	v_lshrrev_b32_e32 v1, 5, v0
	s_mul_i32 s6, s8, s6
	v_cmp_gt_i32_e64 s0, s8, v1
	s_waitcnt lgkmcnt(0)
	s_sub_i32 s10, s14, s17
	s_sub_i32 s18, s15, s17
	s_mul_i32 s16, s8, s10
	s_sub_i32 s11, s18, s10
	s_mul_i32 s1, s16, s8
	s_mul_i32 s7, s11, s8
	s_add_i32 s1, s1, s9
	s_add_i32 s12, s1, s7
	s_and_saveexec_b32 s1, s0
	s_cbranch_execz .LBB166_4
; %bb.3:
	v_add_nc_u32_e32 v2, s6, v1
	v_mad_u64_u32 v[4:5], null, v1, s7, s[12:13]
	v_ashrrev_i32_e32 v3, 31, v2
	v_lshlrev_b64 v[2:3], 2, v[2:3]
	v_add_co_u32 v2, vcc_lo, s2, v2
	v_add_co_ci_u32_e64 v3, null, s3, v3, vcc_lo
	global_store_dword v[2:3], v4, off offset:4
.LBB166_4:
	s_or_b32 exec_lo, exec_lo, s1
	v_or_b32_e32 v2, 32, v1
	v_cmp_gt_i32_e64 s1, s8, v2
	s_and_saveexec_b32 s13, s1
	s_cbranch_execz .LBB166_6
; %bb.5:
	s_ashr_i32 s19, s6, 31
	v_add_co_u32 v3, s6, v1, s6
	v_add_co_ci_u32_e64 v4, null, 0, s19, s6
	v_mad_u64_u32 v[5:6], null, v2, s7, s[12:13]
	v_lshlrev_b64 v[3:4], 2, v[3:4]
	v_add_co_u32 v2, vcc_lo, s2, v3
	v_add_co_ci_u32_e64 v3, null, s3, v4, vcc_lo
	global_store_dword v[2:3], v5, off offset:132
.LBB166_6:
	s_or_b32 exec_lo, exec_lo, s13
	s_cmp_lt_i32 s14, s15
	s_cbranch_scc0 .LBB166_17
; %bb.7:
	s_clause 0x3
	s_load_dwordx2 s[20:21], s[4:5], 0x20
	s_load_dwordx2 s[6:7], s[4:5], 0x30
	s_load_dword s22, s[4:5], 0x0
	s_load_dwordx2 s[12:13], s[4:5], 0x10
	v_mad_u64_u32 v[8:9], null, v1, s11, s[16:17]
	v_and_b32_e32 v0, 31, v0
	s_load_dwordx2 s[4:5], s[4:5], 0x40
	v_add_nc_u32_e32 v3, s16, v1
	s_mul_i32 s19, s8, s8
	v_add_nc_u32_e32 v5, s16, v0
	v_lshl_add_u32 v6, s15, 5, v8
	v_or_b32_e32 v2, 32, v0
	v_add_nc_u32_e32 v4, 32, v3
	v_cmp_gt_i32_e64 s2, s8, v0
	v_add_nc_u32_e32 v7, 32, v5
	v_mul_lo_u32 v3, s8, v3
	v_cmp_gt_i32_e64 s3, s8, v2
	v_mul_lo_u32 v4, s8, v4
	v_mul_lo_u32 v5, s8, v5
	;; [unrolled: 1-line block ×3, first 2 shown]
	s_waitcnt lgkmcnt(0)
	s_cmp_eq_u32 s22, 0
	s_cselect_b32 vcc_lo, -1, 0
	s_lshl_b32 s11, s14, 5
	s_and_b32 s14, s0, s2
	v_subrev_nc_u32_e32 v9, s11, v6
	v_mul_lo_u32 v6, s8, v7
	s_ashr_i32 s11, s10, 31
	s_and_b32 s15, s0, s3
	s_lshl_b64 s[22:23], s[10:11], 2
	v_mul_lo_u32 v7, s8, v9
	s_and_b32 s16, s1, s2
	s_and_b32 s1, s1, s3
	s_add_u32 s2, s20, s22
	s_addc_u32 s3, s21, s23
	s_branch .LBB166_9
.LBB166_8:                              ;   in Loop: Header=BB166_9 Depth=1
	s_or_b32 exec_lo, exec_lo, s11
	s_add_i32 s10, s10, 1
	v_add_nc_u32_e32 v4, s19, v4
	v_add_nc_u32_e32 v3, s19, v3
	;; [unrolled: 1-line block ×5, first 2 shown]
	s_add_u32 s2, s2, 4
	s_addc_u32 s3, s3, 0
	s_cmp_ge_i32 s10, s18
	s_cbranch_scc1 .LBB166_17
.LBB166_9:                              ; =>This Inner Loop Header: Depth=1
	s_load_dword s0, s[2:3], 0x0
	s_waitcnt lgkmcnt(0)
	s_sub_i32 s0, s0, s17
	s_mul_i32 s11, s0, s8
	s_add_i32 s11, s11, s9
	v_add_nc_u32_e32 v9, s11, v0
	s_and_saveexec_b32 s20, s14
	s_cbranch_execz .LBB166_11
; %bb.10:                               ;   in Loop: Header=BB166_9 Depth=1
	v_add_nc_u32_e32 v10, v0, v3
	v_add_nc_u32_e32 v11, v5, v1
	;; [unrolled: 1-line block ×3, first 2 shown]
	v_cndmask_b32_e32 v10, v11, v10, vcc_lo
	v_ashrrev_i32_e32 v13, 31, v12
	v_ashrrev_i32_e32 v11, 31, v10
	v_lshlrev_b64 v[14:15], 2, v[12:13]
	v_lshlrev_b64 v[12:13], 3, v[12:13]
	;; [unrolled: 1-line block ×3, first 2 shown]
	v_add_co_u32 v10, s0, s12, v10
	v_add_co_ci_u32_e64 v11, null, s13, v11, s0
	v_add_co_u32 v14, s0, s4, v14
	v_add_co_ci_u32_e64 v15, null, s5, v15, s0
	global_load_dwordx2 v[10:11], v[10:11], off
	v_add_co_u32 v12, s0, s6, v12
	v_add_co_ci_u32_e64 v13, null, s7, v13, s0
	global_store_dword v[14:15], v9, off
	s_waitcnt vmcnt(0)
	global_store_dwordx2 v[12:13], v[10:11], off
.LBB166_11:                             ;   in Loop: Header=BB166_9 Depth=1
	s_or_b32 exec_lo, exec_lo, s20
	v_add_nc_u32_e32 v10, s11, v2
	v_add_nc_u32_e32 v11, v6, v1
	s_and_saveexec_b32 s11, s15
	s_cbranch_execnz .LBB166_14
; %bb.12:                               ;   in Loop: Header=BB166_9 Depth=1
	s_or_b32 exec_lo, exec_lo, s11
	v_add_nc_u32_e32 v12, v0, v4
	s_and_saveexec_b32 s11, s16
	s_cbranch_execnz .LBB166_15
.LBB166_13:                             ;   in Loop: Header=BB166_9 Depth=1
	s_or_b32 exec_lo, exec_lo, s11
	s_and_saveexec_b32 s11, s1
	s_cbranch_execz .LBB166_8
	s_branch .LBB166_16
.LBB166_14:                             ;   in Loop: Header=BB166_9 Depth=1
	v_add3_u32 v12, v0, v3, 32
	v_add3_u32 v14, v0, v8, 32
	v_cndmask_b32_e32 v12, v11, v12, vcc_lo
	v_ashrrev_i32_e32 v15, 31, v14
	v_ashrrev_i32_e32 v13, 31, v12
	v_lshlrev_b64 v[16:17], 2, v[14:15]
	v_lshlrev_b64 v[14:15], 3, v[14:15]
	;; [unrolled: 1-line block ×3, first 2 shown]
	v_add_co_u32 v12, s0, s12, v12
	v_add_co_ci_u32_e64 v13, null, s13, v13, s0
	v_add_co_u32 v16, s0, s4, v16
	v_add_co_ci_u32_e64 v17, null, s5, v17, s0
	global_load_dwordx2 v[12:13], v[12:13], off
	v_add_co_u32 v14, s0, s6, v14
	v_add_co_ci_u32_e64 v15, null, s7, v15, s0
	global_store_dword v[16:17], v10, off
	s_waitcnt vmcnt(0)
	global_store_dwordx2 v[14:15], v[12:13], off
	s_or_b32 exec_lo, exec_lo, s11
	v_add_nc_u32_e32 v12, v0, v4
	s_and_saveexec_b32 s11, s16
	s_cbranch_execz .LBB166_13
.LBB166_15:                             ;   in Loop: Header=BB166_9 Depth=1
	v_add3_u32 v13, v5, v1, 32
	v_add_nc_u32_e32 v15, v0, v7
	v_cndmask_b32_e32 v13, v13, v12, vcc_lo
	v_ashrrev_i32_e32 v16, 31, v15
	v_ashrrev_i32_e32 v14, 31, v13
	v_lshlrev_b64 v[17:18], 2, v[15:16]
	v_lshlrev_b64 v[15:16], 3, v[15:16]
	;; [unrolled: 1-line block ×3, first 2 shown]
	v_add_co_u32 v13, s0, s12, v13
	v_add_co_ci_u32_e64 v14, null, s13, v14, s0
	v_add_co_u32 v17, s0, s4, v17
	v_add_co_ci_u32_e64 v18, null, s5, v18, s0
	global_load_dwordx2 v[13:14], v[13:14], off
	v_add_co_u32 v15, s0, s6, v15
	v_add_co_ci_u32_e64 v16, null, s7, v16, s0
	global_store_dword v[17:18], v9, off
	s_waitcnt vmcnt(0)
	global_store_dwordx2 v[15:16], v[13:14], off
	s_or_b32 exec_lo, exec_lo, s11
	s_and_saveexec_b32 s11, s1
	s_cbranch_execz .LBB166_8
.LBB166_16:                             ;   in Loop: Header=BB166_9 Depth=1
	v_cndmask_b32_e32 v9, v11, v12, vcc_lo
	v_add3_u32 v13, v0, v7, 32
	v_add_nc_u32_e32 v11, 32, v9
	v_ashrrev_i32_e32 v14, 31, v13
	v_ashrrev_i32_e32 v12, 31, v11
	v_lshlrev_b64 v[15:16], 2, v[13:14]
	v_lshlrev_b64 v[13:14], 3, v[13:14]
	;; [unrolled: 1-line block ×3, first 2 shown]
	v_add_co_u32 v11, s0, s12, v11
	v_add_co_ci_u32_e64 v12, null, s13, v12, s0
	v_add_co_u32 v15, s0, s4, v15
	v_add_co_ci_u32_e64 v16, null, s5, v16, s0
	global_load_dwordx2 v[11:12], v[11:12], off
	v_add_co_u32 v13, s0, s6, v13
	v_add_co_ci_u32_e64 v14, null, s7, v14, s0
	global_store_dword v[15:16], v10, off
	s_waitcnt vmcnt(0)
	global_store_dwordx2 v[13:14], v[11:12], off
	s_branch .LBB166_8
.LBB166_17:
	s_endpgm
	.section	.rodata,"a",@progbits
	.p2align	6, 0x0
	.amdhsa_kernel _ZN9rocsparseL35bsr2csr_block_per_row_33_256_kernelILj1024ELj64ELj32E21rocsparse_complex_numIfEiiEEv20rocsparse_direction_T4_S4_21rocsparse_index_base_PKT2_PKT3_PKS4_S4_S5_PS6_PS9_PS4_
		.amdhsa_group_segment_fixed_size 0
		.amdhsa_private_segment_fixed_size 0
		.amdhsa_kernarg_size 72
		.amdhsa_user_sgpr_count 6
		.amdhsa_user_sgpr_private_segment_buffer 1
		.amdhsa_user_sgpr_dispatch_ptr 0
		.amdhsa_user_sgpr_queue_ptr 0
		.amdhsa_user_sgpr_kernarg_segment_ptr 1
		.amdhsa_user_sgpr_dispatch_id 0
		.amdhsa_user_sgpr_flat_scratch_init 0
		.amdhsa_user_sgpr_private_segment_size 0
		.amdhsa_wavefront_size32 1
		.amdhsa_uses_dynamic_stack 0
		.amdhsa_system_sgpr_private_segment_wavefront_offset 0
		.amdhsa_system_sgpr_workgroup_id_x 1
		.amdhsa_system_sgpr_workgroup_id_y 0
		.amdhsa_system_sgpr_workgroup_id_z 0
		.amdhsa_system_sgpr_workgroup_info 0
		.amdhsa_system_vgpr_workitem_id 0
		.amdhsa_next_free_vgpr 19
		.amdhsa_next_free_sgpr 24
		.amdhsa_reserve_vcc 1
		.amdhsa_reserve_flat_scratch 0
		.amdhsa_float_round_mode_32 0
		.amdhsa_float_round_mode_16_64 0
		.amdhsa_float_denorm_mode_32 3
		.amdhsa_float_denorm_mode_16_64 3
		.amdhsa_dx10_clamp 1
		.amdhsa_ieee_mode 1
		.amdhsa_fp16_overflow 0
		.amdhsa_workgroup_processor_mode 1
		.amdhsa_memory_ordered 1
		.amdhsa_forward_progress 1
		.amdhsa_shared_vgpr_count 0
		.amdhsa_exception_fp_ieee_invalid_op 0
		.amdhsa_exception_fp_denorm_src 0
		.amdhsa_exception_fp_ieee_div_zero 0
		.amdhsa_exception_fp_ieee_overflow 0
		.amdhsa_exception_fp_ieee_underflow 0
		.amdhsa_exception_fp_ieee_inexact 0
		.amdhsa_exception_int_div_zero 0
	.end_amdhsa_kernel
	.section	.text._ZN9rocsparseL35bsr2csr_block_per_row_33_256_kernelILj1024ELj64ELj32E21rocsparse_complex_numIfEiiEEv20rocsparse_direction_T4_S4_21rocsparse_index_base_PKT2_PKT3_PKS4_S4_S5_PS6_PS9_PS4_,"axG",@progbits,_ZN9rocsparseL35bsr2csr_block_per_row_33_256_kernelILj1024ELj64ELj32E21rocsparse_complex_numIfEiiEEv20rocsparse_direction_T4_S4_21rocsparse_index_base_PKT2_PKT3_PKS4_S4_S5_PS6_PS9_PS4_,comdat
.Lfunc_end166:
	.size	_ZN9rocsparseL35bsr2csr_block_per_row_33_256_kernelILj1024ELj64ELj32E21rocsparse_complex_numIfEiiEEv20rocsparse_direction_T4_S4_21rocsparse_index_base_PKT2_PKT3_PKS4_S4_S5_PS6_PS9_PS4_, .Lfunc_end166-_ZN9rocsparseL35bsr2csr_block_per_row_33_256_kernelILj1024ELj64ELj32E21rocsparse_complex_numIfEiiEEv20rocsparse_direction_T4_S4_21rocsparse_index_base_PKT2_PKT3_PKS4_S4_S5_PS6_PS9_PS4_
                                        ; -- End function
	.set _ZN9rocsparseL35bsr2csr_block_per_row_33_256_kernelILj1024ELj64ELj32E21rocsparse_complex_numIfEiiEEv20rocsparse_direction_T4_S4_21rocsparse_index_base_PKT2_PKT3_PKS4_S4_S5_PS6_PS9_PS4_.num_vgpr, 19
	.set _ZN9rocsparseL35bsr2csr_block_per_row_33_256_kernelILj1024ELj64ELj32E21rocsparse_complex_numIfEiiEEv20rocsparse_direction_T4_S4_21rocsparse_index_base_PKT2_PKT3_PKS4_S4_S5_PS6_PS9_PS4_.num_agpr, 0
	.set _ZN9rocsparseL35bsr2csr_block_per_row_33_256_kernelILj1024ELj64ELj32E21rocsparse_complex_numIfEiiEEv20rocsparse_direction_T4_S4_21rocsparse_index_base_PKT2_PKT3_PKS4_S4_S5_PS6_PS9_PS4_.numbered_sgpr, 24
	.set _ZN9rocsparseL35bsr2csr_block_per_row_33_256_kernelILj1024ELj64ELj32E21rocsparse_complex_numIfEiiEEv20rocsparse_direction_T4_S4_21rocsparse_index_base_PKT2_PKT3_PKS4_S4_S5_PS6_PS9_PS4_.num_named_barrier, 0
	.set _ZN9rocsparseL35bsr2csr_block_per_row_33_256_kernelILj1024ELj64ELj32E21rocsparse_complex_numIfEiiEEv20rocsparse_direction_T4_S4_21rocsparse_index_base_PKT2_PKT3_PKS4_S4_S5_PS6_PS9_PS4_.private_seg_size, 0
	.set _ZN9rocsparseL35bsr2csr_block_per_row_33_256_kernelILj1024ELj64ELj32E21rocsparse_complex_numIfEiiEEv20rocsparse_direction_T4_S4_21rocsparse_index_base_PKT2_PKT3_PKS4_S4_S5_PS6_PS9_PS4_.uses_vcc, 1
	.set _ZN9rocsparseL35bsr2csr_block_per_row_33_256_kernelILj1024ELj64ELj32E21rocsparse_complex_numIfEiiEEv20rocsparse_direction_T4_S4_21rocsparse_index_base_PKT2_PKT3_PKS4_S4_S5_PS6_PS9_PS4_.uses_flat_scratch, 0
	.set _ZN9rocsparseL35bsr2csr_block_per_row_33_256_kernelILj1024ELj64ELj32E21rocsparse_complex_numIfEiiEEv20rocsparse_direction_T4_S4_21rocsparse_index_base_PKT2_PKT3_PKS4_S4_S5_PS6_PS9_PS4_.has_dyn_sized_stack, 0
	.set _ZN9rocsparseL35bsr2csr_block_per_row_33_256_kernelILj1024ELj64ELj32E21rocsparse_complex_numIfEiiEEv20rocsparse_direction_T4_S4_21rocsparse_index_base_PKT2_PKT3_PKS4_S4_S5_PS6_PS9_PS4_.has_recursion, 0
	.set _ZN9rocsparseL35bsr2csr_block_per_row_33_256_kernelILj1024ELj64ELj32E21rocsparse_complex_numIfEiiEEv20rocsparse_direction_T4_S4_21rocsparse_index_base_PKT2_PKT3_PKS4_S4_S5_PS6_PS9_PS4_.has_indirect_call, 0
	.section	.AMDGPU.csdata,"",@progbits
; Kernel info:
; codeLenInByte = 1180
; TotalNumSgprs: 26
; NumVgprs: 19
; ScratchSize: 0
; MemoryBound: 0
; FloatMode: 240
; IeeeMode: 1
; LDSByteSize: 0 bytes/workgroup (compile time only)
; SGPRBlocks: 0
; VGPRBlocks: 2
; NumSGPRsForWavesPerEU: 26
; NumVGPRsForWavesPerEU: 19
; Occupancy: 16
; WaveLimiterHint : 1
; COMPUTE_PGM_RSRC2:SCRATCH_EN: 0
; COMPUTE_PGM_RSRC2:USER_SGPR: 6
; COMPUTE_PGM_RSRC2:TRAP_HANDLER: 0
; COMPUTE_PGM_RSRC2:TGID_X_EN: 1
; COMPUTE_PGM_RSRC2:TGID_Y_EN: 0
; COMPUTE_PGM_RSRC2:TGID_Z_EN: 0
; COMPUTE_PGM_RSRC2:TIDIG_COMP_CNT: 0
	.section	.text._ZN9rocsparseL35bsr2csr_block_per_row_33_256_kernelILj1024ELj128ELj32E21rocsparse_complex_numIfEiiEEv20rocsparse_direction_T4_S4_21rocsparse_index_base_PKT2_PKT3_PKS4_S4_S5_PS6_PS9_PS4_,"axG",@progbits,_ZN9rocsparseL35bsr2csr_block_per_row_33_256_kernelILj1024ELj128ELj32E21rocsparse_complex_numIfEiiEEv20rocsparse_direction_T4_S4_21rocsparse_index_base_PKT2_PKT3_PKS4_S4_S5_PS6_PS9_PS4_,comdat
	.globl	_ZN9rocsparseL35bsr2csr_block_per_row_33_256_kernelILj1024ELj128ELj32E21rocsparse_complex_numIfEiiEEv20rocsparse_direction_T4_S4_21rocsparse_index_base_PKT2_PKT3_PKS4_S4_S5_PS6_PS9_PS4_ ; -- Begin function _ZN9rocsparseL35bsr2csr_block_per_row_33_256_kernelILj1024ELj128ELj32E21rocsparse_complex_numIfEiiEEv20rocsparse_direction_T4_S4_21rocsparse_index_base_PKT2_PKT3_PKS4_S4_S5_PS6_PS9_PS4_
	.p2align	8
	.type	_ZN9rocsparseL35bsr2csr_block_per_row_33_256_kernelILj1024ELj128ELj32E21rocsparse_complex_numIfEiiEEv20rocsparse_direction_T4_S4_21rocsparse_index_base_PKT2_PKT3_PKS4_S4_S5_PS6_PS9_PS4_,@function
_ZN9rocsparseL35bsr2csr_block_per_row_33_256_kernelILj1024ELj128ELj32E21rocsparse_complex_numIfEiiEEv20rocsparse_direction_T4_S4_21rocsparse_index_base_PKT2_PKT3_PKS4_S4_S5_PS6_PS9_PS4_: ; @_ZN9rocsparseL35bsr2csr_block_per_row_33_256_kernelILj1024ELj128ELj32E21rocsparse_complex_numIfEiiEEv20rocsparse_direction_T4_S4_21rocsparse_index_base_PKT2_PKT3_PKS4_S4_S5_PS6_PS9_PS4_
; %bb.0:
	s_load_dwordx2 s[0:1], s[4:5], 0x18
	s_ashr_i32 s7, s6, 31
	s_clause 0x1
	s_load_dwordx2 s[8:9], s[4:5], 0x28
	s_load_dwordx2 s[12:13], s[4:5], 0x38
	s_lshl_b64 s[2:3], s[6:7], 2
	v_or_b32_e32 v1, s6, v0
	s_waitcnt lgkmcnt(0)
	s_add_u32 s0, s0, s2
	s_addc_u32 s1, s1, s3
	s_load_dwordx2 s[18:19], s[0:1], 0x0
	s_mov_b32 s0, exec_lo
	v_cmpx_eq_u32_e32 0, v1
	s_cbranch_execz .LBB167_2
; %bb.1:
	v_mov_b32_e32 v1, 0
	v_mov_b32_e32 v2, s9
	global_store_dword v1, v2, s[12:13]
.LBB167_2:
	s_or_b32 exec_lo, exec_lo, s0
	s_load_dword s21, s[4:5], 0xc
	v_lshrrev_b32_e32 v4, 5, v0
	s_mul_i32 s6, s8, s6
	v_cmp_gt_i32_e64 s0, s8, v4
	s_waitcnt lgkmcnt(0)
	s_sub_i32 s10, s18, s21
	s_sub_i32 s24, s19, s21
	s_mul_i32 s20, s8, s10
	s_sub_i32 s11, s24, s10
	s_mul_i32 s1, s20, s8
	s_mul_i32 s7, s11, s8
	s_add_i32 s1, s1, s9
	s_add_i32 s14, s1, s7
	s_and_saveexec_b32 s1, s0
	s_cbranch_execz .LBB167_4
; %bb.3:
	v_add_nc_u32_e32 v1, s6, v4
	v_mad_u64_u32 v[5:6], null, v4, s7, s[14:15]
	v_ashrrev_i32_e32 v2, 31, v1
	v_lshlrev_b64 v[1:2], 2, v[1:2]
	v_add_co_u32 v1, vcc_lo, s12, v1
	v_add_co_ci_u32_e64 v2, null, s13, v2, vcc_lo
	global_store_dword v[1:2], v5, off offset:4
.LBB167_4:
	s_or_b32 exec_lo, exec_lo, s1
	v_or_b32_e32 v1, 32, v4
	v_cmp_gt_i32_e64 s2, s8, v1
	s_and_saveexec_b32 s1, s2
	s_cbranch_execz .LBB167_6
; %bb.5:
	s_ashr_i32 s3, s6, 31
	v_add_co_u32 v2, s15, v4, s6
	v_add_co_ci_u32_e64 v3, null, 0, s3, s15
	v_mad_u64_u32 v[5:6], null, v1, s7, s[14:15]
	v_lshlrev_b64 v[2:3], 2, v[2:3]
	v_add_co_u32 v1, vcc_lo, s12, v2
	v_add_co_ci_u32_e64 v2, null, s13, v3, vcc_lo
	global_store_dword v[1:2], v5, off offset:132
.LBB167_6:
	s_or_b32 exec_lo, exec_lo, s1
	v_or_b32_e32 v1, 64, v4
	v_cmp_gt_i32_e64 s3, s8, v1
	s_and_saveexec_b32 s1, s3
	s_cbranch_execz .LBB167_8
; %bb.7:
	s_ashr_i32 s15, s6, 31
	v_add_co_u32 v2, s16, v4, s6
	v_add_co_ci_u32_e64 v3, null, 0, s15, s16
	v_mad_u64_u32 v[5:6], null, v1, s7, s[14:15]
	v_lshlrev_b64 v[2:3], 2, v[2:3]
	v_add_co_u32 v1, vcc_lo, s12, v2
	v_add_co_ci_u32_e64 v2, null, s13, v3, vcc_lo
	global_store_dword v[1:2], v5, off offset:260
.LBB167_8:
	;; [unrolled: 15-line block ×3, first 2 shown]
	s_or_b32 exec_lo, exec_lo, s15
	s_cmp_lt_i32 s18, s19
	s_cbranch_scc0 .LBB167_45
; %bb.11:
	s_clause 0x2
	s_load_dwordx2 s[22:23], s[4:5], 0x20
	s_load_dwordx2 s[12:13], s[4:5], 0x30
	s_load_dword s7, s[4:5], 0x0
	v_mad_u64_u32 v[15:16], null, v4, s11, s[20:21]
	v_and_b32_e32 v5, 31, v0
	v_add_nc_u32_e32 v0, s20, v4
	s_clause 0x1
	s_load_dwordx2 s[14:15], s[4:5], 0x10
	s_load_dwordx2 s[16:17], s[4:5], 0x40
	s_mul_i32 s25, s8, s8
	s_mov_b32 s26, 0
	v_or_b32_e32 v6, 32, v5
	v_or_b32_e32 v7, 64, v5
	;; [unrolled: 1-line block ×3, first 2 shown]
	v_add_nc_u32_e32 v1, 32, v0
	v_add_nc_u32_e32 v17, s20, v5
	;; [unrolled: 1-line block ×3, first 2 shown]
	v_lshl_add_u32 v16, s19, 5, v15
	v_cmp_gt_i32_e64 s4, s8, v5
	v_cmp_gt_i32_e64 s5, s8, v6
	;; [unrolled: 1-line block ×3, first 2 shown]
	v_mul_lo_u32 v9, s8, v1
	v_add_nc_u32_e32 v1, 0x60, v17
	s_waitcnt lgkmcnt(0)
	s_cmp_eq_u32 s7, 0
	v_cmp_gt_i32_e64 s7, s8, v8
	v_mul_lo_u32 v10, s8, v2
	v_add_nc_u32_e32 v2, 64, v17
	v_mad_u64_u32 v[13:14], null, 0x60, s19, v[15:16]
	v_lshl_add_u32 v14, s19, 6, v15
	s_cselect_b32 vcc_lo, -1, 0
	s_and_b32 s27, s0, s4
	s_and_b32 s28, s0, s5
	;; [unrolled: 1-line block ×4, first 2 shown]
	v_add_nc_u32_e32 v3, 0x60, v0
	v_mul_lo_u32 v12, s8, v0
	v_mad_u64_u32 v[0:1], null, s8, v1, v[4:5]
	s_lshl_b32 s0, s18, 5
	v_mad_u64_u32 v[1:2], null, s8, v2, v[4:5]
	s_and_b32 s31, s2, s4
	s_and_b32 s33, s2, s5
	s_and_b32 s34, s2, s6
	s_and_b32 s35, s2, s7
	v_add_nc_u32_e32 v2, 32, v17
	v_subrev_nc_u32_e32 v16, s0, v16
	s_lshl_b32 s0, s18, 6
	s_mul_i32 s2, s18, 0x60
	v_subrev_nc_u32_e32 v14, s0, v14
	v_subrev_nc_u32_e32 v18, s2, v13
	v_mul_lo_u32 v11, s8, v3
	v_mad_u64_u32 v[2:3], null, s8, v2, v[4:5]
	v_mad_u64_u32 v[3:4], null, s8, v17, v[4:5]
	v_mul_lo_u32 v4, s8, v16
	v_mul_lo_u32 v13, s8, v14
	;; [unrolled: 1-line block ×4, first 2 shown]
	s_ashr_i32 s11, s10, 31
	s_and_b32 s36, s3, s4
	s_and_b32 s37, s3, s5
	;; [unrolled: 1-line block ×4, first 2 shown]
	s_lshl_b64 s[2:3], s[10:11], 2
	s_and_b32 s4, s1, s4
	s_and_b32 s5, s1, s5
	;; [unrolled: 1-line block ×4, first 2 shown]
	s_add_u32 s2, s22, s2
	s_addc_u32 s3, s23, s3
	s_branch .LBB167_13
.LBB167_12:                             ;   in Loop: Header=BB167_13 Depth=1
	s_or_b32 exec_lo, exec_lo, s7
	s_add_i32 s10, s10, 1
	v_add_nc_u32_e32 v9, s25, v9
	v_add_nc_u32_e32 v10, s25, v10
	;; [unrolled: 1-line block ×4, first 2 shown]
	s_add_i32 s26, s26, s25
	v_add_nc_u32_e32 v4, s8, v4
	v_add_nc_u32_e32 v13, s8, v13
	;; [unrolled: 1-line block ×4, first 2 shown]
	s_add_u32 s2, s2, 4
	s_addc_u32 s3, s3, 0
	s_cmp_ge_i32 s10, s24
	s_cbranch_scc1 .LBB167_45
.LBB167_13:                             ; =>This Inner Loop Header: Depth=1
	s_load_dword s0, s[2:3], 0x0
	s_waitcnt lgkmcnt(0)
	s_sub_i32 s0, s0, s21
	s_mul_i32 s7, s0, s8
	s_add_i32 s7, s7, s9
	v_add_nc_u32_e32 v16, s7, v5
	s_and_saveexec_b32 s11, s27
	s_cbranch_execz .LBB167_15
; %bb.14:                               ;   in Loop: Header=BB167_13 Depth=1
	v_add_nc_u32_e32 v17, v5, v12
	v_add_nc_u32_e32 v18, s26, v3
	;; [unrolled: 1-line block ×3, first 2 shown]
	v_cndmask_b32_e32 v17, v18, v17, vcc_lo
	v_ashrrev_i32_e32 v20, 31, v19
	v_ashrrev_i32_e32 v18, 31, v17
	v_lshlrev_b64 v[21:22], 2, v[19:20]
	v_lshlrev_b64 v[19:20], 3, v[19:20]
	;; [unrolled: 1-line block ×3, first 2 shown]
	v_add_co_u32 v17, s0, s14, v17
	v_add_co_ci_u32_e64 v18, null, s15, v18, s0
	v_add_co_u32 v21, s0, s16, v21
	v_add_co_ci_u32_e64 v22, null, s17, v22, s0
	global_load_dwordx2 v[17:18], v[17:18], off
	v_add_co_u32 v19, s0, s12, v19
	v_add_co_ci_u32_e64 v20, null, s13, v20, s0
	global_store_dword v[21:22], v16, off
	s_waitcnt vmcnt(0)
	global_store_dwordx2 v[19:20], v[17:18], off
.LBB167_15:                             ;   in Loop: Header=BB167_13 Depth=1
	s_or_b32 exec_lo, exec_lo, s11
	v_add_nc_u32_e32 v17, s7, v6
	v_add_nc_u32_e32 v22, s26, v2
	s_and_saveexec_b32 s11, s28
	s_cbranch_execz .LBB167_17
; %bb.16:                               ;   in Loop: Header=BB167_13 Depth=1
	v_add3_u32 v18, v5, v12, 32
	v_add3_u32 v20, v5, v15, 32
	v_cndmask_b32_e32 v18, v22, v18, vcc_lo
	v_ashrrev_i32_e32 v21, 31, v20
	v_ashrrev_i32_e32 v19, 31, v18
	v_lshlrev_b64 v[23:24], 2, v[20:21]
	v_lshlrev_b64 v[20:21], 3, v[20:21]
	;; [unrolled: 1-line block ×3, first 2 shown]
	v_add_co_u32 v18, s0, s14, v18
	v_add_co_ci_u32_e64 v19, null, s15, v19, s0
	v_add_co_u32 v23, s0, s16, v23
	v_add_co_ci_u32_e64 v24, null, s17, v24, s0
	global_load_dwordx2 v[18:19], v[18:19], off
	v_add_co_u32 v20, s0, s12, v20
	v_add_co_ci_u32_e64 v21, null, s13, v21, s0
	global_store_dword v[23:24], v17, off
	s_waitcnt vmcnt(0)
	global_store_dwordx2 v[20:21], v[18:19], off
.LBB167_17:                             ;   in Loop: Header=BB167_13 Depth=1
	s_or_b32 exec_lo, exec_lo, s11
	v_add_nc_u32_e32 v18, s7, v7
	v_add_nc_u32_e32 v21, s26, v1
	s_and_saveexec_b32 s11, s29
	s_cbranch_execz .LBB167_19
; %bb.18:                               ;   in Loop: Header=BB167_13 Depth=1
	v_add3_u32 v19, v5, v12, 64
	v_add3_u32 v23, v5, v15, 64
	v_cndmask_b32_e32 v19, v21, v19, vcc_lo
	v_ashrrev_i32_e32 v24, 31, v23
	v_ashrrev_i32_e32 v20, 31, v19
	v_lshlrev_b64 v[25:26], 2, v[23:24]
	v_lshlrev_b64 v[23:24], 3, v[23:24]
	;; [unrolled: 1-line block ×3, first 2 shown]
	v_add_co_u32 v19, s0, s14, v19
	v_add_co_ci_u32_e64 v20, null, s15, v20, s0
	v_add_co_u32 v25, s0, s16, v25
	v_add_co_ci_u32_e64 v26, null, s17, v26, s0
	global_load_dwordx2 v[19:20], v[19:20], off
	v_add_co_u32 v23, s0, s12, v23
	v_add_co_ci_u32_e64 v24, null, s13, v24, s0
	global_store_dword v[25:26], v18, off
	s_waitcnt vmcnt(0)
	global_store_dwordx2 v[23:24], v[19:20], off
.LBB167_19:                             ;   in Loop: Header=BB167_13 Depth=1
	s_or_b32 exec_lo, exec_lo, s11
	v_add_nc_u32_e32 v19, s7, v8
	v_add_nc_u32_e32 v20, s26, v0
	s_and_saveexec_b32 s7, s30
	s_cbranch_execnz .LBB167_32
; %bb.20:                               ;   in Loop: Header=BB167_13 Depth=1
	s_or_b32 exec_lo, exec_lo, s7
	v_add_nc_u32_e32 v23, v5, v9
	s_and_saveexec_b32 s7, s31
	s_cbranch_execnz .LBB167_33
.LBB167_21:                             ;   in Loop: Header=BB167_13 Depth=1
	s_or_b32 exec_lo, exec_lo, s7
	s_and_saveexec_b32 s7, s33
	s_cbranch_execnz .LBB167_34
.LBB167_22:                             ;   in Loop: Header=BB167_13 Depth=1
	s_or_b32 exec_lo, exec_lo, s7
	s_and_saveexec_b32 s7, s34
	s_cbranch_execnz .LBB167_35
.LBB167_23:                             ;   in Loop: Header=BB167_13 Depth=1
	s_or_b32 exec_lo, exec_lo, s7
	s_and_saveexec_b32 s7, s35
	s_cbranch_execnz .LBB167_36
.LBB167_24:                             ;   in Loop: Header=BB167_13 Depth=1
	s_or_b32 exec_lo, exec_lo, s7
	v_add_nc_u32_e32 v22, v5, v10
	s_and_saveexec_b32 s7, s36
	s_cbranch_execnz .LBB167_37
.LBB167_25:                             ;   in Loop: Header=BB167_13 Depth=1
	s_or_b32 exec_lo, exec_lo, s7
	s_and_saveexec_b32 s7, s37
	s_cbranch_execnz .LBB167_38
.LBB167_26:                             ;   in Loop: Header=BB167_13 Depth=1
	s_or_b32 exec_lo, exec_lo, s7
	s_and_saveexec_b32 s7, s38
	s_cbranch_execnz .LBB167_39
.LBB167_27:                             ;   in Loop: Header=BB167_13 Depth=1
	s_or_b32 exec_lo, exec_lo, s7
	s_and_saveexec_b32 s7, s39
	s_cbranch_execnz .LBB167_40
.LBB167_28:                             ;   in Loop: Header=BB167_13 Depth=1
	s_or_b32 exec_lo, exec_lo, s7
	v_add_nc_u32_e32 v21, v5, v11
	s_and_saveexec_b32 s7, s4
	s_cbranch_execnz .LBB167_41
.LBB167_29:                             ;   in Loop: Header=BB167_13 Depth=1
	s_or_b32 exec_lo, exec_lo, s7
	s_and_saveexec_b32 s7, s5
	s_cbranch_execnz .LBB167_42
.LBB167_30:                             ;   in Loop: Header=BB167_13 Depth=1
	s_or_b32 exec_lo, exec_lo, s7
	s_and_saveexec_b32 s7, s6
	s_cbranch_execnz .LBB167_43
.LBB167_31:                             ;   in Loop: Header=BB167_13 Depth=1
	s_or_b32 exec_lo, exec_lo, s7
	s_and_saveexec_b32 s7, s1
	s_cbranch_execz .LBB167_12
	s_branch .LBB167_44
.LBB167_32:                             ;   in Loop: Header=BB167_13 Depth=1
	v_add3_u32 v23, v5, v12, 0x60
	v_add3_u32 v25, v5, v15, 0x60
	v_cndmask_b32_e32 v23, v20, v23, vcc_lo
	v_ashrrev_i32_e32 v26, 31, v25
	v_ashrrev_i32_e32 v24, 31, v23
	v_lshlrev_b64 v[27:28], 2, v[25:26]
	v_lshlrev_b64 v[25:26], 3, v[25:26]
	;; [unrolled: 1-line block ×3, first 2 shown]
	v_add_co_u32 v23, s0, s14, v23
	v_add_co_ci_u32_e64 v24, null, s15, v24, s0
	v_add_co_u32 v27, s0, s16, v27
	v_add_co_ci_u32_e64 v28, null, s17, v28, s0
	global_load_dwordx2 v[23:24], v[23:24], off
	v_add_co_u32 v25, s0, s12, v25
	v_add_co_ci_u32_e64 v26, null, s13, v26, s0
	global_store_dword v[27:28], v19, off
	s_waitcnt vmcnt(0)
	global_store_dwordx2 v[25:26], v[23:24], off
	s_or_b32 exec_lo, exec_lo, s7
	v_add_nc_u32_e32 v23, v5, v9
	s_and_saveexec_b32 s7, s31
	s_cbranch_execz .LBB167_21
.LBB167_33:                             ;   in Loop: Header=BB167_13 Depth=1
	v_add3_u32 v24, v3, s26, 32
	v_add_nc_u32_e32 v26, v5, v4
	v_cndmask_b32_e32 v24, v24, v23, vcc_lo
	v_ashrrev_i32_e32 v27, 31, v26
	v_ashrrev_i32_e32 v25, 31, v24
	v_lshlrev_b64 v[28:29], 2, v[26:27]
	v_lshlrev_b64 v[26:27], 3, v[26:27]
	v_lshlrev_b64 v[24:25], 3, v[24:25]
	v_add_co_u32 v24, s0, s14, v24
	v_add_co_ci_u32_e64 v25, null, s15, v25, s0
	v_add_co_u32 v28, s0, s16, v28
	v_add_co_ci_u32_e64 v29, null, s17, v29, s0
	global_load_dwordx2 v[24:25], v[24:25], off
	v_add_co_u32 v26, s0, s12, v26
	v_add_co_ci_u32_e64 v27, null, s13, v27, s0
	global_store_dword v[28:29], v16, off
	s_waitcnt vmcnt(0)
	global_store_dwordx2 v[26:27], v[24:25], off
	s_or_b32 exec_lo, exec_lo, s7
	s_and_saveexec_b32 s7, s33
	s_cbranch_execz .LBB167_22
.LBB167_34:                             ;   in Loop: Header=BB167_13 Depth=1
	v_cndmask_b32_e32 v22, v22, v23, vcc_lo
	v_add3_u32 v24, v5, v4, 32
	v_add_nc_u32_e32 v22, 32, v22
	v_ashrrev_i32_e32 v25, 31, v24
	v_ashrrev_i32_e32 v23, 31, v22
	v_lshlrev_b64 v[26:27], 2, v[24:25]
	v_lshlrev_b64 v[24:25], 3, v[24:25]
	;; [unrolled: 1-line block ×3, first 2 shown]
	v_add_co_u32 v22, s0, s14, v22
	v_add_co_ci_u32_e64 v23, null, s15, v23, s0
	v_add_co_u32 v26, s0, s16, v26
	v_add_co_ci_u32_e64 v27, null, s17, v27, s0
	global_load_dwordx2 v[22:23], v[22:23], off
	v_add_co_u32 v24, s0, s12, v24
	v_add_co_ci_u32_e64 v25, null, s13, v25, s0
	global_store_dword v[26:27], v17, off
	s_waitcnt vmcnt(0)
	global_store_dwordx2 v[24:25], v[22:23], off
	s_or_b32 exec_lo, exec_lo, s7
	s_and_saveexec_b32 s7, s34
	s_cbranch_execz .LBB167_23
.LBB167_35:                             ;   in Loop: Header=BB167_13 Depth=1
	v_add3_u32 v22, v5, v9, 64
	v_add3_u32 v23, v1, s26, 32
	;; [unrolled: 1-line block ×3, first 2 shown]
	v_cndmask_b32_e32 v22, v23, v22, vcc_lo
	v_ashrrev_i32_e32 v25, 31, v24
	v_ashrrev_i32_e32 v23, 31, v22
	v_lshlrev_b64 v[26:27], 2, v[24:25]
	v_lshlrev_b64 v[24:25], 3, v[24:25]
	v_lshlrev_b64 v[22:23], 3, v[22:23]
	v_add_co_u32 v22, s0, s14, v22
	v_add_co_ci_u32_e64 v23, null, s15, v23, s0
	v_add_co_u32 v26, s0, s16, v26
	v_add_co_ci_u32_e64 v27, null, s17, v27, s0
	global_load_dwordx2 v[22:23], v[22:23], off
	v_add_co_u32 v24, s0, s12, v24
	v_add_co_ci_u32_e64 v25, null, s13, v25, s0
	global_store_dword v[26:27], v18, off
	s_waitcnt vmcnt(0)
	global_store_dwordx2 v[24:25], v[22:23], off
	s_or_b32 exec_lo, exec_lo, s7
	s_and_saveexec_b32 s7, s35
	s_cbranch_execz .LBB167_24
.LBB167_36:                             ;   in Loop: Header=BB167_13 Depth=1
	v_add3_u32 v22, v5, v9, 0x60
	v_add3_u32 v23, v0, s26, 32
	;; [unrolled: 1-line block ×3, first 2 shown]
	v_cndmask_b32_e32 v22, v23, v22, vcc_lo
	v_ashrrev_i32_e32 v25, 31, v24
	v_ashrrev_i32_e32 v23, 31, v22
	v_lshlrev_b64 v[26:27], 2, v[24:25]
	v_lshlrev_b64 v[24:25], 3, v[24:25]
	v_lshlrev_b64 v[22:23], 3, v[22:23]
	v_add_co_u32 v22, s0, s14, v22
	v_add_co_ci_u32_e64 v23, null, s15, v23, s0
	v_add_co_u32 v26, s0, s16, v26
	v_add_co_ci_u32_e64 v27, null, s17, v27, s0
	global_load_dwordx2 v[22:23], v[22:23], off
	v_add_co_u32 v24, s0, s12, v24
	v_add_co_ci_u32_e64 v25, null, s13, v25, s0
	global_store_dword v[26:27], v19, off
	s_waitcnt vmcnt(0)
	global_store_dwordx2 v[24:25], v[22:23], off
	s_or_b32 exec_lo, exec_lo, s7
	v_add_nc_u32_e32 v22, v5, v10
	s_and_saveexec_b32 s7, s36
	s_cbranch_execz .LBB167_25
.LBB167_37:                             ;   in Loop: Header=BB167_13 Depth=1
	v_add3_u32 v23, v3, s26, 64
	v_add_nc_u32_e32 v25, v5, v13
	v_cndmask_b32_e32 v23, v23, v22, vcc_lo
	v_ashrrev_i32_e32 v26, 31, v25
	v_ashrrev_i32_e32 v24, 31, v23
	v_lshlrev_b64 v[27:28], 2, v[25:26]
	v_lshlrev_b64 v[25:26], 3, v[25:26]
	;; [unrolled: 1-line block ×3, first 2 shown]
	v_add_co_u32 v23, s0, s14, v23
	v_add_co_ci_u32_e64 v24, null, s15, v24, s0
	v_add_co_u32 v27, s0, s16, v27
	v_add_co_ci_u32_e64 v28, null, s17, v28, s0
	global_load_dwordx2 v[23:24], v[23:24], off
	v_add_co_u32 v25, s0, s12, v25
	v_add_co_ci_u32_e64 v26, null, s13, v26, s0
	global_store_dword v[27:28], v16, off
	s_waitcnt vmcnt(0)
	global_store_dwordx2 v[25:26], v[23:24], off
	s_or_b32 exec_lo, exec_lo, s7
	s_and_saveexec_b32 s7, s37
	s_cbranch_execz .LBB167_26
.LBB167_38:                             ;   in Loop: Header=BB167_13 Depth=1
	v_add3_u32 v23, v5, v10, 32
	v_add3_u32 v24, v2, s26, 64
	;; [unrolled: 1-line block ×3, first 2 shown]
	v_cndmask_b32_e32 v23, v24, v23, vcc_lo
	v_ashrrev_i32_e32 v26, 31, v25
	v_ashrrev_i32_e32 v24, 31, v23
	v_lshlrev_b64 v[27:28], 2, v[25:26]
	v_lshlrev_b64 v[25:26], 3, v[25:26]
	;; [unrolled: 1-line block ×3, first 2 shown]
	v_add_co_u32 v23, s0, s14, v23
	v_add_co_ci_u32_e64 v24, null, s15, v24, s0
	v_add_co_u32 v27, s0, s16, v27
	v_add_co_ci_u32_e64 v28, null, s17, v28, s0
	global_load_dwordx2 v[23:24], v[23:24], off
	v_add_co_u32 v25, s0, s12, v25
	v_add_co_ci_u32_e64 v26, null, s13, v26, s0
	global_store_dword v[27:28], v17, off
	s_waitcnt vmcnt(0)
	global_store_dwordx2 v[25:26], v[23:24], off
	s_or_b32 exec_lo, exec_lo, s7
	s_and_saveexec_b32 s7, s38
	s_cbranch_execz .LBB167_27
.LBB167_39:                             ;   in Loop: Header=BB167_13 Depth=1
	v_cndmask_b32_e32 v21, v21, v22, vcc_lo
	v_add3_u32 v23, v5, v13, 64
	v_add_nc_u32_e32 v21, 64, v21
	v_ashrrev_i32_e32 v24, 31, v23
	v_ashrrev_i32_e32 v22, 31, v21
	v_lshlrev_b64 v[25:26], 2, v[23:24]
	v_lshlrev_b64 v[23:24], 3, v[23:24]
	;; [unrolled: 1-line block ×3, first 2 shown]
	v_add_co_u32 v21, s0, s14, v21
	v_add_co_ci_u32_e64 v22, null, s15, v22, s0
	v_add_co_u32 v25, s0, s16, v25
	v_add_co_ci_u32_e64 v26, null, s17, v26, s0
	global_load_dwordx2 v[21:22], v[21:22], off
	v_add_co_u32 v23, s0, s12, v23
	v_add_co_ci_u32_e64 v24, null, s13, v24, s0
	global_store_dword v[25:26], v18, off
	s_waitcnt vmcnt(0)
	global_store_dwordx2 v[23:24], v[21:22], off
	s_or_b32 exec_lo, exec_lo, s7
	s_and_saveexec_b32 s7, s39
	s_cbranch_execz .LBB167_28
.LBB167_40:                             ;   in Loop: Header=BB167_13 Depth=1
	v_add3_u32 v21, v5, v10, 0x60
	v_add3_u32 v22, v0, s26, 64
	;; [unrolled: 1-line block ×3, first 2 shown]
	v_cndmask_b32_e32 v21, v22, v21, vcc_lo
	v_ashrrev_i32_e32 v24, 31, v23
	v_ashrrev_i32_e32 v22, 31, v21
	v_lshlrev_b64 v[25:26], 2, v[23:24]
	v_lshlrev_b64 v[23:24], 3, v[23:24]
	;; [unrolled: 1-line block ×3, first 2 shown]
	v_add_co_u32 v21, s0, s14, v21
	v_add_co_ci_u32_e64 v22, null, s15, v22, s0
	v_add_co_u32 v25, s0, s16, v25
	v_add_co_ci_u32_e64 v26, null, s17, v26, s0
	global_load_dwordx2 v[21:22], v[21:22], off
	v_add_co_u32 v23, s0, s12, v23
	v_add_co_ci_u32_e64 v24, null, s13, v24, s0
	global_store_dword v[25:26], v19, off
	s_waitcnt vmcnt(0)
	global_store_dwordx2 v[23:24], v[21:22], off
	s_or_b32 exec_lo, exec_lo, s7
	v_add_nc_u32_e32 v21, v5, v11
	s_and_saveexec_b32 s7, s4
	s_cbranch_execz .LBB167_29
.LBB167_41:                             ;   in Loop: Header=BB167_13 Depth=1
	v_add3_u32 v22, v3, s26, 0x60
	v_add_nc_u32_e32 v24, v5, v14
	v_cndmask_b32_e32 v22, v22, v21, vcc_lo
	v_ashrrev_i32_e32 v25, 31, v24
	v_ashrrev_i32_e32 v23, 31, v22
	v_lshlrev_b64 v[26:27], 2, v[24:25]
	v_lshlrev_b64 v[24:25], 3, v[24:25]
	;; [unrolled: 1-line block ×3, first 2 shown]
	v_add_co_u32 v22, s0, s14, v22
	v_add_co_ci_u32_e64 v23, null, s15, v23, s0
	v_add_co_u32 v26, s0, s16, v26
	v_add_co_ci_u32_e64 v27, null, s17, v27, s0
	global_load_dwordx2 v[22:23], v[22:23], off
	v_add_co_u32 v24, s0, s12, v24
	v_add_co_ci_u32_e64 v25, null, s13, v25, s0
	global_store_dword v[26:27], v16, off
	s_waitcnt vmcnt(0)
	global_store_dwordx2 v[24:25], v[22:23], off
	s_or_b32 exec_lo, exec_lo, s7
	s_and_saveexec_b32 s7, s5
	s_cbranch_execz .LBB167_30
.LBB167_42:                             ;   in Loop: Header=BB167_13 Depth=1
	v_add3_u32 v16, v5, v11, 32
	v_add3_u32 v22, v2, s26, 0x60
	;; [unrolled: 1-line block ×3, first 2 shown]
	v_cndmask_b32_e32 v22, v22, v16, vcc_lo
	v_ashrrev_i32_e32 v25, 31, v24
	v_ashrrev_i32_e32 v23, 31, v22
	v_lshlrev_b64 v[26:27], 2, v[24:25]
	v_lshlrev_b64 v[24:25], 3, v[24:25]
	;; [unrolled: 1-line block ×3, first 2 shown]
	v_add_co_u32 v22, s0, s14, v22
	v_add_co_ci_u32_e64 v23, null, s15, v23, s0
	v_add_co_u32 v26, s0, s16, v26
	v_add_co_ci_u32_e64 v27, null, s17, v27, s0
	global_load_dwordx2 v[22:23], v[22:23], off
	v_add_co_u32 v24, s0, s12, v24
	v_add_co_ci_u32_e64 v25, null, s13, v25, s0
	global_store_dword v[26:27], v17, off
	s_waitcnt vmcnt(0)
	global_store_dwordx2 v[24:25], v[22:23], off
	s_or_b32 exec_lo, exec_lo, s7
	s_and_saveexec_b32 s7, s6
	s_cbranch_execz .LBB167_31
.LBB167_43:                             ;   in Loop: Header=BB167_13 Depth=1
	v_add3_u32 v16, v5, v11, 64
	v_add3_u32 v17, v1, s26, 0x60
	;; [unrolled: 1-line block ×3, first 2 shown]
	v_cndmask_b32_e32 v16, v17, v16, vcc_lo
	v_ashrrev_i32_e32 v23, 31, v22
	v_ashrrev_i32_e32 v17, 31, v16
	v_lshlrev_b64 v[24:25], 2, v[22:23]
	v_lshlrev_b64 v[22:23], 3, v[22:23]
	;; [unrolled: 1-line block ×3, first 2 shown]
	v_add_co_u32 v16, s0, s14, v16
	v_add_co_ci_u32_e64 v17, null, s15, v17, s0
	v_add_co_u32 v24, s0, s16, v24
	v_add_co_ci_u32_e64 v25, null, s17, v25, s0
	global_load_dwordx2 v[16:17], v[16:17], off
	v_add_co_u32 v22, s0, s12, v22
	v_add_co_ci_u32_e64 v23, null, s13, v23, s0
	global_store_dword v[24:25], v18, off
	s_waitcnt vmcnt(0)
	global_store_dwordx2 v[22:23], v[16:17], off
	s_or_b32 exec_lo, exec_lo, s7
	s_and_saveexec_b32 s7, s1
	s_cbranch_execz .LBB167_12
.LBB167_44:                             ;   in Loop: Header=BB167_13 Depth=1
	v_cndmask_b32_e32 v16, v20, v21, vcc_lo
	v_add3_u32 v20, v5, v14, 0x60
	v_add_nc_u32_e32 v16, 0x60, v16
	v_ashrrev_i32_e32 v21, 31, v20
	v_ashrrev_i32_e32 v17, 31, v16
	v_lshlrev_b64 v[22:23], 2, v[20:21]
	v_lshlrev_b64 v[20:21], 3, v[20:21]
	;; [unrolled: 1-line block ×3, first 2 shown]
	v_add_co_u32 v16, s0, s14, v16
	v_add_co_ci_u32_e64 v17, null, s15, v17, s0
	v_add_co_u32 v22, s0, s16, v22
	v_add_co_ci_u32_e64 v23, null, s17, v23, s0
	global_load_dwordx2 v[16:17], v[16:17], off
	v_add_co_u32 v20, s0, s12, v20
	v_add_co_ci_u32_e64 v21, null, s13, v21, s0
	global_store_dword v[22:23], v19, off
	s_waitcnt vmcnt(0)
	global_store_dwordx2 v[20:21], v[16:17], off
	s_branch .LBB167_12
.LBB167_45:
	s_endpgm
	.section	.rodata,"a",@progbits
	.p2align	6, 0x0
	.amdhsa_kernel _ZN9rocsparseL35bsr2csr_block_per_row_33_256_kernelILj1024ELj128ELj32E21rocsparse_complex_numIfEiiEEv20rocsparse_direction_T4_S4_21rocsparse_index_base_PKT2_PKT3_PKS4_S4_S5_PS6_PS9_PS4_
		.amdhsa_group_segment_fixed_size 0
		.amdhsa_private_segment_fixed_size 0
		.amdhsa_kernarg_size 72
		.amdhsa_user_sgpr_count 6
		.amdhsa_user_sgpr_private_segment_buffer 1
		.amdhsa_user_sgpr_dispatch_ptr 0
		.amdhsa_user_sgpr_queue_ptr 0
		.amdhsa_user_sgpr_kernarg_segment_ptr 1
		.amdhsa_user_sgpr_dispatch_id 0
		.amdhsa_user_sgpr_flat_scratch_init 0
		.amdhsa_user_sgpr_private_segment_size 0
		.amdhsa_wavefront_size32 1
		.amdhsa_uses_dynamic_stack 0
		.amdhsa_system_sgpr_private_segment_wavefront_offset 0
		.amdhsa_system_sgpr_workgroup_id_x 1
		.amdhsa_system_sgpr_workgroup_id_y 0
		.amdhsa_system_sgpr_workgroup_id_z 0
		.amdhsa_system_sgpr_workgroup_info 0
		.amdhsa_system_vgpr_workitem_id 0
		.amdhsa_next_free_vgpr 30
		.amdhsa_next_free_sgpr 40
		.amdhsa_reserve_vcc 1
		.amdhsa_reserve_flat_scratch 0
		.amdhsa_float_round_mode_32 0
		.amdhsa_float_round_mode_16_64 0
		.amdhsa_float_denorm_mode_32 3
		.amdhsa_float_denorm_mode_16_64 3
		.amdhsa_dx10_clamp 1
		.amdhsa_ieee_mode 1
		.amdhsa_fp16_overflow 0
		.amdhsa_workgroup_processor_mode 1
		.amdhsa_memory_ordered 1
		.amdhsa_forward_progress 1
		.amdhsa_shared_vgpr_count 0
		.amdhsa_exception_fp_ieee_invalid_op 0
		.amdhsa_exception_fp_denorm_src 0
		.amdhsa_exception_fp_ieee_div_zero 0
		.amdhsa_exception_fp_ieee_overflow 0
		.amdhsa_exception_fp_ieee_underflow 0
		.amdhsa_exception_fp_ieee_inexact 0
		.amdhsa_exception_int_div_zero 0
	.end_amdhsa_kernel
	.section	.text._ZN9rocsparseL35bsr2csr_block_per_row_33_256_kernelILj1024ELj128ELj32E21rocsparse_complex_numIfEiiEEv20rocsparse_direction_T4_S4_21rocsparse_index_base_PKT2_PKT3_PKS4_S4_S5_PS6_PS9_PS4_,"axG",@progbits,_ZN9rocsparseL35bsr2csr_block_per_row_33_256_kernelILj1024ELj128ELj32E21rocsparse_complex_numIfEiiEEv20rocsparse_direction_T4_S4_21rocsparse_index_base_PKT2_PKT3_PKS4_S4_S5_PS6_PS9_PS4_,comdat
.Lfunc_end167:
	.size	_ZN9rocsparseL35bsr2csr_block_per_row_33_256_kernelILj1024ELj128ELj32E21rocsparse_complex_numIfEiiEEv20rocsparse_direction_T4_S4_21rocsparse_index_base_PKT2_PKT3_PKS4_S4_S5_PS6_PS9_PS4_, .Lfunc_end167-_ZN9rocsparseL35bsr2csr_block_per_row_33_256_kernelILj1024ELj128ELj32E21rocsparse_complex_numIfEiiEEv20rocsparse_direction_T4_S4_21rocsparse_index_base_PKT2_PKT3_PKS4_S4_S5_PS6_PS9_PS4_
                                        ; -- End function
	.set _ZN9rocsparseL35bsr2csr_block_per_row_33_256_kernelILj1024ELj128ELj32E21rocsparse_complex_numIfEiiEEv20rocsparse_direction_T4_S4_21rocsparse_index_base_PKT2_PKT3_PKS4_S4_S5_PS6_PS9_PS4_.num_vgpr, 30
	.set _ZN9rocsparseL35bsr2csr_block_per_row_33_256_kernelILj1024ELj128ELj32E21rocsparse_complex_numIfEiiEEv20rocsparse_direction_T4_S4_21rocsparse_index_base_PKT2_PKT3_PKS4_S4_S5_PS6_PS9_PS4_.num_agpr, 0
	.set _ZN9rocsparseL35bsr2csr_block_per_row_33_256_kernelILj1024ELj128ELj32E21rocsparse_complex_numIfEiiEEv20rocsparse_direction_T4_S4_21rocsparse_index_base_PKT2_PKT3_PKS4_S4_S5_PS6_PS9_PS4_.numbered_sgpr, 40
	.set _ZN9rocsparseL35bsr2csr_block_per_row_33_256_kernelILj1024ELj128ELj32E21rocsparse_complex_numIfEiiEEv20rocsparse_direction_T4_S4_21rocsparse_index_base_PKT2_PKT3_PKS4_S4_S5_PS6_PS9_PS4_.num_named_barrier, 0
	.set _ZN9rocsparseL35bsr2csr_block_per_row_33_256_kernelILj1024ELj128ELj32E21rocsparse_complex_numIfEiiEEv20rocsparse_direction_T4_S4_21rocsparse_index_base_PKT2_PKT3_PKS4_S4_S5_PS6_PS9_PS4_.private_seg_size, 0
	.set _ZN9rocsparseL35bsr2csr_block_per_row_33_256_kernelILj1024ELj128ELj32E21rocsparse_complex_numIfEiiEEv20rocsparse_direction_T4_S4_21rocsparse_index_base_PKT2_PKT3_PKS4_S4_S5_PS6_PS9_PS4_.uses_vcc, 1
	.set _ZN9rocsparseL35bsr2csr_block_per_row_33_256_kernelILj1024ELj128ELj32E21rocsparse_complex_numIfEiiEEv20rocsparse_direction_T4_S4_21rocsparse_index_base_PKT2_PKT3_PKS4_S4_S5_PS6_PS9_PS4_.uses_flat_scratch, 0
	.set _ZN9rocsparseL35bsr2csr_block_per_row_33_256_kernelILj1024ELj128ELj32E21rocsparse_complex_numIfEiiEEv20rocsparse_direction_T4_S4_21rocsparse_index_base_PKT2_PKT3_PKS4_S4_S5_PS6_PS9_PS4_.has_dyn_sized_stack, 0
	.set _ZN9rocsparseL35bsr2csr_block_per_row_33_256_kernelILj1024ELj128ELj32E21rocsparse_complex_numIfEiiEEv20rocsparse_direction_T4_S4_21rocsparse_index_base_PKT2_PKT3_PKS4_S4_S5_PS6_PS9_PS4_.has_recursion, 0
	.set _ZN9rocsparseL35bsr2csr_block_per_row_33_256_kernelILj1024ELj128ELj32E21rocsparse_complex_numIfEiiEEv20rocsparse_direction_T4_S4_21rocsparse_index_base_PKT2_PKT3_PKS4_S4_S5_PS6_PS9_PS4_.has_indirect_call, 0
	.section	.AMDGPU.csdata,"",@progbits
; Kernel info:
; codeLenInByte = 3472
; TotalNumSgprs: 42
; NumVgprs: 30
; ScratchSize: 0
; MemoryBound: 0
; FloatMode: 240
; IeeeMode: 1
; LDSByteSize: 0 bytes/workgroup (compile time only)
; SGPRBlocks: 0
; VGPRBlocks: 3
; NumSGPRsForWavesPerEU: 42
; NumVGPRsForWavesPerEU: 30
; Occupancy: 16
; WaveLimiterHint : 1
; COMPUTE_PGM_RSRC2:SCRATCH_EN: 0
; COMPUTE_PGM_RSRC2:USER_SGPR: 6
; COMPUTE_PGM_RSRC2:TRAP_HANDLER: 0
; COMPUTE_PGM_RSRC2:TGID_X_EN: 1
; COMPUTE_PGM_RSRC2:TGID_Y_EN: 0
; COMPUTE_PGM_RSRC2:TGID_Z_EN: 0
; COMPUTE_PGM_RSRC2:TIDIG_COMP_CNT: 0
	.section	.text._ZN9rocsparseL35bsr2csr_block_per_row_33_256_kernelILj1024ELj256ELj32E21rocsparse_complex_numIfEiiEEv20rocsparse_direction_T4_S4_21rocsparse_index_base_PKT2_PKT3_PKS4_S4_S5_PS6_PS9_PS4_,"axG",@progbits,_ZN9rocsparseL35bsr2csr_block_per_row_33_256_kernelILj1024ELj256ELj32E21rocsparse_complex_numIfEiiEEv20rocsparse_direction_T4_S4_21rocsparse_index_base_PKT2_PKT3_PKS4_S4_S5_PS6_PS9_PS4_,comdat
	.globl	_ZN9rocsparseL35bsr2csr_block_per_row_33_256_kernelILj1024ELj256ELj32E21rocsparse_complex_numIfEiiEEv20rocsparse_direction_T4_S4_21rocsparse_index_base_PKT2_PKT3_PKS4_S4_S5_PS6_PS9_PS4_ ; -- Begin function _ZN9rocsparseL35bsr2csr_block_per_row_33_256_kernelILj1024ELj256ELj32E21rocsparse_complex_numIfEiiEEv20rocsparse_direction_T4_S4_21rocsparse_index_base_PKT2_PKT3_PKS4_S4_S5_PS6_PS9_PS4_
	.p2align	8
	.type	_ZN9rocsparseL35bsr2csr_block_per_row_33_256_kernelILj1024ELj256ELj32E21rocsparse_complex_numIfEiiEEv20rocsparse_direction_T4_S4_21rocsparse_index_base_PKT2_PKT3_PKS4_S4_S5_PS6_PS9_PS4_,@function
_ZN9rocsparseL35bsr2csr_block_per_row_33_256_kernelILj1024ELj256ELj32E21rocsparse_complex_numIfEiiEEv20rocsparse_direction_T4_S4_21rocsparse_index_base_PKT2_PKT3_PKS4_S4_S5_PS6_PS9_PS4_: ; @_ZN9rocsparseL35bsr2csr_block_per_row_33_256_kernelILj1024ELj256ELj32E21rocsparse_complex_numIfEiiEEv20rocsparse_direction_T4_S4_21rocsparse_index_base_PKT2_PKT3_PKS4_S4_S5_PS6_PS9_PS4_
; %bb.0:
	s_load_dwordx2 s[0:1], s[4:5], 0x18
	s_ashr_i32 s7, s6, 31
	s_clause 0x1
	s_load_dwordx2 s[16:17], s[4:5], 0x28
	s_load_dwordx2 s[10:11], s[4:5], 0x38
	s_lshl_b64 s[2:3], s[6:7], 2
	v_or_b32_e32 v1, s6, v0
	s_waitcnt lgkmcnt(0)
	s_add_u32 s0, s0, s2
	s_addc_u32 s1, s1, s3
	s_load_dwordx2 s[26:27], s[0:1], 0x0
	s_mov_b32 s0, exec_lo
	v_cmpx_eq_u32_e32 0, v1
	s_cbranch_execz .LBB168_2
; %bb.1:
	v_mov_b32_e32 v1, 0
	v_mov_b32_e32 v2, s17
	global_store_dword v1, v2, s[10:11]
.LBB168_2:
	s_or_b32 exec_lo, exec_lo, s0
	s_load_dword s29, s[4:5], 0xc
	v_lshrrev_b32_e32 v13, 5, v0
	s_mul_i32 s14, s16, s6
	v_cmp_gt_i32_e64 s0, s16, v13
	s_waitcnt lgkmcnt(0)
	s_sub_i32 s18, s26, s29
	s_sub_i32 s33, s27, s29
	s_mul_i32 s28, s16, s18
	s_sub_i32 s19, s33, s18
	s_mul_i32 s1, s28, s16
	s_mul_i32 s13, s19, s16
	s_add_i32 s1, s1, s17
	s_add_i32 s12, s1, s13
	s_and_saveexec_b32 s1, s0
	s_cbranch_execz .LBB168_4
; %bb.3:
	v_add_nc_u32_e32 v1, s14, v13
	v_mad_u64_u32 v[3:4], null, v13, s13, s[12:13]
	v_ashrrev_i32_e32 v2, 31, v1
	v_lshlrev_b64 v[1:2], 2, v[1:2]
	v_add_co_u32 v1, vcc_lo, s10, v1
	v_add_co_ci_u32_e64 v2, null, s11, v2, vcc_lo
	global_store_dword v[1:2], v3, off offset:4
.LBB168_4:
	s_or_b32 exec_lo, exec_lo, s1
	v_or_b32_e32 v1, 32, v13
	v_cmp_gt_i32_e64 s1, s16, v1
	s_and_saveexec_b32 s2, s1
	s_cbranch_execz .LBB168_6
; %bb.5:
	s_ashr_i32 s3, s14, 31
	v_add_co_u32 v2, s6, v13, s14
	v_add_co_ci_u32_e64 v3, null, 0, s3, s6
	v_mad_u64_u32 v[4:5], null, v1, s13, s[12:13]
	v_lshlrev_b64 v[2:3], 2, v[2:3]
	v_add_co_u32 v1, vcc_lo, s10, v2
	v_add_co_ci_u32_e64 v2, null, s11, v3, vcc_lo
	global_store_dword v[1:2], v4, off offset:132
.LBB168_6:
	s_or_b32 exec_lo, exec_lo, s2
	v_or_b32_e32 v1, 64, v13
	v_cmp_gt_i32_e64 s3, s16, v1
	s_and_saveexec_b32 s2, s3
	s_cbranch_execz .LBB168_8
; %bb.7:
	s_ashr_i32 s6, s14, 31
	v_add_co_u32 v2, s7, v13, s14
	v_add_co_ci_u32_e64 v3, null, 0, s6, s7
	v_mad_u64_u32 v[4:5], null, v1, s13, s[12:13]
	v_lshlrev_b64 v[2:3], 2, v[2:3]
	v_add_co_u32 v1, vcc_lo, s10, v2
	v_add_co_ci_u32_e64 v2, null, s11, v3, vcc_lo
	global_store_dword v[1:2], v4, off offset:260
.LBB168_8:
	;; [unrolled: 15-line block ×7, first 2 shown]
	s_or_b32 exec_lo, exec_lo, s15
	s_cmp_lt_i32 s26, s27
	s_cbranch_scc0 .LBB168_149
; %bb.19:
	v_and_b32_e32 v0, 31, v0
	v_add_nc_u32_e32 v17, s28, v13
	s_clause 0x3
	s_load_dwordx2 s[30:31], s[4:5], 0x20
	s_load_dwordx2 s[20:21], s[4:5], 0x30
	s_load_dword s11, s[4:5], 0x0
	s_load_dwordx2 s[22:23], s[4:5], 0x10
	v_mad_u64_u32 v[31:32], null, v13, s19, s[28:29]
	v_add_nc_u32_e32 v9, s28, v0
	v_mad_u64_u32 v[1:2], null, s16, v17, v[0:1]
	v_add_nc_u32_e32 v12, 32, v17
	v_or_b32_e32 v18, 32, v0
	v_mad_u64_u32 v[2:3], null, s16, v9, v[13:14]
	v_add_nc_u32_e32 v3, 0xe0, v9
	v_add_nc_u32_e32 v5, 0xc0, v9
	v_add_nc_u32_e32 v6, 0xa0, v9
	v_add_nc_u32_e32 v7, 0x80, v9
	v_add_nc_u32_e32 v8, 0x60, v9
	v_mad_u64_u32 v[3:4], null, s16, v3, v[13:14]
	v_add_nc_u32_e32 v10, 64, v9
	v_mad_u64_u32 v[4:5], null, s16, v5, v[13:14]
	v_mad_u64_u32 v[5:6], null, s16, v6, v[13:14]
	;; [unrolled: 1-line block ×4, first 2 shown]
	v_add_nc_u32_e32 v11, 32, v9
	v_mad_u64_u32 v[8:9], null, s16, v10, v[13:14]
	v_add_nc_u32_e32 v14, 64, v17
	v_or_b32_e32 v19, 64, v0
	v_or_b32_e32 v20, 0x60, v0
	v_or_b32_e32 v21, 0x80, v0
	v_or_b32_e32 v22, 0xa0, v0
	v_mad_u64_u32 v[9:10], null, s16, v11, v[13:14]
	v_mad_u64_u32 v[10:11], null, s16, v12, v[0:1]
	;; [unrolled: 1-line block ×3, first 2 shown]
	v_add_nc_u32_e32 v12, 0x60, v17
	v_add_nc_u32_e32 v14, 0x80, v17
	v_or_b32_e32 v23, 0xc0, v0
	v_or_b32_e32 v24, 0xe0, v0
	v_mad_u64_u32 v[25:26], null, 0xe0, s27, v[31:32]
	v_mad_u64_u32 v[12:13], null, s16, v12, v[0:1]
	;; [unrolled: 1-line block ×3, first 2 shown]
	v_add_nc_u32_e32 v14, 0xa0, v17
	v_mad_u64_u32 v[26:27], null, 0xc0, s27, v[31:32]
	s_load_dwordx2 s[24:25], s[4:5], 0x40
	v_cmp_gt_i32_e64 s4, s16, v0
	v_cmp_gt_i32_e64 s5, s16, v18
	;; [unrolled: 1-line block ×3, first 2 shown]
	s_waitcnt lgkmcnt(0)
	s_cmp_eq_u32 s11, 0
	v_cmp_gt_i32_e64 s11, s16, v20
	v_cmp_gt_i32_e64 s12, s16, v21
	;; [unrolled: 1-line block ×5, first 2 shown]
	v_add_nc_u32_e32 v16, 0xc0, v17
	v_mad_u64_u32 v[14:15], null, s16, v14, v[0:1]
	s_cselect_b32 vcc_lo, -1, 0
	s_and_b32 s36, s0, s4
	s_and_b32 s37, s0, s5
	;; [unrolled: 1-line block ×16, first 2 shown]
	v_mad_u64_u32 v[15:16], null, s16, v16, v[0:1]
	s_mul_i32 s0, s26, 0xe0
	s_mul_i32 s3, s26, 0xc0
	v_add_nc_u32_e32 v16, 0xe0, v17
	v_subrev_nc_u32_e32 v25, s0, v25
	v_subrev_nc_u32_e32 v28, s3, v26
	v_mad_u64_u32 v[26:27], null, 0xa0, s27, v[31:32]
	v_mad_u64_u32 v[16:17], null, s16, v16, v[0:1]
	v_mul_lo_u32 v17, s16, v25
	v_mul_lo_u32 v25, s16, v28
	v_lshl_add_u32 v29, s27, 7, v31
	v_mad_u64_u32 v[27:28], null, 0x60, s27, v[31:32]
	s_lshl_b32 s3, s26, 7
	s_mul_i32 s0, s26, 0xa0
	v_subrev_nc_u32_e32 v28, s3, v29
	v_lshl_add_u32 v29, s27, 6, v31
	v_lshl_add_u32 v30, s27, 5, v31
	v_subrev_nc_u32_e32 v26, s0, v26
	s_mul_i32 s0, s26, 0x60
	s_lshl_b32 s3, s26, 5
	v_subrev_nc_u32_e32 v32, s0, v27
	s_lshl_b32 s0, s26, 6
	v_subrev_nc_u32_e32 v30, s3, v30
	v_subrev_nc_u32_e32 v29, s0, v29
	v_mul_lo_u32 v26, s16, v26
	v_mul_lo_u32 v27, s16, v28
	;; [unrolled: 1-line block ×6, first 2 shown]
	s_ashr_i32 s19, s18, 31
	v_cndmask_b32_e32 v32, v2, v1, vcc_lo
	s_lshl_b64 s[26:27], s[18:19], 2
	s_and_b32 s44, s1, s4
	s_and_b32 s45, s1, s5
	;; [unrolled: 1-line block ×48, first 2 shown]
	s_add_u32 s2, s30, s26
	s_mul_i32 s34, s16, s16
	s_mov_b32 s35, 0
	s_addc_u32 s3, s31, s27
	s_branch .LBB168_21
.LBB168_20:                             ;   in Loop: Header=BB168_21 Depth=1
	s_or_b32 exec_lo, exec_lo, s19
	s_add_i32 s18, s18, 1
	s_add_i32 s35, s35, s34
	v_add_nc_u32_e32 v17, s16, v17
	v_add_nc_u32_e32 v25, s16, v25
	v_add_nc_u32_e32 v26, s16, v26
	v_add_nc_u32_e32 v27, s16, v27
	v_add_nc_u32_e32 v28, s16, v28
	v_add_nc_u32_e32 v29, s16, v29
	v_add_nc_u32_e32 v30, s16, v30
	v_add_nc_u32_e32 v31, s16, v31
	s_add_u32 s2, s2, 4
	s_addc_u32 s3, s3, 0
	s_cmp_ge_i32 s18, s33
	s_cbranch_scc1 .LBB168_149
.LBB168_21:                             ; =>This Inner Loop Header: Depth=1
	s_load_dword s0, s[2:3], 0x0
	s_waitcnt lgkmcnt(0)
	s_sub_i32 s0, s0, s29
	s_mul_i32 s19, s0, s16
	s_add_i32 s19, s19, s17
	v_add_nc_u32_e32 v34, s19, v0
	s_and_saveexec_b32 s26, s36
	s_cbranch_execnz .LBB168_85
; %bb.22:                               ;   in Loop: Header=BB168_21 Depth=1
	s_or_b32 exec_lo, exec_lo, s26
	v_add_nc_u32_e32 v33, s19, v18
	s_and_saveexec_b32 s26, s37
	s_cbranch_execnz .LBB168_86
.LBB168_23:                             ;   in Loop: Header=BB168_21 Depth=1
	s_or_b32 exec_lo, exec_lo, s26
	v_add_nc_u32_e32 v35, s19, v19
	s_and_saveexec_b32 s26, s38
	s_cbranch_execnz .LBB168_87
.LBB168_24:                             ;   in Loop: Header=BB168_21 Depth=1
	s_or_b32 exec_lo, exec_lo, s26
	v_add_nc_u32_e32 v36, s19, v20
	s_and_saveexec_b32 s26, s39
	s_cbranch_execnz .LBB168_88
.LBB168_25:                             ;   in Loop: Header=BB168_21 Depth=1
	s_or_b32 exec_lo, exec_lo, s26
	v_add_nc_u32_e32 v37, s19, v21
	s_and_saveexec_b32 s26, s40
	s_cbranch_execnz .LBB168_89
.LBB168_26:                             ;   in Loop: Header=BB168_21 Depth=1
	s_or_b32 exec_lo, exec_lo, s26
	v_add_nc_u32_e32 v38, s19, v22
	s_and_saveexec_b32 s26, s41
	s_cbranch_execnz .LBB168_90
.LBB168_27:                             ;   in Loop: Header=BB168_21 Depth=1
	s_or_b32 exec_lo, exec_lo, s26
	v_add_nc_u32_e32 v39, s19, v23
	s_and_saveexec_b32 s26, s42
	s_cbranch_execnz .LBB168_91
.LBB168_28:                             ;   in Loop: Header=BB168_21 Depth=1
	s_or_b32 exec_lo, exec_lo, s26
	v_add_nc_u32_e32 v40, s19, v24
	s_and_saveexec_b32 s19, s43
	s_cbranch_execnz .LBB168_92
.LBB168_29:                             ;   in Loop: Header=BB168_21 Depth=1
	s_or_b32 exec_lo, exec_lo, s19
	s_and_saveexec_b32 s19, s44
	s_cbranch_execnz .LBB168_93
.LBB168_30:                             ;   in Loop: Header=BB168_21 Depth=1
	s_or_b32 exec_lo, exec_lo, s19
	s_and_saveexec_b32 s19, s45
	s_cbranch_execnz .LBB168_94
.LBB168_31:                             ;   in Loop: Header=BB168_21 Depth=1
	s_or_b32 exec_lo, exec_lo, s19
	s_and_saveexec_b32 s19, s46
	s_cbranch_execnz .LBB168_95
.LBB168_32:                             ;   in Loop: Header=BB168_21 Depth=1
	s_or_b32 exec_lo, exec_lo, s19
	s_and_saveexec_b32 s19, s47
	s_cbranch_execnz .LBB168_96
.LBB168_33:                             ;   in Loop: Header=BB168_21 Depth=1
	s_or_b32 exec_lo, exec_lo, s19
	s_and_saveexec_b32 s19, s48
	s_cbranch_execnz .LBB168_97
.LBB168_34:                             ;   in Loop: Header=BB168_21 Depth=1
	s_or_b32 exec_lo, exec_lo, s19
	s_and_saveexec_b32 s19, s49
	s_cbranch_execnz .LBB168_98
.LBB168_35:                             ;   in Loop: Header=BB168_21 Depth=1
	s_or_b32 exec_lo, exec_lo, s19
	s_and_saveexec_b32 s19, s50
	s_cbranch_execnz .LBB168_99
.LBB168_36:                             ;   in Loop: Header=BB168_21 Depth=1
	s_or_b32 exec_lo, exec_lo, s19
	s_and_saveexec_b32 s19, s1
	s_cbranch_execnz .LBB168_100
.LBB168_37:                             ;   in Loop: Header=BB168_21 Depth=1
	s_or_b32 exec_lo, exec_lo, s19
	s_and_saveexec_b32 s19, s51
	s_cbranch_execnz .LBB168_101
.LBB168_38:                             ;   in Loop: Header=BB168_21 Depth=1
	s_or_b32 exec_lo, exec_lo, s19
	s_and_saveexec_b32 s19, s52
	s_cbranch_execnz .LBB168_102
.LBB168_39:                             ;   in Loop: Header=BB168_21 Depth=1
	s_or_b32 exec_lo, exec_lo, s19
	s_and_saveexec_b32 s19, s53
	s_cbranch_execnz .LBB168_103
.LBB168_40:                             ;   in Loop: Header=BB168_21 Depth=1
	s_or_b32 exec_lo, exec_lo, s19
	s_and_saveexec_b32 s19, s54
	s_cbranch_execnz .LBB168_104
.LBB168_41:                             ;   in Loop: Header=BB168_21 Depth=1
	s_or_b32 exec_lo, exec_lo, s19
	s_and_saveexec_b32 s19, s55
	s_cbranch_execnz .LBB168_105
.LBB168_42:                             ;   in Loop: Header=BB168_21 Depth=1
	s_or_b32 exec_lo, exec_lo, s19
	s_and_saveexec_b32 s19, s56
	s_cbranch_execnz .LBB168_106
.LBB168_43:                             ;   in Loop: Header=BB168_21 Depth=1
	s_or_b32 exec_lo, exec_lo, s19
	s_and_saveexec_b32 s19, s57
	s_cbranch_execnz .LBB168_107
.LBB168_44:                             ;   in Loop: Header=BB168_21 Depth=1
	s_or_b32 exec_lo, exec_lo, s19
	s_and_saveexec_b32 s19, s58
	s_cbranch_execnz .LBB168_108
.LBB168_45:                             ;   in Loop: Header=BB168_21 Depth=1
	s_or_b32 exec_lo, exec_lo, s19
	s_and_saveexec_b32 s19, s59
	s_cbranch_execnz .LBB168_109
.LBB168_46:                             ;   in Loop: Header=BB168_21 Depth=1
	s_or_b32 exec_lo, exec_lo, s19
	s_and_saveexec_b32 s19, s60
	s_cbranch_execnz .LBB168_110
.LBB168_47:                             ;   in Loop: Header=BB168_21 Depth=1
	s_or_b32 exec_lo, exec_lo, s19
	s_and_saveexec_b32 s19, s61
	s_cbranch_execnz .LBB168_111
.LBB168_48:                             ;   in Loop: Header=BB168_21 Depth=1
	s_or_b32 exec_lo, exec_lo, s19
	s_and_saveexec_b32 s19, s62
	s_cbranch_execnz .LBB168_112
.LBB168_49:                             ;   in Loop: Header=BB168_21 Depth=1
	s_or_b32 exec_lo, exec_lo, s19
	s_and_saveexec_b32 s19, s63
	s_cbranch_execnz .LBB168_113
.LBB168_50:                             ;   in Loop: Header=BB168_21 Depth=1
	s_or_b32 exec_lo, exec_lo, s19
	s_and_saveexec_b32 s19, s64
	s_cbranch_execnz .LBB168_114
.LBB168_51:                             ;   in Loop: Header=BB168_21 Depth=1
	s_or_b32 exec_lo, exec_lo, s19
	s_and_saveexec_b32 s19, s65
	s_cbranch_execnz .LBB168_115
.LBB168_52:                             ;   in Loop: Header=BB168_21 Depth=1
	s_or_b32 exec_lo, exec_lo, s19
	s_and_saveexec_b32 s19, s6
	s_cbranch_execnz .LBB168_116
.LBB168_53:                             ;   in Loop: Header=BB168_21 Depth=1
	s_or_b32 exec_lo, exec_lo, s19
	s_and_saveexec_b32 s19, s66
	s_cbranch_execnz .LBB168_117
.LBB168_54:                             ;   in Loop: Header=BB168_21 Depth=1
	s_or_b32 exec_lo, exec_lo, s19
	s_and_saveexec_b32 s19, s67
	s_cbranch_execnz .LBB168_118
.LBB168_55:                             ;   in Loop: Header=BB168_21 Depth=1
	s_or_b32 exec_lo, exec_lo, s19
	s_and_saveexec_b32 s19, s68
	s_cbranch_execnz .LBB168_119
.LBB168_56:                             ;   in Loop: Header=BB168_21 Depth=1
	s_or_b32 exec_lo, exec_lo, s19
	s_and_saveexec_b32 s19, s69
	s_cbranch_execnz .LBB168_120
.LBB168_57:                             ;   in Loop: Header=BB168_21 Depth=1
	s_or_b32 exec_lo, exec_lo, s19
	s_and_saveexec_b32 s19, s70
	s_cbranch_execnz .LBB168_121
.LBB168_58:                             ;   in Loop: Header=BB168_21 Depth=1
	s_or_b32 exec_lo, exec_lo, s19
	s_and_saveexec_b32 s19, s71
	s_cbranch_execnz .LBB168_122
.LBB168_59:                             ;   in Loop: Header=BB168_21 Depth=1
	s_or_b32 exec_lo, exec_lo, s19
	s_and_saveexec_b32 s19, s72
	s_cbranch_execnz .LBB168_123
.LBB168_60:                             ;   in Loop: Header=BB168_21 Depth=1
	s_or_b32 exec_lo, exec_lo, s19
	s_and_saveexec_b32 s19, s7
	s_cbranch_execnz .LBB168_124
.LBB168_61:                             ;   in Loop: Header=BB168_21 Depth=1
	s_or_b32 exec_lo, exec_lo, s19
	s_and_saveexec_b32 s19, s73
	s_cbranch_execnz .LBB168_125
.LBB168_62:                             ;   in Loop: Header=BB168_21 Depth=1
	s_or_b32 exec_lo, exec_lo, s19
	s_and_saveexec_b32 s19, s74
	s_cbranch_execnz .LBB168_126
.LBB168_63:                             ;   in Loop: Header=BB168_21 Depth=1
	s_or_b32 exec_lo, exec_lo, s19
	s_and_saveexec_b32 s19, s75
	s_cbranch_execnz .LBB168_127
.LBB168_64:                             ;   in Loop: Header=BB168_21 Depth=1
	s_or_b32 exec_lo, exec_lo, s19
	s_and_saveexec_b32 s19, s76
	s_cbranch_execnz .LBB168_128
.LBB168_65:                             ;   in Loop: Header=BB168_21 Depth=1
	s_or_b32 exec_lo, exec_lo, s19
	s_and_saveexec_b32 s19, s77
	s_cbranch_execnz .LBB168_129
.LBB168_66:                             ;   in Loop: Header=BB168_21 Depth=1
	s_or_b32 exec_lo, exec_lo, s19
	s_and_saveexec_b32 s19, s78
	s_cbranch_execnz .LBB168_130
.LBB168_67:                             ;   in Loop: Header=BB168_21 Depth=1
	s_or_b32 exec_lo, exec_lo, s19
	s_and_saveexec_b32 s19, s79
	s_cbranch_execnz .LBB168_131
.LBB168_68:                             ;   in Loop: Header=BB168_21 Depth=1
	s_or_b32 exec_lo, exec_lo, s19
	s_and_saveexec_b32 s19, s8
	s_cbranch_execnz .LBB168_132
.LBB168_69:                             ;   in Loop: Header=BB168_21 Depth=1
	s_or_b32 exec_lo, exec_lo, s19
	s_and_saveexec_b32 s19, s80
	s_cbranch_execnz .LBB168_133
.LBB168_70:                             ;   in Loop: Header=BB168_21 Depth=1
	s_or_b32 exec_lo, exec_lo, s19
	s_and_saveexec_b32 s19, s81
	s_cbranch_execnz .LBB168_134
.LBB168_71:                             ;   in Loop: Header=BB168_21 Depth=1
	s_or_b32 exec_lo, exec_lo, s19
	s_and_saveexec_b32 s19, s82
	s_cbranch_execnz .LBB168_135
.LBB168_72:                             ;   in Loop: Header=BB168_21 Depth=1
	s_or_b32 exec_lo, exec_lo, s19
	s_and_saveexec_b32 s19, s83
	s_cbranch_execnz .LBB168_136
.LBB168_73:                             ;   in Loop: Header=BB168_21 Depth=1
	s_or_b32 exec_lo, exec_lo, s19
	s_and_saveexec_b32 s19, s84
	s_cbranch_execnz .LBB168_137
.LBB168_74:                             ;   in Loop: Header=BB168_21 Depth=1
	s_or_b32 exec_lo, exec_lo, s19
	s_and_saveexec_b32 s19, s85
	s_cbranch_execnz .LBB168_138
.LBB168_75:                             ;   in Loop: Header=BB168_21 Depth=1
	s_or_b32 exec_lo, exec_lo, s19
	s_and_saveexec_b32 s19, s86
	s_cbranch_execnz .LBB168_139
.LBB168_76:                             ;   in Loop: Header=BB168_21 Depth=1
	s_or_b32 exec_lo, exec_lo, s19
	s_and_saveexec_b32 s19, s9
	s_cbranch_execnz .LBB168_140
.LBB168_77:                             ;   in Loop: Header=BB168_21 Depth=1
	s_or_b32 exec_lo, exec_lo, s19
	s_and_saveexec_b32 s19, s4
	s_cbranch_execnz .LBB168_141
.LBB168_78:                             ;   in Loop: Header=BB168_21 Depth=1
	s_or_b32 exec_lo, exec_lo, s19
	s_and_saveexec_b32 s19, s5
	s_cbranch_execnz .LBB168_142
.LBB168_79:                             ;   in Loop: Header=BB168_21 Depth=1
	s_or_b32 exec_lo, exec_lo, s19
	s_and_saveexec_b32 s19, s10
	s_cbranch_execnz .LBB168_143
.LBB168_80:                             ;   in Loop: Header=BB168_21 Depth=1
	s_or_b32 exec_lo, exec_lo, s19
	s_and_saveexec_b32 s19, s11
	s_cbranch_execnz .LBB168_144
.LBB168_81:                             ;   in Loop: Header=BB168_21 Depth=1
	s_or_b32 exec_lo, exec_lo, s19
	s_and_saveexec_b32 s19, s12
	s_cbranch_execnz .LBB168_145
.LBB168_82:                             ;   in Loop: Header=BB168_21 Depth=1
	s_or_b32 exec_lo, exec_lo, s19
	s_and_saveexec_b32 s19, s13
	s_cbranch_execnz .LBB168_146
.LBB168_83:                             ;   in Loop: Header=BB168_21 Depth=1
	s_or_b32 exec_lo, exec_lo, s19
	s_and_saveexec_b32 s19, s14
	s_cbranch_execnz .LBB168_147
.LBB168_84:                             ;   in Loop: Header=BB168_21 Depth=1
	s_or_b32 exec_lo, exec_lo, s19
	s_and_saveexec_b32 s19, s15
	s_cbranch_execz .LBB168_20
	s_branch .LBB168_148
.LBB168_85:                             ;   in Loop: Header=BB168_21 Depth=1
	v_add_nc_u32_e32 v35, s35, v32
	v_add_nc_u32_e32 v37, v0, v31
	v_ashrrev_i32_e32 v36, 31, v35
	v_ashrrev_i32_e32 v38, 31, v37
	v_lshlrev_b64 v[35:36], 3, v[35:36]
	v_lshlrev_b64 v[39:40], 2, v[37:38]
	;; [unrolled: 1-line block ×3, first 2 shown]
	v_add_co_u32 v35, s0, s22, v35
	v_add_co_ci_u32_e64 v36, null, s23, v36, s0
	v_add_co_u32 v39, s0, s24, v39
	v_add_co_ci_u32_e64 v40, null, s25, v40, s0
	global_load_dwordx2 v[35:36], v[35:36], off
	v_add_co_u32 v37, s0, s20, v37
	v_add_co_ci_u32_e64 v38, null, s21, v38, s0
	global_store_dword v[39:40], v34, off
	s_waitcnt vmcnt(0)
	global_store_dwordx2 v[37:38], v[35:36], off
	s_or_b32 exec_lo, exec_lo, s26
	v_add_nc_u32_e32 v33, s19, v18
	s_and_saveexec_b32 s26, s37
	s_cbranch_execz .LBB168_23
.LBB168_86:                             ;   in Loop: Header=BB168_21 Depth=1
	v_add3_u32 v35, v1, s35, 32
	v_add_nc_u32_e32 v36, s35, v9
	v_add3_u32 v37, v0, v31, 32
	v_cndmask_b32_e32 v35, v36, v35, vcc_lo
	v_ashrrev_i32_e32 v38, 31, v37
	v_ashrrev_i32_e32 v36, 31, v35
	v_lshlrev_b64 v[39:40], 2, v[37:38]
	v_lshlrev_b64 v[37:38], 3, v[37:38]
	;; [unrolled: 1-line block ×3, first 2 shown]
	v_add_co_u32 v35, s0, s22, v35
	v_add_co_ci_u32_e64 v36, null, s23, v36, s0
	v_add_co_u32 v39, s0, s24, v39
	v_add_co_ci_u32_e64 v40, null, s25, v40, s0
	global_load_dwordx2 v[35:36], v[35:36], off
	v_add_co_u32 v37, s0, s20, v37
	v_add_co_ci_u32_e64 v38, null, s21, v38, s0
	global_store_dword v[39:40], v33, off
	s_waitcnt vmcnt(0)
	global_store_dwordx2 v[37:38], v[35:36], off
	s_or_b32 exec_lo, exec_lo, s26
	v_add_nc_u32_e32 v35, s19, v19
	s_and_saveexec_b32 s26, s38
	s_cbranch_execz .LBB168_24
.LBB168_87:                             ;   in Loop: Header=BB168_21 Depth=1
	v_add3_u32 v36, v1, s35, 64
	v_add_nc_u32_e32 v37, s35, v8
	v_add3_u32 v38, v0, v31, 64
	v_cndmask_b32_e32 v36, v37, v36, vcc_lo
	v_ashrrev_i32_e32 v39, 31, v38
	v_ashrrev_i32_e32 v37, 31, v36
	v_lshlrev_b64 v[40:41], 2, v[38:39]
	v_lshlrev_b64 v[38:39], 3, v[38:39]
	;; [unrolled: 1-line block ×3, first 2 shown]
	v_add_co_u32 v36, s0, s22, v36
	v_add_co_ci_u32_e64 v37, null, s23, v37, s0
	v_add_co_u32 v40, s0, s24, v40
	v_add_co_ci_u32_e64 v41, null, s25, v41, s0
	global_load_dwordx2 v[36:37], v[36:37], off
	v_add_co_u32 v38, s0, s20, v38
	v_add_co_ci_u32_e64 v39, null, s21, v39, s0
	global_store_dword v[40:41], v35, off
	s_waitcnt vmcnt(0)
	global_store_dwordx2 v[38:39], v[36:37], off
	s_or_b32 exec_lo, exec_lo, s26
	v_add_nc_u32_e32 v36, s19, v20
	s_and_saveexec_b32 s26, s39
	s_cbranch_execz .LBB168_25
.LBB168_88:                             ;   in Loop: Header=BB168_21 Depth=1
	v_add3_u32 v37, v1, s35, 0x60
	v_add_nc_u32_e32 v38, s35, v7
	v_add3_u32 v39, v0, v31, 0x60
	v_cndmask_b32_e32 v37, v38, v37, vcc_lo
	v_ashrrev_i32_e32 v40, 31, v39
	v_ashrrev_i32_e32 v38, 31, v37
	v_lshlrev_b64 v[41:42], 2, v[39:40]
	v_lshlrev_b64 v[39:40], 3, v[39:40]
	;; [unrolled: 1-line block ×3, first 2 shown]
	v_add_co_u32 v37, s0, s22, v37
	v_add_co_ci_u32_e64 v38, null, s23, v38, s0
	v_add_co_u32 v41, s0, s24, v41
	v_add_co_ci_u32_e64 v42, null, s25, v42, s0
	global_load_dwordx2 v[37:38], v[37:38], off
	v_add_co_u32 v39, s0, s20, v39
	v_add_co_ci_u32_e64 v40, null, s21, v40, s0
	global_store_dword v[41:42], v36, off
	s_waitcnt vmcnt(0)
	global_store_dwordx2 v[39:40], v[37:38], off
	s_or_b32 exec_lo, exec_lo, s26
	v_add_nc_u32_e32 v37, s19, v21
	s_and_saveexec_b32 s26, s40
	s_cbranch_execz .LBB168_26
.LBB168_89:                             ;   in Loop: Header=BB168_21 Depth=1
	v_add3_u32 v38, v1, s35, 0x80
	v_add_nc_u32_e32 v39, s35, v6
	v_add3_u32 v40, v0, v31, 0x80
	v_cndmask_b32_e32 v38, v39, v38, vcc_lo
	v_ashrrev_i32_e32 v41, 31, v40
	v_ashrrev_i32_e32 v39, 31, v38
	v_lshlrev_b64 v[42:43], 2, v[40:41]
	v_lshlrev_b64 v[40:41], 3, v[40:41]
	;; [unrolled: 1-line block ×3, first 2 shown]
	v_add_co_u32 v38, s0, s22, v38
	v_add_co_ci_u32_e64 v39, null, s23, v39, s0
	v_add_co_u32 v42, s0, s24, v42
	v_add_co_ci_u32_e64 v43, null, s25, v43, s0
	global_load_dwordx2 v[38:39], v[38:39], off
	v_add_co_u32 v40, s0, s20, v40
	v_add_co_ci_u32_e64 v41, null, s21, v41, s0
	global_store_dword v[42:43], v37, off
	s_waitcnt vmcnt(0)
	global_store_dwordx2 v[40:41], v[38:39], off
	s_or_b32 exec_lo, exec_lo, s26
	v_add_nc_u32_e32 v38, s19, v22
	s_and_saveexec_b32 s26, s41
	s_cbranch_execz .LBB168_27
.LBB168_90:                             ;   in Loop: Header=BB168_21 Depth=1
	v_add3_u32 v39, v1, s35, 0xa0
	v_add_nc_u32_e32 v40, s35, v5
	v_add3_u32 v41, v0, v31, 0xa0
	v_cndmask_b32_e32 v39, v40, v39, vcc_lo
	v_ashrrev_i32_e32 v42, 31, v41
	v_ashrrev_i32_e32 v40, 31, v39
	v_lshlrev_b64 v[43:44], 2, v[41:42]
	v_lshlrev_b64 v[41:42], 3, v[41:42]
	;; [unrolled: 1-line block ×3, first 2 shown]
	v_add_co_u32 v39, s0, s22, v39
	v_add_co_ci_u32_e64 v40, null, s23, v40, s0
	v_add_co_u32 v43, s0, s24, v43
	v_add_co_ci_u32_e64 v44, null, s25, v44, s0
	global_load_dwordx2 v[39:40], v[39:40], off
	v_add_co_u32 v41, s0, s20, v41
	v_add_co_ci_u32_e64 v42, null, s21, v42, s0
	global_store_dword v[43:44], v38, off
	s_waitcnt vmcnt(0)
	global_store_dwordx2 v[41:42], v[39:40], off
	s_or_b32 exec_lo, exec_lo, s26
	v_add_nc_u32_e32 v39, s19, v23
	s_and_saveexec_b32 s26, s42
	s_cbranch_execz .LBB168_28
.LBB168_91:                             ;   in Loop: Header=BB168_21 Depth=1
	v_add3_u32 v40, v1, s35, 0xc0
	v_add_nc_u32_e32 v41, s35, v4
	v_add3_u32 v42, v0, v31, 0xc0
	v_cndmask_b32_e32 v40, v41, v40, vcc_lo
	v_ashrrev_i32_e32 v43, 31, v42
	v_ashrrev_i32_e32 v41, 31, v40
	v_lshlrev_b64 v[44:45], 2, v[42:43]
	v_lshlrev_b64 v[42:43], 3, v[42:43]
	;; [unrolled: 1-line block ×3, first 2 shown]
	v_add_co_u32 v40, s0, s22, v40
	v_add_co_ci_u32_e64 v41, null, s23, v41, s0
	v_add_co_u32 v44, s0, s24, v44
	v_add_co_ci_u32_e64 v45, null, s25, v45, s0
	global_load_dwordx2 v[40:41], v[40:41], off
	v_add_co_u32 v42, s0, s20, v42
	v_add_co_ci_u32_e64 v43, null, s21, v43, s0
	global_store_dword v[44:45], v39, off
	s_waitcnt vmcnt(0)
	global_store_dwordx2 v[42:43], v[40:41], off
	s_or_b32 exec_lo, exec_lo, s26
	v_add_nc_u32_e32 v40, s19, v24
	s_and_saveexec_b32 s19, s43
	s_cbranch_execz .LBB168_29
.LBB168_92:                             ;   in Loop: Header=BB168_21 Depth=1
	v_add3_u32 v41, v1, s35, 0xe0
	v_add_nc_u32_e32 v42, s35, v3
	v_add3_u32 v43, v0, v31, 0xe0
	v_cndmask_b32_e32 v41, v42, v41, vcc_lo
	v_ashrrev_i32_e32 v44, 31, v43
	v_ashrrev_i32_e32 v42, 31, v41
	v_lshlrev_b64 v[45:46], 2, v[43:44]
	v_lshlrev_b64 v[43:44], 3, v[43:44]
	;; [unrolled: 1-line block ×3, first 2 shown]
	v_add_co_u32 v41, s0, s22, v41
	v_add_co_ci_u32_e64 v42, null, s23, v42, s0
	v_add_co_u32 v45, s0, s24, v45
	v_add_co_ci_u32_e64 v46, null, s25, v46, s0
	global_load_dwordx2 v[41:42], v[41:42], off
	v_add_co_u32 v43, s0, s20, v43
	v_add_co_ci_u32_e64 v44, null, s21, v44, s0
	global_store_dword v[45:46], v40, off
	s_waitcnt vmcnt(0)
	global_store_dwordx2 v[43:44], v[41:42], off
	s_or_b32 exec_lo, exec_lo, s19
	s_and_saveexec_b32 s19, s44
	s_cbranch_execz .LBB168_30
.LBB168_93:                             ;   in Loop: Header=BB168_21 Depth=1
	v_add_nc_u32_e32 v41, s35, v10
	v_add3_u32 v42, v2, s35, 32
	v_add_nc_u32_e32 v43, v0, v30
	v_cndmask_b32_e32 v41, v42, v41, vcc_lo
	v_ashrrev_i32_e32 v44, 31, v43
	v_ashrrev_i32_e32 v42, 31, v41
	v_lshlrev_b64 v[45:46], 2, v[43:44]
	v_lshlrev_b64 v[43:44], 3, v[43:44]
	;; [unrolled: 1-line block ×3, first 2 shown]
	v_add_co_u32 v41, s0, s22, v41
	v_add_co_ci_u32_e64 v42, null, s23, v42, s0
	v_add_co_u32 v45, s0, s24, v45
	v_add_co_ci_u32_e64 v46, null, s25, v46, s0
	global_load_dwordx2 v[41:42], v[41:42], off
	v_add_co_u32 v43, s0, s20, v43
	v_add_co_ci_u32_e64 v44, null, s21, v44, s0
	global_store_dword v[45:46], v34, off
	s_waitcnt vmcnt(0)
	global_store_dwordx2 v[43:44], v[41:42], off
	s_or_b32 exec_lo, exec_lo, s19
	s_and_saveexec_b32 s19, s45
	s_cbranch_execz .LBB168_31
.LBB168_94:                             ;   in Loop: Header=BB168_21 Depth=1
	v_cndmask_b32_e32 v41, v9, v10, vcc_lo
	v_add3_u32 v43, v0, v30, 32
	v_add3_u32 v41, v41, s35, 32
	v_ashrrev_i32_e32 v44, 31, v43
	v_ashrrev_i32_e32 v42, 31, v41
	v_lshlrev_b64 v[45:46], 2, v[43:44]
	v_lshlrev_b64 v[43:44], 3, v[43:44]
	;; [unrolled: 1-line block ×3, first 2 shown]
	v_add_co_u32 v41, s0, s22, v41
	v_add_co_ci_u32_e64 v42, null, s23, v42, s0
	v_add_co_u32 v45, s0, s24, v45
	v_add_co_ci_u32_e64 v46, null, s25, v46, s0
	global_load_dwordx2 v[41:42], v[41:42], off
	v_add_co_u32 v43, s0, s20, v43
	v_add_co_ci_u32_e64 v44, null, s21, v44, s0
	global_store_dword v[45:46], v33, off
	s_waitcnt vmcnt(0)
	global_store_dwordx2 v[43:44], v[41:42], off
	s_or_b32 exec_lo, exec_lo, s19
	s_and_saveexec_b32 s19, s46
	s_cbranch_execz .LBB168_32
.LBB168_95:                             ;   in Loop: Header=BB168_21 Depth=1
	v_add3_u32 v41, v10, s35, 64
	v_add3_u32 v42, v8, s35, 32
	;; [unrolled: 1-line block ×3, first 2 shown]
	v_cndmask_b32_e32 v41, v42, v41, vcc_lo
	v_ashrrev_i32_e32 v44, 31, v43
	v_ashrrev_i32_e32 v42, 31, v41
	v_lshlrev_b64 v[45:46], 2, v[43:44]
	v_lshlrev_b64 v[43:44], 3, v[43:44]
	;; [unrolled: 1-line block ×3, first 2 shown]
	v_add_co_u32 v41, s0, s22, v41
	v_add_co_ci_u32_e64 v42, null, s23, v42, s0
	v_add_co_u32 v45, s0, s24, v45
	v_add_co_ci_u32_e64 v46, null, s25, v46, s0
	global_load_dwordx2 v[41:42], v[41:42], off
	v_add_co_u32 v43, s0, s20, v43
	v_add_co_ci_u32_e64 v44, null, s21, v44, s0
	global_store_dword v[45:46], v35, off
	s_waitcnt vmcnt(0)
	global_store_dwordx2 v[43:44], v[41:42], off
	s_or_b32 exec_lo, exec_lo, s19
	s_and_saveexec_b32 s19, s47
	s_cbranch_execz .LBB168_33
.LBB168_96:                             ;   in Loop: Header=BB168_21 Depth=1
	v_add3_u32 v41, v10, s35, 0x60
	v_add3_u32 v42, v7, s35, 32
	;; [unrolled: 1-line block ×3, first 2 shown]
	v_cndmask_b32_e32 v41, v42, v41, vcc_lo
	v_ashrrev_i32_e32 v44, 31, v43
	v_ashrrev_i32_e32 v42, 31, v41
	v_lshlrev_b64 v[45:46], 2, v[43:44]
	v_lshlrev_b64 v[43:44], 3, v[43:44]
	;; [unrolled: 1-line block ×3, first 2 shown]
	v_add_co_u32 v41, s0, s22, v41
	v_add_co_ci_u32_e64 v42, null, s23, v42, s0
	v_add_co_u32 v45, s0, s24, v45
	v_add_co_ci_u32_e64 v46, null, s25, v46, s0
	global_load_dwordx2 v[41:42], v[41:42], off
	v_add_co_u32 v43, s0, s20, v43
	v_add_co_ci_u32_e64 v44, null, s21, v44, s0
	global_store_dword v[45:46], v36, off
	s_waitcnt vmcnt(0)
	global_store_dwordx2 v[43:44], v[41:42], off
	s_or_b32 exec_lo, exec_lo, s19
	s_and_saveexec_b32 s19, s48
	s_cbranch_execz .LBB168_34
.LBB168_97:                             ;   in Loop: Header=BB168_21 Depth=1
	v_add3_u32 v41, v10, s35, 0x80
	v_add3_u32 v42, v6, s35, 32
	;; [unrolled: 1-line block ×3, first 2 shown]
	v_cndmask_b32_e32 v41, v42, v41, vcc_lo
	v_ashrrev_i32_e32 v44, 31, v43
	v_ashrrev_i32_e32 v42, 31, v41
	v_lshlrev_b64 v[45:46], 2, v[43:44]
	v_lshlrev_b64 v[43:44], 3, v[43:44]
	;; [unrolled: 1-line block ×3, first 2 shown]
	v_add_co_u32 v41, s0, s22, v41
	v_add_co_ci_u32_e64 v42, null, s23, v42, s0
	v_add_co_u32 v45, s0, s24, v45
	v_add_co_ci_u32_e64 v46, null, s25, v46, s0
	global_load_dwordx2 v[41:42], v[41:42], off
	v_add_co_u32 v43, s0, s20, v43
	v_add_co_ci_u32_e64 v44, null, s21, v44, s0
	global_store_dword v[45:46], v37, off
	s_waitcnt vmcnt(0)
	global_store_dwordx2 v[43:44], v[41:42], off
	s_or_b32 exec_lo, exec_lo, s19
	s_and_saveexec_b32 s19, s49
	s_cbranch_execz .LBB168_35
.LBB168_98:                             ;   in Loop: Header=BB168_21 Depth=1
	v_add3_u32 v41, v10, s35, 0xa0
	v_add3_u32 v42, v5, s35, 32
	;; [unrolled: 1-line block ×3, first 2 shown]
	v_cndmask_b32_e32 v41, v42, v41, vcc_lo
	v_ashrrev_i32_e32 v44, 31, v43
	v_ashrrev_i32_e32 v42, 31, v41
	v_lshlrev_b64 v[45:46], 2, v[43:44]
	v_lshlrev_b64 v[43:44], 3, v[43:44]
	;; [unrolled: 1-line block ×3, first 2 shown]
	v_add_co_u32 v41, s0, s22, v41
	v_add_co_ci_u32_e64 v42, null, s23, v42, s0
	v_add_co_u32 v45, s0, s24, v45
	v_add_co_ci_u32_e64 v46, null, s25, v46, s0
	global_load_dwordx2 v[41:42], v[41:42], off
	v_add_co_u32 v43, s0, s20, v43
	v_add_co_ci_u32_e64 v44, null, s21, v44, s0
	global_store_dword v[45:46], v38, off
	s_waitcnt vmcnt(0)
	global_store_dwordx2 v[43:44], v[41:42], off
	s_or_b32 exec_lo, exec_lo, s19
	s_and_saveexec_b32 s19, s50
	s_cbranch_execz .LBB168_36
.LBB168_99:                             ;   in Loop: Header=BB168_21 Depth=1
	v_add3_u32 v41, v10, s35, 0xc0
	v_add3_u32 v42, v4, s35, 32
	;; [unrolled: 1-line block ×3, first 2 shown]
	v_cndmask_b32_e32 v41, v42, v41, vcc_lo
	v_ashrrev_i32_e32 v44, 31, v43
	v_ashrrev_i32_e32 v42, 31, v41
	v_lshlrev_b64 v[45:46], 2, v[43:44]
	v_lshlrev_b64 v[43:44], 3, v[43:44]
	;; [unrolled: 1-line block ×3, first 2 shown]
	v_add_co_u32 v41, s0, s22, v41
	v_add_co_ci_u32_e64 v42, null, s23, v42, s0
	v_add_co_u32 v45, s0, s24, v45
	v_add_co_ci_u32_e64 v46, null, s25, v46, s0
	global_load_dwordx2 v[41:42], v[41:42], off
	v_add_co_u32 v43, s0, s20, v43
	v_add_co_ci_u32_e64 v44, null, s21, v44, s0
	global_store_dword v[45:46], v39, off
	s_waitcnt vmcnt(0)
	global_store_dwordx2 v[43:44], v[41:42], off
	s_or_b32 exec_lo, exec_lo, s19
	s_and_saveexec_b32 s19, s1
	s_cbranch_execz .LBB168_37
.LBB168_100:                            ;   in Loop: Header=BB168_21 Depth=1
	v_add3_u32 v41, v10, s35, 0xe0
	v_add3_u32 v42, v3, s35, 32
	v_add3_u32 v43, v0, v30, 0xe0
	v_cndmask_b32_e32 v41, v42, v41, vcc_lo
	v_ashrrev_i32_e32 v44, 31, v43
	v_ashrrev_i32_e32 v42, 31, v41
	v_lshlrev_b64 v[45:46], 2, v[43:44]
	v_lshlrev_b64 v[43:44], 3, v[43:44]
	;; [unrolled: 1-line block ×3, first 2 shown]
	v_add_co_u32 v41, s0, s22, v41
	v_add_co_ci_u32_e64 v42, null, s23, v42, s0
	v_add_co_u32 v45, s0, s24, v45
	v_add_co_ci_u32_e64 v46, null, s25, v46, s0
	global_load_dwordx2 v[41:42], v[41:42], off
	v_add_co_u32 v43, s0, s20, v43
	v_add_co_ci_u32_e64 v44, null, s21, v44, s0
	global_store_dword v[45:46], v40, off
	s_waitcnt vmcnt(0)
	global_store_dwordx2 v[43:44], v[41:42], off
	s_or_b32 exec_lo, exec_lo, s19
	s_and_saveexec_b32 s19, s51
	s_cbranch_execz .LBB168_38
.LBB168_101:                            ;   in Loop: Header=BB168_21 Depth=1
	v_add_nc_u32_e32 v41, s35, v11
	v_add3_u32 v42, v2, s35, 64
	v_add_nc_u32_e32 v43, v0, v29
	v_cndmask_b32_e32 v41, v42, v41, vcc_lo
	v_ashrrev_i32_e32 v44, 31, v43
	v_ashrrev_i32_e32 v42, 31, v41
	v_lshlrev_b64 v[45:46], 2, v[43:44]
	v_lshlrev_b64 v[43:44], 3, v[43:44]
	;; [unrolled: 1-line block ×3, first 2 shown]
	v_add_co_u32 v41, s0, s22, v41
	v_add_co_ci_u32_e64 v42, null, s23, v42, s0
	v_add_co_u32 v45, s0, s24, v45
	v_add_co_ci_u32_e64 v46, null, s25, v46, s0
	global_load_dwordx2 v[41:42], v[41:42], off
	v_add_co_u32 v43, s0, s20, v43
	v_add_co_ci_u32_e64 v44, null, s21, v44, s0
	global_store_dword v[45:46], v34, off
	s_waitcnt vmcnt(0)
	global_store_dwordx2 v[43:44], v[41:42], off
	s_or_b32 exec_lo, exec_lo, s19
	s_and_saveexec_b32 s19, s52
	s_cbranch_execz .LBB168_39
.LBB168_102:                            ;   in Loop: Header=BB168_21 Depth=1
	v_add3_u32 v41, v11, s35, 32
	v_add3_u32 v42, v9, s35, 64
	;; [unrolled: 1-line block ×3, first 2 shown]
	v_cndmask_b32_e32 v41, v42, v41, vcc_lo
	v_ashrrev_i32_e32 v44, 31, v43
	v_ashrrev_i32_e32 v42, 31, v41
	v_lshlrev_b64 v[45:46], 2, v[43:44]
	v_lshlrev_b64 v[43:44], 3, v[43:44]
	;; [unrolled: 1-line block ×3, first 2 shown]
	v_add_co_u32 v41, s0, s22, v41
	v_add_co_ci_u32_e64 v42, null, s23, v42, s0
	v_add_co_u32 v45, s0, s24, v45
	v_add_co_ci_u32_e64 v46, null, s25, v46, s0
	global_load_dwordx2 v[41:42], v[41:42], off
	v_add_co_u32 v43, s0, s20, v43
	v_add_co_ci_u32_e64 v44, null, s21, v44, s0
	global_store_dword v[45:46], v33, off
	s_waitcnt vmcnt(0)
	global_store_dwordx2 v[43:44], v[41:42], off
	s_or_b32 exec_lo, exec_lo, s19
	s_and_saveexec_b32 s19, s53
	s_cbranch_execz .LBB168_40
.LBB168_103:                            ;   in Loop: Header=BB168_21 Depth=1
	v_cndmask_b32_e32 v41, v8, v11, vcc_lo
	v_add3_u32 v43, v0, v29, 64
	v_add3_u32 v41, v41, s35, 64
	v_ashrrev_i32_e32 v44, 31, v43
	v_ashrrev_i32_e32 v42, 31, v41
	v_lshlrev_b64 v[45:46], 2, v[43:44]
	v_lshlrev_b64 v[43:44], 3, v[43:44]
	;; [unrolled: 1-line block ×3, first 2 shown]
	v_add_co_u32 v41, s0, s22, v41
	v_add_co_ci_u32_e64 v42, null, s23, v42, s0
	v_add_co_u32 v45, s0, s24, v45
	v_add_co_ci_u32_e64 v46, null, s25, v46, s0
	global_load_dwordx2 v[41:42], v[41:42], off
	v_add_co_u32 v43, s0, s20, v43
	v_add_co_ci_u32_e64 v44, null, s21, v44, s0
	global_store_dword v[45:46], v35, off
	s_waitcnt vmcnt(0)
	global_store_dwordx2 v[43:44], v[41:42], off
	s_or_b32 exec_lo, exec_lo, s19
	s_and_saveexec_b32 s19, s54
	s_cbranch_execz .LBB168_41
.LBB168_104:                            ;   in Loop: Header=BB168_21 Depth=1
	v_add3_u32 v41, v11, s35, 0x60
	v_add3_u32 v42, v7, s35, 64
	;; [unrolled: 1-line block ×3, first 2 shown]
	v_cndmask_b32_e32 v41, v42, v41, vcc_lo
	v_ashrrev_i32_e32 v44, 31, v43
	v_ashrrev_i32_e32 v42, 31, v41
	v_lshlrev_b64 v[45:46], 2, v[43:44]
	v_lshlrev_b64 v[43:44], 3, v[43:44]
	;; [unrolled: 1-line block ×3, first 2 shown]
	v_add_co_u32 v41, s0, s22, v41
	v_add_co_ci_u32_e64 v42, null, s23, v42, s0
	v_add_co_u32 v45, s0, s24, v45
	v_add_co_ci_u32_e64 v46, null, s25, v46, s0
	global_load_dwordx2 v[41:42], v[41:42], off
	v_add_co_u32 v43, s0, s20, v43
	v_add_co_ci_u32_e64 v44, null, s21, v44, s0
	global_store_dword v[45:46], v36, off
	s_waitcnt vmcnt(0)
	global_store_dwordx2 v[43:44], v[41:42], off
	s_or_b32 exec_lo, exec_lo, s19
	s_and_saveexec_b32 s19, s55
	s_cbranch_execz .LBB168_42
.LBB168_105:                            ;   in Loop: Header=BB168_21 Depth=1
	v_add3_u32 v41, v11, s35, 0x80
	v_add3_u32 v42, v6, s35, 64
	;; [unrolled: 1-line block ×3, first 2 shown]
	v_cndmask_b32_e32 v41, v42, v41, vcc_lo
	v_ashrrev_i32_e32 v44, 31, v43
	v_ashrrev_i32_e32 v42, 31, v41
	v_lshlrev_b64 v[45:46], 2, v[43:44]
	v_lshlrev_b64 v[43:44], 3, v[43:44]
	;; [unrolled: 1-line block ×3, first 2 shown]
	v_add_co_u32 v41, s0, s22, v41
	v_add_co_ci_u32_e64 v42, null, s23, v42, s0
	v_add_co_u32 v45, s0, s24, v45
	v_add_co_ci_u32_e64 v46, null, s25, v46, s0
	global_load_dwordx2 v[41:42], v[41:42], off
	v_add_co_u32 v43, s0, s20, v43
	v_add_co_ci_u32_e64 v44, null, s21, v44, s0
	global_store_dword v[45:46], v37, off
	s_waitcnt vmcnt(0)
	global_store_dwordx2 v[43:44], v[41:42], off
	s_or_b32 exec_lo, exec_lo, s19
	s_and_saveexec_b32 s19, s56
	s_cbranch_execz .LBB168_43
.LBB168_106:                            ;   in Loop: Header=BB168_21 Depth=1
	v_add3_u32 v41, v11, s35, 0xa0
	v_add3_u32 v42, v5, s35, 64
	;; [unrolled: 1-line block ×3, first 2 shown]
	v_cndmask_b32_e32 v41, v42, v41, vcc_lo
	v_ashrrev_i32_e32 v44, 31, v43
	v_ashrrev_i32_e32 v42, 31, v41
	v_lshlrev_b64 v[45:46], 2, v[43:44]
	v_lshlrev_b64 v[43:44], 3, v[43:44]
	;; [unrolled: 1-line block ×3, first 2 shown]
	v_add_co_u32 v41, s0, s22, v41
	v_add_co_ci_u32_e64 v42, null, s23, v42, s0
	v_add_co_u32 v45, s0, s24, v45
	v_add_co_ci_u32_e64 v46, null, s25, v46, s0
	global_load_dwordx2 v[41:42], v[41:42], off
	v_add_co_u32 v43, s0, s20, v43
	v_add_co_ci_u32_e64 v44, null, s21, v44, s0
	global_store_dword v[45:46], v38, off
	s_waitcnt vmcnt(0)
	global_store_dwordx2 v[43:44], v[41:42], off
	s_or_b32 exec_lo, exec_lo, s19
	s_and_saveexec_b32 s19, s57
	s_cbranch_execz .LBB168_44
.LBB168_107:                            ;   in Loop: Header=BB168_21 Depth=1
	v_add3_u32 v41, v11, s35, 0xc0
	v_add3_u32 v42, v4, s35, 64
	;; [unrolled: 1-line block ×3, first 2 shown]
	v_cndmask_b32_e32 v41, v42, v41, vcc_lo
	v_ashrrev_i32_e32 v44, 31, v43
	v_ashrrev_i32_e32 v42, 31, v41
	v_lshlrev_b64 v[45:46], 2, v[43:44]
	v_lshlrev_b64 v[43:44], 3, v[43:44]
	v_lshlrev_b64 v[41:42], 3, v[41:42]
	v_add_co_u32 v41, s0, s22, v41
	v_add_co_ci_u32_e64 v42, null, s23, v42, s0
	v_add_co_u32 v45, s0, s24, v45
	v_add_co_ci_u32_e64 v46, null, s25, v46, s0
	global_load_dwordx2 v[41:42], v[41:42], off
	v_add_co_u32 v43, s0, s20, v43
	v_add_co_ci_u32_e64 v44, null, s21, v44, s0
	global_store_dword v[45:46], v39, off
	s_waitcnt vmcnt(0)
	global_store_dwordx2 v[43:44], v[41:42], off
	s_or_b32 exec_lo, exec_lo, s19
	s_and_saveexec_b32 s19, s58
	s_cbranch_execz .LBB168_45
.LBB168_108:                            ;   in Loop: Header=BB168_21 Depth=1
	v_add3_u32 v41, v11, s35, 0xe0
	v_add3_u32 v42, v3, s35, 64
	;; [unrolled: 1-line block ×3, first 2 shown]
	v_cndmask_b32_e32 v41, v42, v41, vcc_lo
	v_ashrrev_i32_e32 v44, 31, v43
	v_ashrrev_i32_e32 v42, 31, v41
	v_lshlrev_b64 v[45:46], 2, v[43:44]
	v_lshlrev_b64 v[43:44], 3, v[43:44]
	;; [unrolled: 1-line block ×3, first 2 shown]
	v_add_co_u32 v41, s0, s22, v41
	v_add_co_ci_u32_e64 v42, null, s23, v42, s0
	v_add_co_u32 v45, s0, s24, v45
	v_add_co_ci_u32_e64 v46, null, s25, v46, s0
	global_load_dwordx2 v[41:42], v[41:42], off
	v_add_co_u32 v43, s0, s20, v43
	v_add_co_ci_u32_e64 v44, null, s21, v44, s0
	global_store_dword v[45:46], v40, off
	s_waitcnt vmcnt(0)
	global_store_dwordx2 v[43:44], v[41:42], off
	s_or_b32 exec_lo, exec_lo, s19
	s_and_saveexec_b32 s19, s59
	s_cbranch_execz .LBB168_46
.LBB168_109:                            ;   in Loop: Header=BB168_21 Depth=1
	v_add_nc_u32_e32 v41, s35, v12
	v_add3_u32 v42, v2, s35, 0x60
	v_add_nc_u32_e32 v43, v0, v28
	v_cndmask_b32_e32 v41, v42, v41, vcc_lo
	v_ashrrev_i32_e32 v44, 31, v43
	v_ashrrev_i32_e32 v42, 31, v41
	v_lshlrev_b64 v[45:46], 2, v[43:44]
	v_lshlrev_b64 v[43:44], 3, v[43:44]
	;; [unrolled: 1-line block ×3, first 2 shown]
	v_add_co_u32 v41, s0, s22, v41
	v_add_co_ci_u32_e64 v42, null, s23, v42, s0
	v_add_co_u32 v45, s0, s24, v45
	v_add_co_ci_u32_e64 v46, null, s25, v46, s0
	global_load_dwordx2 v[41:42], v[41:42], off
	v_add_co_u32 v43, s0, s20, v43
	v_add_co_ci_u32_e64 v44, null, s21, v44, s0
	global_store_dword v[45:46], v34, off
	s_waitcnt vmcnt(0)
	global_store_dwordx2 v[43:44], v[41:42], off
	s_or_b32 exec_lo, exec_lo, s19
	s_and_saveexec_b32 s19, s60
	s_cbranch_execz .LBB168_47
.LBB168_110:                            ;   in Loop: Header=BB168_21 Depth=1
	v_add3_u32 v41, v12, s35, 32
	v_add3_u32 v42, v9, s35, 0x60
	;; [unrolled: 1-line block ×3, first 2 shown]
	v_cndmask_b32_e32 v41, v42, v41, vcc_lo
	v_ashrrev_i32_e32 v44, 31, v43
	v_ashrrev_i32_e32 v42, 31, v41
	v_lshlrev_b64 v[45:46], 2, v[43:44]
	v_lshlrev_b64 v[43:44], 3, v[43:44]
	;; [unrolled: 1-line block ×3, first 2 shown]
	v_add_co_u32 v41, s0, s22, v41
	v_add_co_ci_u32_e64 v42, null, s23, v42, s0
	v_add_co_u32 v45, s0, s24, v45
	v_add_co_ci_u32_e64 v46, null, s25, v46, s0
	global_load_dwordx2 v[41:42], v[41:42], off
	v_add_co_u32 v43, s0, s20, v43
	v_add_co_ci_u32_e64 v44, null, s21, v44, s0
	global_store_dword v[45:46], v33, off
	s_waitcnt vmcnt(0)
	global_store_dwordx2 v[43:44], v[41:42], off
	s_or_b32 exec_lo, exec_lo, s19
	s_and_saveexec_b32 s19, s61
	s_cbranch_execz .LBB168_48
.LBB168_111:                            ;   in Loop: Header=BB168_21 Depth=1
	v_add3_u32 v41, v12, s35, 64
	v_add3_u32 v42, v8, s35, 0x60
	;; [unrolled: 1-line block ×3, first 2 shown]
	v_cndmask_b32_e32 v41, v42, v41, vcc_lo
	v_ashrrev_i32_e32 v44, 31, v43
	v_ashrrev_i32_e32 v42, 31, v41
	v_lshlrev_b64 v[45:46], 2, v[43:44]
	v_lshlrev_b64 v[43:44], 3, v[43:44]
	;; [unrolled: 1-line block ×3, first 2 shown]
	v_add_co_u32 v41, s0, s22, v41
	v_add_co_ci_u32_e64 v42, null, s23, v42, s0
	v_add_co_u32 v45, s0, s24, v45
	v_add_co_ci_u32_e64 v46, null, s25, v46, s0
	global_load_dwordx2 v[41:42], v[41:42], off
	v_add_co_u32 v43, s0, s20, v43
	v_add_co_ci_u32_e64 v44, null, s21, v44, s0
	global_store_dword v[45:46], v35, off
	s_waitcnt vmcnt(0)
	global_store_dwordx2 v[43:44], v[41:42], off
	s_or_b32 exec_lo, exec_lo, s19
	s_and_saveexec_b32 s19, s62
	s_cbranch_execz .LBB168_49
.LBB168_112:                            ;   in Loop: Header=BB168_21 Depth=1
	v_cndmask_b32_e32 v41, v7, v12, vcc_lo
	v_add3_u32 v43, v0, v28, 0x60
	v_add3_u32 v41, v41, s35, 0x60
	v_ashrrev_i32_e32 v44, 31, v43
	v_ashrrev_i32_e32 v42, 31, v41
	v_lshlrev_b64 v[45:46], 2, v[43:44]
	v_lshlrev_b64 v[43:44], 3, v[43:44]
	;; [unrolled: 1-line block ×3, first 2 shown]
	v_add_co_u32 v41, s0, s22, v41
	v_add_co_ci_u32_e64 v42, null, s23, v42, s0
	v_add_co_u32 v45, s0, s24, v45
	v_add_co_ci_u32_e64 v46, null, s25, v46, s0
	global_load_dwordx2 v[41:42], v[41:42], off
	v_add_co_u32 v43, s0, s20, v43
	v_add_co_ci_u32_e64 v44, null, s21, v44, s0
	global_store_dword v[45:46], v36, off
	s_waitcnt vmcnt(0)
	global_store_dwordx2 v[43:44], v[41:42], off
	s_or_b32 exec_lo, exec_lo, s19
	s_and_saveexec_b32 s19, s63
	s_cbranch_execz .LBB168_50
.LBB168_113:                            ;   in Loop: Header=BB168_21 Depth=1
	v_add3_u32 v41, v12, s35, 0x80
	v_add3_u32 v42, v6, s35, 0x60
	;; [unrolled: 1-line block ×3, first 2 shown]
	v_cndmask_b32_e32 v41, v42, v41, vcc_lo
	v_ashrrev_i32_e32 v44, 31, v43
	v_ashrrev_i32_e32 v42, 31, v41
	v_lshlrev_b64 v[45:46], 2, v[43:44]
	v_lshlrev_b64 v[43:44], 3, v[43:44]
	v_lshlrev_b64 v[41:42], 3, v[41:42]
	v_add_co_u32 v41, s0, s22, v41
	v_add_co_ci_u32_e64 v42, null, s23, v42, s0
	v_add_co_u32 v45, s0, s24, v45
	v_add_co_ci_u32_e64 v46, null, s25, v46, s0
	global_load_dwordx2 v[41:42], v[41:42], off
	v_add_co_u32 v43, s0, s20, v43
	v_add_co_ci_u32_e64 v44, null, s21, v44, s0
	global_store_dword v[45:46], v37, off
	s_waitcnt vmcnt(0)
	global_store_dwordx2 v[43:44], v[41:42], off
	s_or_b32 exec_lo, exec_lo, s19
	s_and_saveexec_b32 s19, s64
	s_cbranch_execz .LBB168_51
.LBB168_114:                            ;   in Loop: Header=BB168_21 Depth=1
	v_add3_u32 v41, v12, s35, 0xa0
	v_add3_u32 v42, v5, s35, 0x60
	;; [unrolled: 1-line block ×3, first 2 shown]
	v_cndmask_b32_e32 v41, v42, v41, vcc_lo
	v_ashrrev_i32_e32 v44, 31, v43
	v_ashrrev_i32_e32 v42, 31, v41
	v_lshlrev_b64 v[45:46], 2, v[43:44]
	v_lshlrev_b64 v[43:44], 3, v[43:44]
	;; [unrolled: 1-line block ×3, first 2 shown]
	v_add_co_u32 v41, s0, s22, v41
	v_add_co_ci_u32_e64 v42, null, s23, v42, s0
	v_add_co_u32 v45, s0, s24, v45
	v_add_co_ci_u32_e64 v46, null, s25, v46, s0
	global_load_dwordx2 v[41:42], v[41:42], off
	v_add_co_u32 v43, s0, s20, v43
	v_add_co_ci_u32_e64 v44, null, s21, v44, s0
	global_store_dword v[45:46], v38, off
	s_waitcnt vmcnt(0)
	global_store_dwordx2 v[43:44], v[41:42], off
	s_or_b32 exec_lo, exec_lo, s19
	s_and_saveexec_b32 s19, s65
	s_cbranch_execz .LBB168_52
.LBB168_115:                            ;   in Loop: Header=BB168_21 Depth=1
	v_add3_u32 v41, v12, s35, 0xc0
	v_add3_u32 v42, v4, s35, 0x60
	;; [unrolled: 1-line block ×3, first 2 shown]
	v_cndmask_b32_e32 v41, v42, v41, vcc_lo
	v_ashrrev_i32_e32 v44, 31, v43
	v_ashrrev_i32_e32 v42, 31, v41
	v_lshlrev_b64 v[45:46], 2, v[43:44]
	v_lshlrev_b64 v[43:44], 3, v[43:44]
	;; [unrolled: 1-line block ×3, first 2 shown]
	v_add_co_u32 v41, s0, s22, v41
	v_add_co_ci_u32_e64 v42, null, s23, v42, s0
	v_add_co_u32 v45, s0, s24, v45
	v_add_co_ci_u32_e64 v46, null, s25, v46, s0
	global_load_dwordx2 v[41:42], v[41:42], off
	v_add_co_u32 v43, s0, s20, v43
	v_add_co_ci_u32_e64 v44, null, s21, v44, s0
	global_store_dword v[45:46], v39, off
	s_waitcnt vmcnt(0)
	global_store_dwordx2 v[43:44], v[41:42], off
	s_or_b32 exec_lo, exec_lo, s19
	s_and_saveexec_b32 s19, s6
	s_cbranch_execz .LBB168_53
.LBB168_116:                            ;   in Loop: Header=BB168_21 Depth=1
	v_add3_u32 v41, v12, s35, 0xe0
	v_add3_u32 v42, v3, s35, 0x60
	;; [unrolled: 1-line block ×3, first 2 shown]
	v_cndmask_b32_e32 v41, v42, v41, vcc_lo
	v_ashrrev_i32_e32 v44, 31, v43
	v_ashrrev_i32_e32 v42, 31, v41
	v_lshlrev_b64 v[45:46], 2, v[43:44]
	v_lshlrev_b64 v[43:44], 3, v[43:44]
	;; [unrolled: 1-line block ×3, first 2 shown]
	v_add_co_u32 v41, s0, s22, v41
	v_add_co_ci_u32_e64 v42, null, s23, v42, s0
	v_add_co_u32 v45, s0, s24, v45
	v_add_co_ci_u32_e64 v46, null, s25, v46, s0
	global_load_dwordx2 v[41:42], v[41:42], off
	v_add_co_u32 v43, s0, s20, v43
	v_add_co_ci_u32_e64 v44, null, s21, v44, s0
	global_store_dword v[45:46], v40, off
	s_waitcnt vmcnt(0)
	global_store_dwordx2 v[43:44], v[41:42], off
	s_or_b32 exec_lo, exec_lo, s19
	s_and_saveexec_b32 s19, s66
	s_cbranch_execz .LBB168_54
.LBB168_117:                            ;   in Loop: Header=BB168_21 Depth=1
	v_add_nc_u32_e32 v41, s35, v13
	v_add3_u32 v42, v2, s35, 0x80
	v_add_nc_u32_e32 v43, v0, v27
	v_cndmask_b32_e32 v41, v42, v41, vcc_lo
	v_ashrrev_i32_e32 v44, 31, v43
	v_ashrrev_i32_e32 v42, 31, v41
	v_lshlrev_b64 v[45:46], 2, v[43:44]
	v_lshlrev_b64 v[43:44], 3, v[43:44]
	;; [unrolled: 1-line block ×3, first 2 shown]
	v_add_co_u32 v41, s0, s22, v41
	v_add_co_ci_u32_e64 v42, null, s23, v42, s0
	v_add_co_u32 v45, s0, s24, v45
	v_add_co_ci_u32_e64 v46, null, s25, v46, s0
	global_load_dwordx2 v[41:42], v[41:42], off
	v_add_co_u32 v43, s0, s20, v43
	v_add_co_ci_u32_e64 v44, null, s21, v44, s0
	global_store_dword v[45:46], v34, off
	s_waitcnt vmcnt(0)
	global_store_dwordx2 v[43:44], v[41:42], off
	s_or_b32 exec_lo, exec_lo, s19
	s_and_saveexec_b32 s19, s67
	s_cbranch_execz .LBB168_55
.LBB168_118:                            ;   in Loop: Header=BB168_21 Depth=1
	v_add3_u32 v41, v13, s35, 32
	v_add3_u32 v42, v9, s35, 0x80
	;; [unrolled: 1-line block ×3, first 2 shown]
	v_cndmask_b32_e32 v41, v42, v41, vcc_lo
	v_ashrrev_i32_e32 v44, 31, v43
	v_ashrrev_i32_e32 v42, 31, v41
	v_lshlrev_b64 v[45:46], 2, v[43:44]
	v_lshlrev_b64 v[43:44], 3, v[43:44]
	;; [unrolled: 1-line block ×3, first 2 shown]
	v_add_co_u32 v41, s0, s22, v41
	v_add_co_ci_u32_e64 v42, null, s23, v42, s0
	v_add_co_u32 v45, s0, s24, v45
	v_add_co_ci_u32_e64 v46, null, s25, v46, s0
	global_load_dwordx2 v[41:42], v[41:42], off
	v_add_co_u32 v43, s0, s20, v43
	v_add_co_ci_u32_e64 v44, null, s21, v44, s0
	global_store_dword v[45:46], v33, off
	s_waitcnt vmcnt(0)
	global_store_dwordx2 v[43:44], v[41:42], off
	s_or_b32 exec_lo, exec_lo, s19
	s_and_saveexec_b32 s19, s68
	s_cbranch_execz .LBB168_56
.LBB168_119:                            ;   in Loop: Header=BB168_21 Depth=1
	v_add3_u32 v41, v13, s35, 64
	v_add3_u32 v42, v8, s35, 0x80
	;; [unrolled: 1-line block ×3, first 2 shown]
	v_cndmask_b32_e32 v41, v42, v41, vcc_lo
	v_ashrrev_i32_e32 v44, 31, v43
	v_ashrrev_i32_e32 v42, 31, v41
	v_lshlrev_b64 v[45:46], 2, v[43:44]
	v_lshlrev_b64 v[43:44], 3, v[43:44]
	;; [unrolled: 1-line block ×3, first 2 shown]
	v_add_co_u32 v41, s0, s22, v41
	v_add_co_ci_u32_e64 v42, null, s23, v42, s0
	v_add_co_u32 v45, s0, s24, v45
	v_add_co_ci_u32_e64 v46, null, s25, v46, s0
	global_load_dwordx2 v[41:42], v[41:42], off
	v_add_co_u32 v43, s0, s20, v43
	v_add_co_ci_u32_e64 v44, null, s21, v44, s0
	global_store_dword v[45:46], v35, off
	s_waitcnt vmcnt(0)
	global_store_dwordx2 v[43:44], v[41:42], off
	s_or_b32 exec_lo, exec_lo, s19
	s_and_saveexec_b32 s19, s69
	s_cbranch_execz .LBB168_57
.LBB168_120:                            ;   in Loop: Header=BB168_21 Depth=1
	v_add3_u32 v41, v13, s35, 0x60
	v_add3_u32 v42, v7, s35, 0x80
	v_add3_u32 v43, v0, v27, 0x60
	v_cndmask_b32_e32 v41, v42, v41, vcc_lo
	v_ashrrev_i32_e32 v44, 31, v43
	v_ashrrev_i32_e32 v42, 31, v41
	v_lshlrev_b64 v[45:46], 2, v[43:44]
	v_lshlrev_b64 v[43:44], 3, v[43:44]
	;; [unrolled: 1-line block ×3, first 2 shown]
	v_add_co_u32 v41, s0, s22, v41
	v_add_co_ci_u32_e64 v42, null, s23, v42, s0
	v_add_co_u32 v45, s0, s24, v45
	v_add_co_ci_u32_e64 v46, null, s25, v46, s0
	global_load_dwordx2 v[41:42], v[41:42], off
	v_add_co_u32 v43, s0, s20, v43
	v_add_co_ci_u32_e64 v44, null, s21, v44, s0
	global_store_dword v[45:46], v36, off
	s_waitcnt vmcnt(0)
	global_store_dwordx2 v[43:44], v[41:42], off
	s_or_b32 exec_lo, exec_lo, s19
	s_and_saveexec_b32 s19, s70
	s_cbranch_execz .LBB168_58
.LBB168_121:                            ;   in Loop: Header=BB168_21 Depth=1
	v_cndmask_b32_e32 v41, v6, v13, vcc_lo
	v_add3_u32 v43, v0, v27, 0x80
	v_add3_u32 v41, v41, s35, 0x80
	v_ashrrev_i32_e32 v44, 31, v43
	v_ashrrev_i32_e32 v42, 31, v41
	v_lshlrev_b64 v[45:46], 2, v[43:44]
	v_lshlrev_b64 v[43:44], 3, v[43:44]
	v_lshlrev_b64 v[41:42], 3, v[41:42]
	v_add_co_u32 v41, s0, s22, v41
	v_add_co_ci_u32_e64 v42, null, s23, v42, s0
	v_add_co_u32 v45, s0, s24, v45
	v_add_co_ci_u32_e64 v46, null, s25, v46, s0
	global_load_dwordx2 v[41:42], v[41:42], off
	v_add_co_u32 v43, s0, s20, v43
	v_add_co_ci_u32_e64 v44, null, s21, v44, s0
	global_store_dword v[45:46], v37, off
	s_waitcnt vmcnt(0)
	global_store_dwordx2 v[43:44], v[41:42], off
	s_or_b32 exec_lo, exec_lo, s19
	s_and_saveexec_b32 s19, s71
	s_cbranch_execz .LBB168_59
.LBB168_122:                            ;   in Loop: Header=BB168_21 Depth=1
	v_add3_u32 v41, v13, s35, 0xa0
	v_add3_u32 v42, v5, s35, 0x80
	;; [unrolled: 1-line block ×3, first 2 shown]
	v_cndmask_b32_e32 v41, v42, v41, vcc_lo
	v_ashrrev_i32_e32 v44, 31, v43
	v_ashrrev_i32_e32 v42, 31, v41
	v_lshlrev_b64 v[45:46], 2, v[43:44]
	v_lshlrev_b64 v[43:44], 3, v[43:44]
	;; [unrolled: 1-line block ×3, first 2 shown]
	v_add_co_u32 v41, s0, s22, v41
	v_add_co_ci_u32_e64 v42, null, s23, v42, s0
	v_add_co_u32 v45, s0, s24, v45
	v_add_co_ci_u32_e64 v46, null, s25, v46, s0
	global_load_dwordx2 v[41:42], v[41:42], off
	v_add_co_u32 v43, s0, s20, v43
	v_add_co_ci_u32_e64 v44, null, s21, v44, s0
	global_store_dword v[45:46], v38, off
	s_waitcnt vmcnt(0)
	global_store_dwordx2 v[43:44], v[41:42], off
	s_or_b32 exec_lo, exec_lo, s19
	s_and_saveexec_b32 s19, s72
	s_cbranch_execz .LBB168_60
.LBB168_123:                            ;   in Loop: Header=BB168_21 Depth=1
	v_add3_u32 v41, v13, s35, 0xc0
	v_add3_u32 v42, v4, s35, 0x80
	;; [unrolled: 1-line block ×3, first 2 shown]
	v_cndmask_b32_e32 v41, v42, v41, vcc_lo
	v_ashrrev_i32_e32 v44, 31, v43
	v_ashrrev_i32_e32 v42, 31, v41
	v_lshlrev_b64 v[45:46], 2, v[43:44]
	v_lshlrev_b64 v[43:44], 3, v[43:44]
	;; [unrolled: 1-line block ×3, first 2 shown]
	v_add_co_u32 v41, s0, s22, v41
	v_add_co_ci_u32_e64 v42, null, s23, v42, s0
	v_add_co_u32 v45, s0, s24, v45
	v_add_co_ci_u32_e64 v46, null, s25, v46, s0
	global_load_dwordx2 v[41:42], v[41:42], off
	v_add_co_u32 v43, s0, s20, v43
	v_add_co_ci_u32_e64 v44, null, s21, v44, s0
	global_store_dword v[45:46], v39, off
	s_waitcnt vmcnt(0)
	global_store_dwordx2 v[43:44], v[41:42], off
	s_or_b32 exec_lo, exec_lo, s19
	s_and_saveexec_b32 s19, s7
	s_cbranch_execz .LBB168_61
.LBB168_124:                            ;   in Loop: Header=BB168_21 Depth=1
	v_add3_u32 v41, v13, s35, 0xe0
	v_add3_u32 v42, v3, s35, 0x80
	;; [unrolled: 1-line block ×3, first 2 shown]
	v_cndmask_b32_e32 v41, v42, v41, vcc_lo
	v_ashrrev_i32_e32 v44, 31, v43
	v_ashrrev_i32_e32 v42, 31, v41
	v_lshlrev_b64 v[45:46], 2, v[43:44]
	v_lshlrev_b64 v[43:44], 3, v[43:44]
	;; [unrolled: 1-line block ×3, first 2 shown]
	v_add_co_u32 v41, s0, s22, v41
	v_add_co_ci_u32_e64 v42, null, s23, v42, s0
	v_add_co_u32 v45, s0, s24, v45
	v_add_co_ci_u32_e64 v46, null, s25, v46, s0
	global_load_dwordx2 v[41:42], v[41:42], off
	v_add_co_u32 v43, s0, s20, v43
	v_add_co_ci_u32_e64 v44, null, s21, v44, s0
	global_store_dword v[45:46], v40, off
	s_waitcnt vmcnt(0)
	global_store_dwordx2 v[43:44], v[41:42], off
	s_or_b32 exec_lo, exec_lo, s19
	s_and_saveexec_b32 s19, s73
	s_cbranch_execz .LBB168_62
.LBB168_125:                            ;   in Loop: Header=BB168_21 Depth=1
	v_add_nc_u32_e32 v41, s35, v14
	v_add3_u32 v42, v2, s35, 0xa0
	v_add_nc_u32_e32 v43, v0, v26
	v_cndmask_b32_e32 v41, v42, v41, vcc_lo
	v_ashrrev_i32_e32 v44, 31, v43
	v_ashrrev_i32_e32 v42, 31, v41
	v_lshlrev_b64 v[45:46], 2, v[43:44]
	v_lshlrev_b64 v[43:44], 3, v[43:44]
	;; [unrolled: 1-line block ×3, first 2 shown]
	v_add_co_u32 v41, s0, s22, v41
	v_add_co_ci_u32_e64 v42, null, s23, v42, s0
	v_add_co_u32 v45, s0, s24, v45
	v_add_co_ci_u32_e64 v46, null, s25, v46, s0
	global_load_dwordx2 v[41:42], v[41:42], off
	v_add_co_u32 v43, s0, s20, v43
	v_add_co_ci_u32_e64 v44, null, s21, v44, s0
	global_store_dword v[45:46], v34, off
	s_waitcnt vmcnt(0)
	global_store_dwordx2 v[43:44], v[41:42], off
	s_or_b32 exec_lo, exec_lo, s19
	s_and_saveexec_b32 s19, s74
	s_cbranch_execz .LBB168_63
.LBB168_126:                            ;   in Loop: Header=BB168_21 Depth=1
	v_add3_u32 v41, v14, s35, 32
	v_add3_u32 v42, v9, s35, 0xa0
	v_add3_u32 v43, v0, v26, 32
	v_cndmask_b32_e32 v41, v42, v41, vcc_lo
	v_ashrrev_i32_e32 v44, 31, v43
	v_ashrrev_i32_e32 v42, 31, v41
	v_lshlrev_b64 v[45:46], 2, v[43:44]
	v_lshlrev_b64 v[43:44], 3, v[43:44]
	;; [unrolled: 1-line block ×3, first 2 shown]
	v_add_co_u32 v41, s0, s22, v41
	v_add_co_ci_u32_e64 v42, null, s23, v42, s0
	v_add_co_u32 v45, s0, s24, v45
	v_add_co_ci_u32_e64 v46, null, s25, v46, s0
	global_load_dwordx2 v[41:42], v[41:42], off
	v_add_co_u32 v43, s0, s20, v43
	v_add_co_ci_u32_e64 v44, null, s21, v44, s0
	global_store_dword v[45:46], v33, off
	s_waitcnt vmcnt(0)
	global_store_dwordx2 v[43:44], v[41:42], off
	s_or_b32 exec_lo, exec_lo, s19
	s_and_saveexec_b32 s19, s75
	s_cbranch_execz .LBB168_64
.LBB168_127:                            ;   in Loop: Header=BB168_21 Depth=1
	v_add3_u32 v41, v14, s35, 64
	v_add3_u32 v42, v8, s35, 0xa0
	;; [unrolled: 1-line block ×3, first 2 shown]
	v_cndmask_b32_e32 v41, v42, v41, vcc_lo
	v_ashrrev_i32_e32 v44, 31, v43
	v_ashrrev_i32_e32 v42, 31, v41
	v_lshlrev_b64 v[45:46], 2, v[43:44]
	v_lshlrev_b64 v[43:44], 3, v[43:44]
	;; [unrolled: 1-line block ×3, first 2 shown]
	v_add_co_u32 v41, s0, s22, v41
	v_add_co_ci_u32_e64 v42, null, s23, v42, s0
	v_add_co_u32 v45, s0, s24, v45
	v_add_co_ci_u32_e64 v46, null, s25, v46, s0
	global_load_dwordx2 v[41:42], v[41:42], off
	v_add_co_u32 v43, s0, s20, v43
	v_add_co_ci_u32_e64 v44, null, s21, v44, s0
	global_store_dword v[45:46], v35, off
	s_waitcnt vmcnt(0)
	global_store_dwordx2 v[43:44], v[41:42], off
	s_or_b32 exec_lo, exec_lo, s19
	s_and_saveexec_b32 s19, s76
	s_cbranch_execz .LBB168_65
.LBB168_128:                            ;   in Loop: Header=BB168_21 Depth=1
	v_add3_u32 v41, v14, s35, 0x60
	v_add3_u32 v42, v7, s35, 0xa0
	;; [unrolled: 1-line block ×3, first 2 shown]
	v_cndmask_b32_e32 v41, v42, v41, vcc_lo
	v_ashrrev_i32_e32 v44, 31, v43
	v_ashrrev_i32_e32 v42, 31, v41
	v_lshlrev_b64 v[45:46], 2, v[43:44]
	v_lshlrev_b64 v[43:44], 3, v[43:44]
	;; [unrolled: 1-line block ×3, first 2 shown]
	v_add_co_u32 v41, s0, s22, v41
	v_add_co_ci_u32_e64 v42, null, s23, v42, s0
	v_add_co_u32 v45, s0, s24, v45
	v_add_co_ci_u32_e64 v46, null, s25, v46, s0
	global_load_dwordx2 v[41:42], v[41:42], off
	v_add_co_u32 v43, s0, s20, v43
	v_add_co_ci_u32_e64 v44, null, s21, v44, s0
	global_store_dword v[45:46], v36, off
	s_waitcnt vmcnt(0)
	global_store_dwordx2 v[43:44], v[41:42], off
	s_or_b32 exec_lo, exec_lo, s19
	s_and_saveexec_b32 s19, s77
	s_cbranch_execz .LBB168_66
.LBB168_129:                            ;   in Loop: Header=BB168_21 Depth=1
	v_add3_u32 v41, v14, s35, 0x80
	v_add3_u32 v42, v6, s35, 0xa0
	;; [unrolled: 1-line block ×3, first 2 shown]
	v_cndmask_b32_e32 v41, v42, v41, vcc_lo
	v_ashrrev_i32_e32 v44, 31, v43
	v_ashrrev_i32_e32 v42, 31, v41
	v_lshlrev_b64 v[45:46], 2, v[43:44]
	v_lshlrev_b64 v[43:44], 3, v[43:44]
	;; [unrolled: 1-line block ×3, first 2 shown]
	v_add_co_u32 v41, s0, s22, v41
	v_add_co_ci_u32_e64 v42, null, s23, v42, s0
	v_add_co_u32 v45, s0, s24, v45
	v_add_co_ci_u32_e64 v46, null, s25, v46, s0
	global_load_dwordx2 v[41:42], v[41:42], off
	v_add_co_u32 v43, s0, s20, v43
	v_add_co_ci_u32_e64 v44, null, s21, v44, s0
	global_store_dword v[45:46], v37, off
	s_waitcnt vmcnt(0)
	global_store_dwordx2 v[43:44], v[41:42], off
	s_or_b32 exec_lo, exec_lo, s19
	s_and_saveexec_b32 s19, s78
	s_cbranch_execz .LBB168_67
.LBB168_130:                            ;   in Loop: Header=BB168_21 Depth=1
	v_cndmask_b32_e32 v41, v5, v14, vcc_lo
	v_add3_u32 v43, v0, v26, 0xa0
	v_add3_u32 v41, v41, s35, 0xa0
	v_ashrrev_i32_e32 v44, 31, v43
	v_ashrrev_i32_e32 v42, 31, v41
	v_lshlrev_b64 v[45:46], 2, v[43:44]
	v_lshlrev_b64 v[43:44], 3, v[43:44]
	;; [unrolled: 1-line block ×3, first 2 shown]
	v_add_co_u32 v41, s0, s22, v41
	v_add_co_ci_u32_e64 v42, null, s23, v42, s0
	v_add_co_u32 v45, s0, s24, v45
	v_add_co_ci_u32_e64 v46, null, s25, v46, s0
	global_load_dwordx2 v[41:42], v[41:42], off
	v_add_co_u32 v43, s0, s20, v43
	v_add_co_ci_u32_e64 v44, null, s21, v44, s0
	global_store_dword v[45:46], v38, off
	s_waitcnt vmcnt(0)
	global_store_dwordx2 v[43:44], v[41:42], off
	s_or_b32 exec_lo, exec_lo, s19
	s_and_saveexec_b32 s19, s79
	s_cbranch_execz .LBB168_68
.LBB168_131:                            ;   in Loop: Header=BB168_21 Depth=1
	v_add3_u32 v41, v14, s35, 0xc0
	v_add3_u32 v42, v4, s35, 0xa0
	;; [unrolled: 1-line block ×3, first 2 shown]
	v_cndmask_b32_e32 v41, v42, v41, vcc_lo
	v_ashrrev_i32_e32 v44, 31, v43
	v_ashrrev_i32_e32 v42, 31, v41
	v_lshlrev_b64 v[45:46], 2, v[43:44]
	v_lshlrev_b64 v[43:44], 3, v[43:44]
	;; [unrolled: 1-line block ×3, first 2 shown]
	v_add_co_u32 v41, s0, s22, v41
	v_add_co_ci_u32_e64 v42, null, s23, v42, s0
	v_add_co_u32 v45, s0, s24, v45
	v_add_co_ci_u32_e64 v46, null, s25, v46, s0
	global_load_dwordx2 v[41:42], v[41:42], off
	v_add_co_u32 v43, s0, s20, v43
	v_add_co_ci_u32_e64 v44, null, s21, v44, s0
	global_store_dword v[45:46], v39, off
	s_waitcnt vmcnt(0)
	global_store_dwordx2 v[43:44], v[41:42], off
	s_or_b32 exec_lo, exec_lo, s19
	s_and_saveexec_b32 s19, s8
	s_cbranch_execz .LBB168_69
.LBB168_132:                            ;   in Loop: Header=BB168_21 Depth=1
	v_add3_u32 v41, v14, s35, 0xe0
	v_add3_u32 v42, v3, s35, 0xa0
	;; [unrolled: 1-line block ×3, first 2 shown]
	v_cndmask_b32_e32 v41, v42, v41, vcc_lo
	v_ashrrev_i32_e32 v44, 31, v43
	v_ashrrev_i32_e32 v42, 31, v41
	v_lshlrev_b64 v[45:46], 2, v[43:44]
	v_lshlrev_b64 v[43:44], 3, v[43:44]
	;; [unrolled: 1-line block ×3, first 2 shown]
	v_add_co_u32 v41, s0, s22, v41
	v_add_co_ci_u32_e64 v42, null, s23, v42, s0
	v_add_co_u32 v45, s0, s24, v45
	v_add_co_ci_u32_e64 v46, null, s25, v46, s0
	global_load_dwordx2 v[41:42], v[41:42], off
	v_add_co_u32 v43, s0, s20, v43
	v_add_co_ci_u32_e64 v44, null, s21, v44, s0
	global_store_dword v[45:46], v40, off
	s_waitcnt vmcnt(0)
	global_store_dwordx2 v[43:44], v[41:42], off
	s_or_b32 exec_lo, exec_lo, s19
	s_and_saveexec_b32 s19, s80
	s_cbranch_execz .LBB168_70
.LBB168_133:                            ;   in Loop: Header=BB168_21 Depth=1
	v_add_nc_u32_e32 v41, s35, v15
	v_add3_u32 v42, v2, s35, 0xc0
	v_add_nc_u32_e32 v43, v0, v25
	v_cndmask_b32_e32 v41, v42, v41, vcc_lo
	v_ashrrev_i32_e32 v44, 31, v43
	v_ashrrev_i32_e32 v42, 31, v41
	v_lshlrev_b64 v[45:46], 2, v[43:44]
	v_lshlrev_b64 v[43:44], 3, v[43:44]
	;; [unrolled: 1-line block ×3, first 2 shown]
	v_add_co_u32 v41, s0, s22, v41
	v_add_co_ci_u32_e64 v42, null, s23, v42, s0
	v_add_co_u32 v45, s0, s24, v45
	v_add_co_ci_u32_e64 v46, null, s25, v46, s0
	global_load_dwordx2 v[41:42], v[41:42], off
	v_add_co_u32 v43, s0, s20, v43
	v_add_co_ci_u32_e64 v44, null, s21, v44, s0
	global_store_dword v[45:46], v34, off
	s_waitcnt vmcnt(0)
	global_store_dwordx2 v[43:44], v[41:42], off
	s_or_b32 exec_lo, exec_lo, s19
	s_and_saveexec_b32 s19, s81
	s_cbranch_execz .LBB168_71
.LBB168_134:                            ;   in Loop: Header=BB168_21 Depth=1
	v_add3_u32 v41, v15, s35, 32
	v_add3_u32 v42, v9, s35, 0xc0
	;; [unrolled: 1-line block ×3, first 2 shown]
	v_cndmask_b32_e32 v41, v42, v41, vcc_lo
	v_ashrrev_i32_e32 v44, 31, v43
	v_ashrrev_i32_e32 v42, 31, v41
	v_lshlrev_b64 v[45:46], 2, v[43:44]
	v_lshlrev_b64 v[43:44], 3, v[43:44]
	;; [unrolled: 1-line block ×3, first 2 shown]
	v_add_co_u32 v41, s0, s22, v41
	v_add_co_ci_u32_e64 v42, null, s23, v42, s0
	v_add_co_u32 v45, s0, s24, v45
	v_add_co_ci_u32_e64 v46, null, s25, v46, s0
	global_load_dwordx2 v[41:42], v[41:42], off
	v_add_co_u32 v43, s0, s20, v43
	v_add_co_ci_u32_e64 v44, null, s21, v44, s0
	global_store_dword v[45:46], v33, off
	s_waitcnt vmcnt(0)
	global_store_dwordx2 v[43:44], v[41:42], off
	s_or_b32 exec_lo, exec_lo, s19
	s_and_saveexec_b32 s19, s82
	s_cbranch_execz .LBB168_72
.LBB168_135:                            ;   in Loop: Header=BB168_21 Depth=1
	v_add3_u32 v41, v15, s35, 64
	v_add3_u32 v42, v8, s35, 0xc0
	v_add3_u32 v43, v0, v25, 64
	v_cndmask_b32_e32 v41, v42, v41, vcc_lo
	v_ashrrev_i32_e32 v44, 31, v43
	v_ashrrev_i32_e32 v42, 31, v41
	v_lshlrev_b64 v[45:46], 2, v[43:44]
	v_lshlrev_b64 v[43:44], 3, v[43:44]
	;; [unrolled: 1-line block ×3, first 2 shown]
	v_add_co_u32 v41, s0, s22, v41
	v_add_co_ci_u32_e64 v42, null, s23, v42, s0
	v_add_co_u32 v45, s0, s24, v45
	v_add_co_ci_u32_e64 v46, null, s25, v46, s0
	global_load_dwordx2 v[41:42], v[41:42], off
	v_add_co_u32 v43, s0, s20, v43
	v_add_co_ci_u32_e64 v44, null, s21, v44, s0
	global_store_dword v[45:46], v35, off
	s_waitcnt vmcnt(0)
	global_store_dwordx2 v[43:44], v[41:42], off
	s_or_b32 exec_lo, exec_lo, s19
	s_and_saveexec_b32 s19, s83
	s_cbranch_execz .LBB168_73
.LBB168_136:                            ;   in Loop: Header=BB168_21 Depth=1
	v_add3_u32 v41, v15, s35, 0x60
	v_add3_u32 v42, v7, s35, 0xc0
	v_add3_u32 v43, v0, v25, 0x60
	v_cndmask_b32_e32 v41, v42, v41, vcc_lo
	v_ashrrev_i32_e32 v44, 31, v43
	v_ashrrev_i32_e32 v42, 31, v41
	v_lshlrev_b64 v[45:46], 2, v[43:44]
	v_lshlrev_b64 v[43:44], 3, v[43:44]
	;; [unrolled: 1-line block ×3, first 2 shown]
	v_add_co_u32 v41, s0, s22, v41
	v_add_co_ci_u32_e64 v42, null, s23, v42, s0
	v_add_co_u32 v45, s0, s24, v45
	v_add_co_ci_u32_e64 v46, null, s25, v46, s0
	global_load_dwordx2 v[41:42], v[41:42], off
	v_add_co_u32 v43, s0, s20, v43
	v_add_co_ci_u32_e64 v44, null, s21, v44, s0
	global_store_dword v[45:46], v36, off
	s_waitcnt vmcnt(0)
	global_store_dwordx2 v[43:44], v[41:42], off
	s_or_b32 exec_lo, exec_lo, s19
	s_and_saveexec_b32 s19, s84
	s_cbranch_execz .LBB168_74
.LBB168_137:                            ;   in Loop: Header=BB168_21 Depth=1
	v_add3_u32 v41, v15, s35, 0x80
	v_add3_u32 v42, v6, s35, 0xc0
	;; [unrolled: 1-line block ×3, first 2 shown]
	v_cndmask_b32_e32 v41, v42, v41, vcc_lo
	v_ashrrev_i32_e32 v44, 31, v43
	v_ashrrev_i32_e32 v42, 31, v41
	v_lshlrev_b64 v[45:46], 2, v[43:44]
	v_lshlrev_b64 v[43:44], 3, v[43:44]
	;; [unrolled: 1-line block ×3, first 2 shown]
	v_add_co_u32 v41, s0, s22, v41
	v_add_co_ci_u32_e64 v42, null, s23, v42, s0
	v_add_co_u32 v45, s0, s24, v45
	v_add_co_ci_u32_e64 v46, null, s25, v46, s0
	global_load_dwordx2 v[41:42], v[41:42], off
	v_add_co_u32 v43, s0, s20, v43
	v_add_co_ci_u32_e64 v44, null, s21, v44, s0
	global_store_dword v[45:46], v37, off
	s_waitcnt vmcnt(0)
	global_store_dwordx2 v[43:44], v[41:42], off
	s_or_b32 exec_lo, exec_lo, s19
	s_and_saveexec_b32 s19, s85
	s_cbranch_execz .LBB168_75
.LBB168_138:                            ;   in Loop: Header=BB168_21 Depth=1
	v_add3_u32 v41, v15, s35, 0xa0
	v_add3_u32 v42, v5, s35, 0xc0
	;; [unrolled: 1-line block ×3, first 2 shown]
	v_cndmask_b32_e32 v41, v42, v41, vcc_lo
	v_ashrrev_i32_e32 v44, 31, v43
	v_ashrrev_i32_e32 v42, 31, v41
	v_lshlrev_b64 v[45:46], 2, v[43:44]
	v_lshlrev_b64 v[43:44], 3, v[43:44]
	;; [unrolled: 1-line block ×3, first 2 shown]
	v_add_co_u32 v41, s0, s22, v41
	v_add_co_ci_u32_e64 v42, null, s23, v42, s0
	v_add_co_u32 v45, s0, s24, v45
	v_add_co_ci_u32_e64 v46, null, s25, v46, s0
	global_load_dwordx2 v[41:42], v[41:42], off
	v_add_co_u32 v43, s0, s20, v43
	v_add_co_ci_u32_e64 v44, null, s21, v44, s0
	global_store_dword v[45:46], v38, off
	s_waitcnt vmcnt(0)
	global_store_dwordx2 v[43:44], v[41:42], off
	s_or_b32 exec_lo, exec_lo, s19
	s_and_saveexec_b32 s19, s86
	s_cbranch_execz .LBB168_76
.LBB168_139:                            ;   in Loop: Header=BB168_21 Depth=1
	v_cndmask_b32_e32 v41, v4, v15, vcc_lo
	v_add3_u32 v43, v0, v25, 0xc0
	v_add3_u32 v41, v41, s35, 0xc0
	v_ashrrev_i32_e32 v44, 31, v43
	v_ashrrev_i32_e32 v42, 31, v41
	v_lshlrev_b64 v[45:46], 2, v[43:44]
	v_lshlrev_b64 v[43:44], 3, v[43:44]
	;; [unrolled: 1-line block ×3, first 2 shown]
	v_add_co_u32 v41, s0, s22, v41
	v_add_co_ci_u32_e64 v42, null, s23, v42, s0
	v_add_co_u32 v45, s0, s24, v45
	v_add_co_ci_u32_e64 v46, null, s25, v46, s0
	global_load_dwordx2 v[41:42], v[41:42], off
	v_add_co_u32 v43, s0, s20, v43
	v_add_co_ci_u32_e64 v44, null, s21, v44, s0
	global_store_dword v[45:46], v39, off
	s_waitcnt vmcnt(0)
	global_store_dwordx2 v[43:44], v[41:42], off
	s_or_b32 exec_lo, exec_lo, s19
	s_and_saveexec_b32 s19, s9
	s_cbranch_execz .LBB168_77
.LBB168_140:                            ;   in Loop: Header=BB168_21 Depth=1
	v_add3_u32 v41, v15, s35, 0xe0
	v_add3_u32 v42, v3, s35, 0xc0
	;; [unrolled: 1-line block ×3, first 2 shown]
	v_cndmask_b32_e32 v41, v42, v41, vcc_lo
	v_ashrrev_i32_e32 v44, 31, v43
	v_ashrrev_i32_e32 v42, 31, v41
	v_lshlrev_b64 v[45:46], 2, v[43:44]
	v_lshlrev_b64 v[43:44], 3, v[43:44]
	;; [unrolled: 1-line block ×3, first 2 shown]
	v_add_co_u32 v41, s0, s22, v41
	v_add_co_ci_u32_e64 v42, null, s23, v42, s0
	v_add_co_u32 v45, s0, s24, v45
	v_add_co_ci_u32_e64 v46, null, s25, v46, s0
	global_load_dwordx2 v[41:42], v[41:42], off
	v_add_co_u32 v43, s0, s20, v43
	v_add_co_ci_u32_e64 v44, null, s21, v44, s0
	global_store_dword v[45:46], v40, off
	s_waitcnt vmcnt(0)
	global_store_dwordx2 v[43:44], v[41:42], off
	s_or_b32 exec_lo, exec_lo, s19
	s_and_saveexec_b32 s19, s4
	s_cbranch_execz .LBB168_78
.LBB168_141:                            ;   in Loop: Header=BB168_21 Depth=1
	v_add_nc_u32_e32 v41, s35, v16
	v_add3_u32 v42, v2, s35, 0xe0
	v_add_nc_u32_e32 v43, v0, v17
	v_cndmask_b32_e32 v41, v42, v41, vcc_lo
	v_ashrrev_i32_e32 v44, 31, v43
	v_ashrrev_i32_e32 v42, 31, v41
	v_lshlrev_b64 v[45:46], 2, v[43:44]
	v_lshlrev_b64 v[43:44], 3, v[43:44]
	;; [unrolled: 1-line block ×3, first 2 shown]
	v_add_co_u32 v41, s0, s22, v41
	v_add_co_ci_u32_e64 v42, null, s23, v42, s0
	v_add_co_u32 v45, s0, s24, v45
	v_add_co_ci_u32_e64 v46, null, s25, v46, s0
	global_load_dwordx2 v[41:42], v[41:42], off
	v_add_co_u32 v43, s0, s20, v43
	v_add_co_ci_u32_e64 v44, null, s21, v44, s0
	global_store_dword v[45:46], v34, off
	s_waitcnt vmcnt(0)
	global_store_dwordx2 v[43:44], v[41:42], off
	s_or_b32 exec_lo, exec_lo, s19
	s_and_saveexec_b32 s19, s5
	s_cbranch_execz .LBB168_79
.LBB168_142:                            ;   in Loop: Header=BB168_21 Depth=1
	v_add3_u32 v34, v16, s35, 32
	v_add3_u32 v41, v9, s35, 0xe0
	;; [unrolled: 1-line block ×3, first 2 shown]
	v_cndmask_b32_e32 v41, v41, v34, vcc_lo
	v_ashrrev_i32_e32 v44, 31, v43
	v_ashrrev_i32_e32 v42, 31, v41
	v_lshlrev_b64 v[45:46], 2, v[43:44]
	v_lshlrev_b64 v[43:44], 3, v[43:44]
	;; [unrolled: 1-line block ×3, first 2 shown]
	v_add_co_u32 v41, s0, s22, v41
	v_add_co_ci_u32_e64 v42, null, s23, v42, s0
	v_add_co_u32 v45, s0, s24, v45
	v_add_co_ci_u32_e64 v46, null, s25, v46, s0
	global_load_dwordx2 v[41:42], v[41:42], off
	v_add_co_u32 v43, s0, s20, v43
	v_add_co_ci_u32_e64 v44, null, s21, v44, s0
	global_store_dword v[45:46], v33, off
	s_waitcnt vmcnt(0)
	global_store_dwordx2 v[43:44], v[41:42], off
	s_or_b32 exec_lo, exec_lo, s19
	s_and_saveexec_b32 s19, s10
	s_cbranch_execz .LBB168_80
.LBB168_143:                            ;   in Loop: Header=BB168_21 Depth=1
	v_add3_u32 v33, v16, s35, 64
	v_add3_u32 v34, v8, s35, 0xe0
	;; [unrolled: 1-line block ×3, first 2 shown]
	v_cndmask_b32_e32 v33, v34, v33, vcc_lo
	v_ashrrev_i32_e32 v42, 31, v41
	v_ashrrev_i32_e32 v34, 31, v33
	v_lshlrev_b64 v[43:44], 2, v[41:42]
	v_lshlrev_b64 v[41:42], 3, v[41:42]
	;; [unrolled: 1-line block ×3, first 2 shown]
	v_add_co_u32 v33, s0, s22, v33
	v_add_co_ci_u32_e64 v34, null, s23, v34, s0
	v_add_co_u32 v43, s0, s24, v43
	v_add_co_ci_u32_e64 v44, null, s25, v44, s0
	global_load_dwordx2 v[33:34], v[33:34], off
	v_add_co_u32 v41, s0, s20, v41
	v_add_co_ci_u32_e64 v42, null, s21, v42, s0
	global_store_dword v[43:44], v35, off
	s_waitcnt vmcnt(0)
	global_store_dwordx2 v[41:42], v[33:34], off
	s_or_b32 exec_lo, exec_lo, s19
	s_and_saveexec_b32 s19, s11
	s_cbranch_execz .LBB168_81
.LBB168_144:                            ;   in Loop: Header=BB168_21 Depth=1
	v_add3_u32 v33, v16, s35, 0x60
	v_add3_u32 v34, v7, s35, 0xe0
	v_add3_u32 v41, v0, v17, 0x60
	v_cndmask_b32_e32 v33, v34, v33, vcc_lo
	v_ashrrev_i32_e32 v42, 31, v41
	v_ashrrev_i32_e32 v34, 31, v33
	v_lshlrev_b64 v[43:44], 2, v[41:42]
	v_lshlrev_b64 v[41:42], 3, v[41:42]
	;; [unrolled: 1-line block ×3, first 2 shown]
	v_add_co_u32 v33, s0, s22, v33
	v_add_co_ci_u32_e64 v34, null, s23, v34, s0
	v_add_co_u32 v43, s0, s24, v43
	v_add_co_ci_u32_e64 v44, null, s25, v44, s0
	global_load_dwordx2 v[33:34], v[33:34], off
	v_add_co_u32 v41, s0, s20, v41
	v_add_co_ci_u32_e64 v42, null, s21, v42, s0
	global_store_dword v[43:44], v36, off
	s_waitcnt vmcnt(0)
	global_store_dwordx2 v[41:42], v[33:34], off
	s_or_b32 exec_lo, exec_lo, s19
	s_and_saveexec_b32 s19, s12
	s_cbranch_execz .LBB168_82
.LBB168_145:                            ;   in Loop: Header=BB168_21 Depth=1
	v_add3_u32 v33, v16, s35, 0x80
	v_add3_u32 v34, v6, s35, 0xe0
	;; [unrolled: 1-line block ×3, first 2 shown]
	v_cndmask_b32_e32 v33, v34, v33, vcc_lo
	v_ashrrev_i32_e32 v36, 31, v35
	v_ashrrev_i32_e32 v34, 31, v33
	v_lshlrev_b64 v[41:42], 2, v[35:36]
	v_lshlrev_b64 v[35:36], 3, v[35:36]
	;; [unrolled: 1-line block ×3, first 2 shown]
	v_add_co_u32 v33, s0, s22, v33
	v_add_co_ci_u32_e64 v34, null, s23, v34, s0
	v_add_co_u32 v41, s0, s24, v41
	v_add_co_ci_u32_e64 v42, null, s25, v42, s0
	global_load_dwordx2 v[33:34], v[33:34], off
	v_add_co_u32 v35, s0, s20, v35
	v_add_co_ci_u32_e64 v36, null, s21, v36, s0
	global_store_dword v[41:42], v37, off
	s_waitcnt vmcnt(0)
	global_store_dwordx2 v[35:36], v[33:34], off
	s_or_b32 exec_lo, exec_lo, s19
	s_and_saveexec_b32 s19, s13
	s_cbranch_execz .LBB168_83
.LBB168_146:                            ;   in Loop: Header=BB168_21 Depth=1
	v_add3_u32 v33, v16, s35, 0xa0
	v_add3_u32 v34, v5, s35, 0xe0
	;; [unrolled: 1-line block ×3, first 2 shown]
	v_cndmask_b32_e32 v33, v34, v33, vcc_lo
	v_ashrrev_i32_e32 v36, 31, v35
	v_ashrrev_i32_e32 v34, 31, v33
	v_lshlrev_b64 v[41:42], 2, v[35:36]
	v_lshlrev_b64 v[35:36], 3, v[35:36]
	;; [unrolled: 1-line block ×3, first 2 shown]
	v_add_co_u32 v33, s0, s22, v33
	v_add_co_ci_u32_e64 v34, null, s23, v34, s0
	v_add_co_u32 v41, s0, s24, v41
	v_add_co_ci_u32_e64 v42, null, s25, v42, s0
	global_load_dwordx2 v[33:34], v[33:34], off
	v_add_co_u32 v35, s0, s20, v35
	v_add_co_ci_u32_e64 v36, null, s21, v36, s0
	global_store_dword v[41:42], v38, off
	s_waitcnt vmcnt(0)
	global_store_dwordx2 v[35:36], v[33:34], off
	s_or_b32 exec_lo, exec_lo, s19
	s_and_saveexec_b32 s19, s14
	s_cbranch_execz .LBB168_84
.LBB168_147:                            ;   in Loop: Header=BB168_21 Depth=1
	v_add3_u32 v33, v16, s35, 0xc0
	v_add3_u32 v34, v4, s35, 0xe0
	;; [unrolled: 1-line block ×3, first 2 shown]
	v_cndmask_b32_e32 v33, v34, v33, vcc_lo
	v_ashrrev_i32_e32 v36, 31, v35
	v_ashrrev_i32_e32 v34, 31, v33
	v_lshlrev_b64 v[37:38], 2, v[35:36]
	v_lshlrev_b64 v[35:36], 3, v[35:36]
	;; [unrolled: 1-line block ×3, first 2 shown]
	v_add_co_u32 v33, s0, s22, v33
	v_add_co_ci_u32_e64 v34, null, s23, v34, s0
	v_add_co_u32 v37, s0, s24, v37
	v_add_co_ci_u32_e64 v38, null, s25, v38, s0
	global_load_dwordx2 v[33:34], v[33:34], off
	v_add_co_u32 v35, s0, s20, v35
	v_add_co_ci_u32_e64 v36, null, s21, v36, s0
	global_store_dword v[37:38], v39, off
	s_waitcnt vmcnt(0)
	global_store_dwordx2 v[35:36], v[33:34], off
	s_or_b32 exec_lo, exec_lo, s19
	s_and_saveexec_b32 s19, s15
	s_cbranch_execz .LBB168_20
.LBB168_148:                            ;   in Loop: Header=BB168_21 Depth=1
	v_cndmask_b32_e32 v33, v3, v16, vcc_lo
	v_add3_u32 v35, v0, v17, 0xe0
	v_add3_u32 v33, v33, s35, 0xe0
	v_ashrrev_i32_e32 v36, 31, v35
	v_ashrrev_i32_e32 v34, 31, v33
	v_lshlrev_b64 v[37:38], 2, v[35:36]
	v_lshlrev_b64 v[35:36], 3, v[35:36]
	;; [unrolled: 1-line block ×3, first 2 shown]
	v_add_co_u32 v33, s0, s22, v33
	v_add_co_ci_u32_e64 v34, null, s23, v34, s0
	v_add_co_u32 v37, s0, s24, v37
	v_add_co_ci_u32_e64 v38, null, s25, v38, s0
	global_load_dwordx2 v[33:34], v[33:34], off
	v_add_co_u32 v35, s0, s20, v35
	v_add_co_ci_u32_e64 v36, null, s21, v36, s0
	global_store_dword v[37:38], v40, off
	s_waitcnt vmcnt(0)
	global_store_dwordx2 v[35:36], v[33:34], off
	s_branch .LBB168_20
.LBB168_149:
	s_endpgm
	.section	.rodata,"a",@progbits
	.p2align	6, 0x0
	.amdhsa_kernel _ZN9rocsparseL35bsr2csr_block_per_row_33_256_kernelILj1024ELj256ELj32E21rocsparse_complex_numIfEiiEEv20rocsparse_direction_T4_S4_21rocsparse_index_base_PKT2_PKT3_PKS4_S4_S5_PS6_PS9_PS4_
		.amdhsa_group_segment_fixed_size 0
		.amdhsa_private_segment_fixed_size 0
		.amdhsa_kernarg_size 72
		.amdhsa_user_sgpr_count 6
		.amdhsa_user_sgpr_private_segment_buffer 1
		.amdhsa_user_sgpr_dispatch_ptr 0
		.amdhsa_user_sgpr_queue_ptr 0
		.amdhsa_user_sgpr_kernarg_segment_ptr 1
		.amdhsa_user_sgpr_dispatch_id 0
		.amdhsa_user_sgpr_flat_scratch_init 0
		.amdhsa_user_sgpr_private_segment_size 0
		.amdhsa_wavefront_size32 1
		.amdhsa_uses_dynamic_stack 0
		.amdhsa_system_sgpr_private_segment_wavefront_offset 0
		.amdhsa_system_sgpr_workgroup_id_x 1
		.amdhsa_system_sgpr_workgroup_id_y 0
		.amdhsa_system_sgpr_workgroup_id_z 0
		.amdhsa_system_sgpr_workgroup_info 0
		.amdhsa_system_vgpr_workitem_id 0
		.amdhsa_next_free_vgpr 47
		.amdhsa_next_free_sgpr 87
		.amdhsa_reserve_vcc 1
		.amdhsa_reserve_flat_scratch 0
		.amdhsa_float_round_mode_32 0
		.amdhsa_float_round_mode_16_64 0
		.amdhsa_float_denorm_mode_32 3
		.amdhsa_float_denorm_mode_16_64 3
		.amdhsa_dx10_clamp 1
		.amdhsa_ieee_mode 1
		.amdhsa_fp16_overflow 0
		.amdhsa_workgroup_processor_mode 1
		.amdhsa_memory_ordered 1
		.amdhsa_forward_progress 1
		.amdhsa_shared_vgpr_count 0
		.amdhsa_exception_fp_ieee_invalid_op 0
		.amdhsa_exception_fp_denorm_src 0
		.amdhsa_exception_fp_ieee_div_zero 0
		.amdhsa_exception_fp_ieee_overflow 0
		.amdhsa_exception_fp_ieee_underflow 0
		.amdhsa_exception_fp_ieee_inexact 0
		.amdhsa_exception_int_div_zero 0
	.end_amdhsa_kernel
	.section	.text._ZN9rocsparseL35bsr2csr_block_per_row_33_256_kernelILj1024ELj256ELj32E21rocsparse_complex_numIfEiiEEv20rocsparse_direction_T4_S4_21rocsparse_index_base_PKT2_PKT3_PKS4_S4_S5_PS6_PS9_PS4_,"axG",@progbits,_ZN9rocsparseL35bsr2csr_block_per_row_33_256_kernelILj1024ELj256ELj32E21rocsparse_complex_numIfEiiEEv20rocsparse_direction_T4_S4_21rocsparse_index_base_PKT2_PKT3_PKS4_S4_S5_PS6_PS9_PS4_,comdat
.Lfunc_end168:
	.size	_ZN9rocsparseL35bsr2csr_block_per_row_33_256_kernelILj1024ELj256ELj32E21rocsparse_complex_numIfEiiEEv20rocsparse_direction_T4_S4_21rocsparse_index_base_PKT2_PKT3_PKS4_S4_S5_PS6_PS9_PS4_, .Lfunc_end168-_ZN9rocsparseL35bsr2csr_block_per_row_33_256_kernelILj1024ELj256ELj32E21rocsparse_complex_numIfEiiEEv20rocsparse_direction_T4_S4_21rocsparse_index_base_PKT2_PKT3_PKS4_S4_S5_PS6_PS9_PS4_
                                        ; -- End function
	.set _ZN9rocsparseL35bsr2csr_block_per_row_33_256_kernelILj1024ELj256ELj32E21rocsparse_complex_numIfEiiEEv20rocsparse_direction_T4_S4_21rocsparse_index_base_PKT2_PKT3_PKS4_S4_S5_PS6_PS9_PS4_.num_vgpr, 47
	.set _ZN9rocsparseL35bsr2csr_block_per_row_33_256_kernelILj1024ELj256ELj32E21rocsparse_complex_numIfEiiEEv20rocsparse_direction_T4_S4_21rocsparse_index_base_PKT2_PKT3_PKS4_S4_S5_PS6_PS9_PS4_.num_agpr, 0
	.set _ZN9rocsparseL35bsr2csr_block_per_row_33_256_kernelILj1024ELj256ELj32E21rocsparse_complex_numIfEiiEEv20rocsparse_direction_T4_S4_21rocsparse_index_base_PKT2_PKT3_PKS4_S4_S5_PS6_PS9_PS4_.numbered_sgpr, 87
	.set _ZN9rocsparseL35bsr2csr_block_per_row_33_256_kernelILj1024ELj256ELj32E21rocsparse_complex_numIfEiiEEv20rocsparse_direction_T4_S4_21rocsparse_index_base_PKT2_PKT3_PKS4_S4_S5_PS6_PS9_PS4_.num_named_barrier, 0
	.set _ZN9rocsparseL35bsr2csr_block_per_row_33_256_kernelILj1024ELj256ELj32E21rocsparse_complex_numIfEiiEEv20rocsparse_direction_T4_S4_21rocsparse_index_base_PKT2_PKT3_PKS4_S4_S5_PS6_PS9_PS4_.private_seg_size, 0
	.set _ZN9rocsparseL35bsr2csr_block_per_row_33_256_kernelILj1024ELj256ELj32E21rocsparse_complex_numIfEiiEEv20rocsparse_direction_T4_S4_21rocsparse_index_base_PKT2_PKT3_PKS4_S4_S5_PS6_PS9_PS4_.uses_vcc, 1
	.set _ZN9rocsparseL35bsr2csr_block_per_row_33_256_kernelILj1024ELj256ELj32E21rocsparse_complex_numIfEiiEEv20rocsparse_direction_T4_S4_21rocsparse_index_base_PKT2_PKT3_PKS4_S4_S5_PS6_PS9_PS4_.uses_flat_scratch, 0
	.set _ZN9rocsparseL35bsr2csr_block_per_row_33_256_kernelILj1024ELj256ELj32E21rocsparse_complex_numIfEiiEEv20rocsparse_direction_T4_S4_21rocsparse_index_base_PKT2_PKT3_PKS4_S4_S5_PS6_PS9_PS4_.has_dyn_sized_stack, 0
	.set _ZN9rocsparseL35bsr2csr_block_per_row_33_256_kernelILj1024ELj256ELj32E21rocsparse_complex_numIfEiiEEv20rocsparse_direction_T4_S4_21rocsparse_index_base_PKT2_PKT3_PKS4_S4_S5_PS6_PS9_PS4_.has_recursion, 0
	.set _ZN9rocsparseL35bsr2csr_block_per_row_33_256_kernelILj1024ELj256ELj32E21rocsparse_complex_numIfEiiEEv20rocsparse_direction_T4_S4_21rocsparse_index_base_PKT2_PKT3_PKS4_S4_S5_PS6_PS9_PS4_.has_indirect_call, 0
	.section	.AMDGPU.csdata,"",@progbits
; Kernel info:
; codeLenInByte = 12416
; TotalNumSgprs: 89
; NumVgprs: 47
; ScratchSize: 0
; MemoryBound: 0
; FloatMode: 240
; IeeeMode: 1
; LDSByteSize: 0 bytes/workgroup (compile time only)
; SGPRBlocks: 0
; VGPRBlocks: 5
; NumSGPRsForWavesPerEU: 89
; NumVGPRsForWavesPerEU: 47
; Occupancy: 16
; WaveLimiterHint : 1
; COMPUTE_PGM_RSRC2:SCRATCH_EN: 0
; COMPUTE_PGM_RSRC2:USER_SGPR: 6
; COMPUTE_PGM_RSRC2:TRAP_HANDLER: 0
; COMPUTE_PGM_RSRC2:TGID_X_EN: 1
; COMPUTE_PGM_RSRC2:TGID_Y_EN: 0
; COMPUTE_PGM_RSRC2:TGID_Z_EN: 0
; COMPUTE_PGM_RSRC2:TIDIG_COMP_CNT: 0
	.section	.text._ZN9rocsparseL35bsr2csr_block_dim_equals_one_kernelILj1024E21rocsparse_complex_numIfEliEEvT2_S3_21rocsparse_index_base_PKT0_PKT1_PKS3_S4_PS5_PS8_PS3_,"axG",@progbits,_ZN9rocsparseL35bsr2csr_block_dim_equals_one_kernelILj1024E21rocsparse_complex_numIfEliEEvT2_S3_21rocsparse_index_base_PKT0_PKT1_PKS3_S4_PS5_PS8_PS3_,comdat
	.globl	_ZN9rocsparseL35bsr2csr_block_dim_equals_one_kernelILj1024E21rocsparse_complex_numIfEliEEvT2_S3_21rocsparse_index_base_PKT0_PKT1_PKS3_S4_PS5_PS8_PS3_ ; -- Begin function _ZN9rocsparseL35bsr2csr_block_dim_equals_one_kernelILj1024E21rocsparse_complex_numIfEliEEvT2_S3_21rocsparse_index_base_PKT0_PKT1_PKS3_S4_PS5_PS8_PS3_
	.p2align	8
	.type	_ZN9rocsparseL35bsr2csr_block_dim_equals_one_kernelILj1024E21rocsparse_complex_numIfEliEEvT2_S3_21rocsparse_index_base_PKT0_PKT1_PKS3_S4_PS5_PS8_PS3_,@function
_ZN9rocsparseL35bsr2csr_block_dim_equals_one_kernelILj1024E21rocsparse_complex_numIfEliEEvT2_S3_21rocsparse_index_base_PKT0_PKT1_PKS3_S4_PS5_PS8_PS3_: ; @_ZN9rocsparseL35bsr2csr_block_dim_equals_one_kernelILj1024E21rocsparse_complex_numIfEliEEvT2_S3_21rocsparse_index_base_PKT0_PKT1_PKS3_S4_PS5_PS8_PS3_
; %bb.0:
	s_clause 0x1
	s_load_dword s12, s[4:5], 0x0
	s_load_dwordx2 s[0:1], s[4:5], 0x18
	s_lshl_b32 s18, s6, 10
	s_mov_b32 s2, exec_lo
	v_or_b32_e32 v1, s18, v0
	v_ashrrev_i32_e32 v2, 31, v1
	s_waitcnt lgkmcnt(0)
	v_cmpx_le_i32_e64 s12, v1
	s_xor_b32 s2, exec_lo, s2
	s_or_saveexec_b32 s13, s2
	s_clause 0x5
	s_load_dwordx2 s[2:3], s[4:5], 0x40
	s_load_dwordx2 s[6:7], s[4:5], 0x30
	s_load_dwordx2 s[8:9], s[4:5], 0x10
	s_load_dwordx2 s[10:11], s[4:5], 0x20
	s_load_dword s19, s[4:5], 0x28
	s_load_dword s20, s[4:5], 0x8
	s_xor_b32 exec_lo, exec_lo, s13
	s_cbranch_execz .LBB169_6
; %bb.1:
	s_load_dwordx2 s[14:15], s[4:5], 0x38
	s_mov_b32 s21, exec_lo
                                        ; implicit-def: $sgpr16_sgpr17
	v_cmpx_ne_u32_e32 0, v1
	s_xor_b32 s21, exec_lo, s21
	s_cbranch_execz .LBB169_3
; %bb.2:
	s_waitcnt lgkmcnt(0)
	s_sub_u32 s16, s19, s20
	s_subb_u32 s17, 0, 0
.LBB169_3:
	s_or_saveexec_b32 s21, s21
	v_mov_b32_e32 v3, s16
	v_mov_b32_e32 v4, s17
	s_xor_b32 exec_lo, exec_lo, s21
	s_cbranch_execz .LBB169_5
; %bb.4:
	s_load_dwordx2 s[16:17], s[0:1], 0x0
	s_waitcnt lgkmcnt(0)
	s_sub_u32 s22, s19, s20
	s_subb_u32 s23, 0, 0
	v_mov_b32_e32 v3, s22
	v_mov_b32_e32 v7, 0
	;; [unrolled: 1-line block ×3, first 2 shown]
	s_add_u32 s16, s22, s16
	s_addc_u32 s17, s23, s17
	v_mov_b32_e32 v5, s16
	v_mov_b32_e32 v6, s17
	global_store_dwordx2 v7, v[5:6], s[14:15]
.LBB169_5:
	s_or_b32 exec_lo, exec_lo, s21
	v_lshlrev_b64 v[5:6], 3, v[1:2]
	v_add_co_u32 v7, vcc_lo, s0, v5
	v_add_co_ci_u32_e64 v8, null, s1, v6, vcc_lo
	global_load_dwordx2 v[7:8], v[7:8], off offset:8
	s_waitcnt vmcnt(0)
	v_add_co_u32 v3, vcc_lo, v3, v7
	v_add_co_ci_u32_e64 v4, null, v4, v8, vcc_lo
	s_waitcnt lgkmcnt(0)
	v_add_co_u32 v5, vcc_lo, s14, v5
	v_add_co_ci_u32_e64 v6, null, s15, v6, vcc_lo
	global_store_dwordx2 v[5:6], v[3:4], off offset:8
.LBB169_6:
	s_or_b32 exec_lo, exec_lo, s13
	s_ashr_i32 s13, s12, 31
	s_lshl_b64 s[12:13], s[12:13], 3
	s_add_u32 s12, s0, s12
	s_addc_u32 s13, s1, s13
	s_clause 0x1
	s_load_dwordx2 s[12:13], s[12:13], 0x0
	s_load_dwordx2 s[0:1], s[0:1], 0x0
	s_waitcnt lgkmcnt(0)
	s_sub_u32 s12, s12, s0
	s_subb_u32 s13, s13, s1
	s_mov_b32 s0, exec_lo
	v_cmpx_gt_i64_e64 s[12:13], v[1:2]
	s_cbranch_execz .LBB169_9
; %bb.7:
	s_load_dword s0, s[4:5], 0x48
	s_sub_i32 s4, s19, s20
	s_mov_b32 s5, 0
	s_waitcnt lgkmcnt(0)
	s_lshl_b32 s1, s0, 10
	v_add3_u32 v3, s1, s18, v0
	s_inst_prefetch 0x1
	.p2align	6
.LBB169_8:                              ; =>This Inner Loop Header: Depth=1
	v_lshlrev_b64 v[5:6], 2, v[1:2]
	v_lshlrev_b64 v[7:8], 3, v[1:2]
	v_ashrrev_i32_e32 v4, 31, v3
	v_add_co_u32 v0, vcc_lo, s10, v5
	v_add_co_ci_u32_e64 v1, null, s11, v6, vcc_lo
	v_add_co_u32 v9, vcc_lo, s8, v7
	v_add_co_ci_u32_e64 v10, null, s9, v8, vcc_lo
	global_load_dword v0, v[0:1], off
	global_load_dwordx2 v[9:10], v[9:10], off
	v_mov_b32_e32 v1, v3
	v_mov_b32_e32 v2, v4
	v_cmp_le_i64_e32 vcc_lo, s[12:13], v[3:4]
	v_add_co_u32 v4, s0, s2, v5
	v_add_co_ci_u32_e64 v5, null, s3, v6, s0
	v_add_co_u32 v6, s0, s6, v7
	v_add_co_ci_u32_e64 v7, null, s7, v8, s0
	v_add_nc_u32_e32 v3, s1, v3
	s_or_b32 s5, vcc_lo, s5
	s_waitcnt vmcnt(1)
	v_add_nc_u32_e32 v0, s4, v0
	s_waitcnt vmcnt(0)
	global_store_dwordx2 v[6:7], v[9:10], off
	global_store_dword v[4:5], v0, off
	s_andn2_b32 exec_lo, exec_lo, s5
	s_cbranch_execnz .LBB169_8
.LBB169_9:
	s_inst_prefetch 0x2
	s_endpgm
	.section	.rodata,"a",@progbits
	.p2align	6, 0x0
	.amdhsa_kernel _ZN9rocsparseL35bsr2csr_block_dim_equals_one_kernelILj1024E21rocsparse_complex_numIfEliEEvT2_S3_21rocsparse_index_base_PKT0_PKT1_PKS3_S4_PS5_PS8_PS3_
		.amdhsa_group_segment_fixed_size 0
		.amdhsa_private_segment_fixed_size 0
		.amdhsa_kernarg_size 328
		.amdhsa_user_sgpr_count 6
		.amdhsa_user_sgpr_private_segment_buffer 1
		.amdhsa_user_sgpr_dispatch_ptr 0
		.amdhsa_user_sgpr_queue_ptr 0
		.amdhsa_user_sgpr_kernarg_segment_ptr 1
		.amdhsa_user_sgpr_dispatch_id 0
		.amdhsa_user_sgpr_flat_scratch_init 0
		.amdhsa_user_sgpr_private_segment_size 0
		.amdhsa_wavefront_size32 1
		.amdhsa_uses_dynamic_stack 0
		.amdhsa_system_sgpr_private_segment_wavefront_offset 0
		.amdhsa_system_sgpr_workgroup_id_x 1
		.amdhsa_system_sgpr_workgroup_id_y 0
		.amdhsa_system_sgpr_workgroup_id_z 0
		.amdhsa_system_sgpr_workgroup_info 0
		.amdhsa_system_vgpr_workitem_id 0
		.amdhsa_next_free_vgpr 11
		.amdhsa_next_free_sgpr 24
		.amdhsa_reserve_vcc 1
		.amdhsa_reserve_flat_scratch 0
		.amdhsa_float_round_mode_32 0
		.amdhsa_float_round_mode_16_64 0
		.amdhsa_float_denorm_mode_32 3
		.amdhsa_float_denorm_mode_16_64 3
		.amdhsa_dx10_clamp 1
		.amdhsa_ieee_mode 1
		.amdhsa_fp16_overflow 0
		.amdhsa_workgroup_processor_mode 1
		.amdhsa_memory_ordered 1
		.amdhsa_forward_progress 1
		.amdhsa_shared_vgpr_count 0
		.amdhsa_exception_fp_ieee_invalid_op 0
		.amdhsa_exception_fp_denorm_src 0
		.amdhsa_exception_fp_ieee_div_zero 0
		.amdhsa_exception_fp_ieee_overflow 0
		.amdhsa_exception_fp_ieee_underflow 0
		.amdhsa_exception_fp_ieee_inexact 0
		.amdhsa_exception_int_div_zero 0
	.end_amdhsa_kernel
	.section	.text._ZN9rocsparseL35bsr2csr_block_dim_equals_one_kernelILj1024E21rocsparse_complex_numIfEliEEvT2_S3_21rocsparse_index_base_PKT0_PKT1_PKS3_S4_PS5_PS8_PS3_,"axG",@progbits,_ZN9rocsparseL35bsr2csr_block_dim_equals_one_kernelILj1024E21rocsparse_complex_numIfEliEEvT2_S3_21rocsparse_index_base_PKT0_PKT1_PKS3_S4_PS5_PS8_PS3_,comdat
.Lfunc_end169:
	.size	_ZN9rocsparseL35bsr2csr_block_dim_equals_one_kernelILj1024E21rocsparse_complex_numIfEliEEvT2_S3_21rocsparse_index_base_PKT0_PKT1_PKS3_S4_PS5_PS8_PS3_, .Lfunc_end169-_ZN9rocsparseL35bsr2csr_block_dim_equals_one_kernelILj1024E21rocsparse_complex_numIfEliEEvT2_S3_21rocsparse_index_base_PKT0_PKT1_PKS3_S4_PS5_PS8_PS3_
                                        ; -- End function
	.set _ZN9rocsparseL35bsr2csr_block_dim_equals_one_kernelILj1024E21rocsparse_complex_numIfEliEEvT2_S3_21rocsparse_index_base_PKT0_PKT1_PKS3_S4_PS5_PS8_PS3_.num_vgpr, 11
	.set _ZN9rocsparseL35bsr2csr_block_dim_equals_one_kernelILj1024E21rocsparse_complex_numIfEliEEvT2_S3_21rocsparse_index_base_PKT0_PKT1_PKS3_S4_PS5_PS8_PS3_.num_agpr, 0
	.set _ZN9rocsparseL35bsr2csr_block_dim_equals_one_kernelILj1024E21rocsparse_complex_numIfEliEEvT2_S3_21rocsparse_index_base_PKT0_PKT1_PKS3_S4_PS5_PS8_PS3_.numbered_sgpr, 24
	.set _ZN9rocsparseL35bsr2csr_block_dim_equals_one_kernelILj1024E21rocsparse_complex_numIfEliEEvT2_S3_21rocsparse_index_base_PKT0_PKT1_PKS3_S4_PS5_PS8_PS3_.num_named_barrier, 0
	.set _ZN9rocsparseL35bsr2csr_block_dim_equals_one_kernelILj1024E21rocsparse_complex_numIfEliEEvT2_S3_21rocsparse_index_base_PKT0_PKT1_PKS3_S4_PS5_PS8_PS3_.private_seg_size, 0
	.set _ZN9rocsparseL35bsr2csr_block_dim_equals_one_kernelILj1024E21rocsparse_complex_numIfEliEEvT2_S3_21rocsparse_index_base_PKT0_PKT1_PKS3_S4_PS5_PS8_PS3_.uses_vcc, 1
	.set _ZN9rocsparseL35bsr2csr_block_dim_equals_one_kernelILj1024E21rocsparse_complex_numIfEliEEvT2_S3_21rocsparse_index_base_PKT0_PKT1_PKS3_S4_PS5_PS8_PS3_.uses_flat_scratch, 0
	.set _ZN9rocsparseL35bsr2csr_block_dim_equals_one_kernelILj1024E21rocsparse_complex_numIfEliEEvT2_S3_21rocsparse_index_base_PKT0_PKT1_PKS3_S4_PS5_PS8_PS3_.has_dyn_sized_stack, 0
	.set _ZN9rocsparseL35bsr2csr_block_dim_equals_one_kernelILj1024E21rocsparse_complex_numIfEliEEvT2_S3_21rocsparse_index_base_PKT0_PKT1_PKS3_S4_PS5_PS8_PS3_.has_recursion, 0
	.set _ZN9rocsparseL35bsr2csr_block_dim_equals_one_kernelILj1024E21rocsparse_complex_numIfEliEEvT2_S3_21rocsparse_index_base_PKT0_PKT1_PKS3_S4_PS5_PS8_PS3_.has_indirect_call, 0
	.section	.AMDGPU.csdata,"",@progbits
; Kernel info:
; codeLenInByte = 612
; TotalNumSgprs: 26
; NumVgprs: 11
; ScratchSize: 0
; MemoryBound: 0
; FloatMode: 240
; IeeeMode: 1
; LDSByteSize: 0 bytes/workgroup (compile time only)
; SGPRBlocks: 0
; VGPRBlocks: 1
; NumSGPRsForWavesPerEU: 26
; NumVGPRsForWavesPerEU: 11
; Occupancy: 16
; WaveLimiterHint : 0
; COMPUTE_PGM_RSRC2:SCRATCH_EN: 0
; COMPUTE_PGM_RSRC2:USER_SGPR: 6
; COMPUTE_PGM_RSRC2:TRAP_HANDLER: 0
; COMPUTE_PGM_RSRC2:TGID_X_EN: 1
; COMPUTE_PGM_RSRC2:TGID_Y_EN: 0
; COMPUTE_PGM_RSRC2:TGID_Z_EN: 0
; COMPUTE_PGM_RSRC2:TIDIG_COMP_CNT: 0
	.section	.text._ZN9rocsparseL32bsr2csr_block_per_row_2_7_kernelILj256ELj2E21rocsparse_complex_numIfEliEEv20rocsparse_direction_T3_S4_21rocsparse_index_base_PKT1_PKT2_PKS4_S4_S5_PS6_PS9_PS4_,"axG",@progbits,_ZN9rocsparseL32bsr2csr_block_per_row_2_7_kernelILj256ELj2E21rocsparse_complex_numIfEliEEv20rocsparse_direction_T3_S4_21rocsparse_index_base_PKT1_PKT2_PKS4_S4_S5_PS6_PS9_PS4_,comdat
	.globl	_ZN9rocsparseL32bsr2csr_block_per_row_2_7_kernelILj256ELj2E21rocsparse_complex_numIfEliEEv20rocsparse_direction_T3_S4_21rocsparse_index_base_PKT1_PKT2_PKS4_S4_S5_PS6_PS9_PS4_ ; -- Begin function _ZN9rocsparseL32bsr2csr_block_per_row_2_7_kernelILj256ELj2E21rocsparse_complex_numIfEliEEv20rocsparse_direction_T3_S4_21rocsparse_index_base_PKT1_PKT2_PKS4_S4_S5_PS6_PS9_PS4_
	.p2align	8
	.type	_ZN9rocsparseL32bsr2csr_block_per_row_2_7_kernelILj256ELj2E21rocsparse_complex_numIfEliEEv20rocsparse_direction_T3_S4_21rocsparse_index_base_PKT1_PKT2_PKS4_S4_S5_PS6_PS9_PS4_,@function
_ZN9rocsparseL32bsr2csr_block_per_row_2_7_kernelILj256ELj2E21rocsparse_complex_numIfEliEEv20rocsparse_direction_T3_S4_21rocsparse_index_base_PKT1_PKT2_PKS4_S4_S5_PS6_PS9_PS4_: ; @_ZN9rocsparseL32bsr2csr_block_per_row_2_7_kernelILj256ELj2E21rocsparse_complex_numIfEliEEv20rocsparse_direction_T3_S4_21rocsparse_index_base_PKT1_PKT2_PKS4_S4_S5_PS6_PS9_PS4_
; %bb.0:
	s_load_dwordx2 s[0:1], s[4:5], 0x18
	s_ashr_i32 s7, s6, 31
	s_clause 0x1
	s_load_dword s8, s[4:5], 0x2c
	s_load_dwordx2 s[12:13], s[4:5], 0x38
	s_lshl_b64 s[2:3], s[6:7], 3
	v_or_b32_e32 v1, s6, v0
	s_mov_b32 s11, 0
	s_mov_b32 s7, exec_lo
	s_waitcnt lgkmcnt(0)
	s_add_u32 s0, s0, s2
	s_addc_u32 s1, s1, s3
	s_load_dwordx4 s[0:3], s[0:1], 0x0
	v_cmpx_eq_u32_e32 0, v1
	s_cbranch_execz .LBB170_2
; %bb.1:
	s_mov_b32 s9, s11
	v_mov_b32_e32 v1, s8
	v_mov_b32_e32 v3, 0
	v_mov_b32_e32 v2, s9
	global_store_dwordx2 v3, v[1:2], s[12:13]
.LBB170_2:
	s_or_b32 exec_lo, exec_lo, s7
	s_load_dword s10, s[4:5], 0xc
	v_and_b32_e32 v8, 1, v0
	v_mov_b32_e32 v2, 0
	v_lshrrev_b32_e32 v3, 1, v0
	v_lshl_or_b32 v1, s6, 1, v8
	v_add_nc_u32_e32 v1, 1, v1
	v_lshlrev_b64 v[0:1], 3, v[1:2]
	s_waitcnt lgkmcnt(0)
	s_sub_u32 s6, s0, s10
	s_subb_u32 s7, s1, 0
	s_sub_u32 s2, s2, s10
	s_subb_u32 s3, s3, 0
	s_lshl_b64 s[14:15], s[6:7], 2
	s_sub_u32 s16, s2, s6
	s_subb_u32 s17, s3, s7
	v_add_co_u32 v5, vcc_lo, s12, v0
	v_add_co_ci_u32_e64 v6, null, s13, v1, vcc_lo
	s_lshl_b64 s[12:13], s[16:17], 1
	s_lshr_b64 s[16:17], s[16:17], 31
	v_mul_lo_u32 v2, s12, v8
	v_add_co_u32 v0, s6, s6, v3
	v_mul_lo_u32 v4, s16, v8
	v_add_co_ci_u32_e64 v1, null, s7, 0, s6
	s_add_u32 s6, s12, s8
	s_addc_u32 s7, s13, 0
	s_add_u32 s6, s6, s14
	s_addc_u32 s7, s7, s15
	v_add_co_u32 v9, vcc_lo, s6, v2
	v_add_co_ci_u32_e64 v10, null, s7, v4, vcc_lo
	s_mov_b32 s6, exec_lo
	global_store_dwordx2 v[5:6], v[9:10], off
	v_cmpx_gt_i64_e64 s[2:3], v[0:1]
	s_cbranch_execz .LBB170_5
; %bb.3:
	s_clause 0x4
	s_load_dwordx2 s[6:7], s[4:5], 0x20
	s_load_dwordx2 s[12:13], s[4:5], 0x30
	s_load_dword s9, s[4:5], 0x0
	s_load_dwordx2 s[14:15], s[4:5], 0x10
	s_load_dwordx2 s[4:5], s[4:5], 0x40
	v_lshlrev_b32_e32 v3, 1, v3
	v_lshlrev_b64 v[5:6], 2, v[0:1]
	v_lshlrev_b64 v[10:11], 5, v[0:1]
	v_lshlrev_b32_e32 v9, 3, v8
	v_lshlrev_b32_e32 v8, 4, v8
	s_waitcnt lgkmcnt(0)
	s_cmp_eq_u32 s9, 0
	s_cselect_b32 vcc_lo, -1, 0
	s_lshl_b64 s[0:1], s[0:1], 2
	v_add_co_u32 v2, s0, v2, s0
	v_add_co_ci_u32_e64 v4, null, s1, v4, s0
	v_add_co_u32 v2, s0, v2, v3
	v_add_co_ci_u32_e64 v3, null, 0, v4, s0
	s_lshl_b64 s[0:1], s[10:11], 2
	v_sub_co_u32 v12, s0, v2, s0
	v_subrev_co_ci_u32_e64 v13, null, s1, v3, s0
	v_add_co_u32 v2, s0, s6, v5
	v_add_co_ci_u32_e64 v3, null, s7, v6, s0
	v_lshlrev_b64 v[4:5], 3, v[12:13]
	v_lshlrev_b64 v[6:7], 2, v[12:13]
	v_add_co_u32 v10, s0, s14, v10
	v_add_co_ci_u32_e64 v11, null, s15, v11, s0
	v_add_co_u32 v4, s0, s12, v4
	v_add_co_ci_u32_e64 v5, null, s13, v5, s0
	;; [unrolled: 2-line block ×5, first 2 shown]
	s_mov_b32 s4, 0
.LBB170_4:                              ; =>This Inner Loop Header: Depth=1
	v_add_co_u32 v12, s0, v10, v8
	v_add_co_ci_u32_e64 v13, null, 0, v11, s0
	v_add_co_u32 v14, s0, v10, v9
	global_load_dword v16, v[2:3], off
	v_add_co_ci_u32_e64 v15, null, 0, v11, s0
	v_add_co_u32 v17, s0, v12, 8
	v_add_co_ci_u32_e64 v18, null, 0, v13, s0
	v_add_co_u32 v19, s0, v14, 16
	v_add_co_ci_u32_e64 v20, null, 0, v15, s0
	v_cndmask_b32_e32 v13, v15, v13, vcc_lo
	v_cndmask_b32_e32 v12, v14, v12, vcc_lo
	;; [unrolled: 1-line block ×4, first 2 shown]
	global_load_dwordx2 v[12:13], v[12:13], off
	global_load_dwordx2 v[14:15], v[14:15], off
	v_add_co_u32 v0, s0, 0x80, v0
	v_add_co_ci_u32_e64 v1, null, 0, v1, s0
	v_add_co_u32 v2, s0, 0x200, v2
	v_add_co_ci_u32_e64 v3, null, 0, v3, s0
	;; [unrolled: 2-line block ×3, first 2 shown]
	v_cmp_le_i64_e64 s0, s[2:3], v[0:1]
	s_or_b32 s4, s0, s4
	s_waitcnt vmcnt(2)
	v_subrev_nc_u32_e32 v16, s10, v16
	v_lshl_add_u32 v16, v16, 1, s8
	v_add_nc_u32_e32 v17, 1, v16
	global_store_dwordx2 v[6:7], v[16:17], off offset:-4
	s_waitcnt vmcnt(0)
	global_store_dwordx4 v[4:5], v[12:15], off offset:-8
	v_add_co_u32 v4, s1, 0x800, v4
	v_add_co_ci_u32_e64 v5, null, 0, v5, s1
	v_add_co_u32 v6, s1, 0x400, v6
	v_add_co_ci_u32_e64 v7, null, 0, v7, s1
	s_andn2_b32 exec_lo, exec_lo, s4
	s_cbranch_execnz .LBB170_4
.LBB170_5:
	s_endpgm
	.section	.rodata,"a",@progbits
	.p2align	6, 0x0
	.amdhsa_kernel _ZN9rocsparseL32bsr2csr_block_per_row_2_7_kernelILj256ELj2E21rocsparse_complex_numIfEliEEv20rocsparse_direction_T3_S4_21rocsparse_index_base_PKT1_PKT2_PKS4_S4_S5_PS6_PS9_PS4_
		.amdhsa_group_segment_fixed_size 0
		.amdhsa_private_segment_fixed_size 0
		.amdhsa_kernarg_size 72
		.amdhsa_user_sgpr_count 6
		.amdhsa_user_sgpr_private_segment_buffer 1
		.amdhsa_user_sgpr_dispatch_ptr 0
		.amdhsa_user_sgpr_queue_ptr 0
		.amdhsa_user_sgpr_kernarg_segment_ptr 1
		.amdhsa_user_sgpr_dispatch_id 0
		.amdhsa_user_sgpr_flat_scratch_init 0
		.amdhsa_user_sgpr_private_segment_size 0
		.amdhsa_wavefront_size32 1
		.amdhsa_uses_dynamic_stack 0
		.amdhsa_system_sgpr_private_segment_wavefront_offset 0
		.amdhsa_system_sgpr_workgroup_id_x 1
		.amdhsa_system_sgpr_workgroup_id_y 0
		.amdhsa_system_sgpr_workgroup_id_z 0
		.amdhsa_system_sgpr_workgroup_info 0
		.amdhsa_system_vgpr_workitem_id 0
		.amdhsa_next_free_vgpr 21
		.amdhsa_next_free_sgpr 18
		.amdhsa_reserve_vcc 1
		.amdhsa_reserve_flat_scratch 0
		.amdhsa_float_round_mode_32 0
		.amdhsa_float_round_mode_16_64 0
		.amdhsa_float_denorm_mode_32 3
		.amdhsa_float_denorm_mode_16_64 3
		.amdhsa_dx10_clamp 1
		.amdhsa_ieee_mode 1
		.amdhsa_fp16_overflow 0
		.amdhsa_workgroup_processor_mode 1
		.amdhsa_memory_ordered 1
		.amdhsa_forward_progress 1
		.amdhsa_shared_vgpr_count 0
		.amdhsa_exception_fp_ieee_invalid_op 0
		.amdhsa_exception_fp_denorm_src 0
		.amdhsa_exception_fp_ieee_div_zero 0
		.amdhsa_exception_fp_ieee_overflow 0
		.amdhsa_exception_fp_ieee_underflow 0
		.amdhsa_exception_fp_ieee_inexact 0
		.amdhsa_exception_int_div_zero 0
	.end_amdhsa_kernel
	.section	.text._ZN9rocsparseL32bsr2csr_block_per_row_2_7_kernelILj256ELj2E21rocsparse_complex_numIfEliEEv20rocsparse_direction_T3_S4_21rocsparse_index_base_PKT1_PKT2_PKS4_S4_S5_PS6_PS9_PS4_,"axG",@progbits,_ZN9rocsparseL32bsr2csr_block_per_row_2_7_kernelILj256ELj2E21rocsparse_complex_numIfEliEEv20rocsparse_direction_T3_S4_21rocsparse_index_base_PKT1_PKT2_PKS4_S4_S5_PS6_PS9_PS4_,comdat
.Lfunc_end170:
	.size	_ZN9rocsparseL32bsr2csr_block_per_row_2_7_kernelILj256ELj2E21rocsparse_complex_numIfEliEEv20rocsparse_direction_T3_S4_21rocsparse_index_base_PKT1_PKT2_PKS4_S4_S5_PS6_PS9_PS4_, .Lfunc_end170-_ZN9rocsparseL32bsr2csr_block_per_row_2_7_kernelILj256ELj2E21rocsparse_complex_numIfEliEEv20rocsparse_direction_T3_S4_21rocsparse_index_base_PKT1_PKT2_PKS4_S4_S5_PS6_PS9_PS4_
                                        ; -- End function
	.set _ZN9rocsparseL32bsr2csr_block_per_row_2_7_kernelILj256ELj2E21rocsparse_complex_numIfEliEEv20rocsparse_direction_T3_S4_21rocsparse_index_base_PKT1_PKT2_PKS4_S4_S5_PS6_PS9_PS4_.num_vgpr, 21
	.set _ZN9rocsparseL32bsr2csr_block_per_row_2_7_kernelILj256ELj2E21rocsparse_complex_numIfEliEEv20rocsparse_direction_T3_S4_21rocsparse_index_base_PKT1_PKT2_PKS4_S4_S5_PS6_PS9_PS4_.num_agpr, 0
	.set _ZN9rocsparseL32bsr2csr_block_per_row_2_7_kernelILj256ELj2E21rocsparse_complex_numIfEliEEv20rocsparse_direction_T3_S4_21rocsparse_index_base_PKT1_PKT2_PKS4_S4_S5_PS6_PS9_PS4_.numbered_sgpr, 18
	.set _ZN9rocsparseL32bsr2csr_block_per_row_2_7_kernelILj256ELj2E21rocsparse_complex_numIfEliEEv20rocsparse_direction_T3_S4_21rocsparse_index_base_PKT1_PKT2_PKS4_S4_S5_PS6_PS9_PS4_.num_named_barrier, 0
	.set _ZN9rocsparseL32bsr2csr_block_per_row_2_7_kernelILj256ELj2E21rocsparse_complex_numIfEliEEv20rocsparse_direction_T3_S4_21rocsparse_index_base_PKT1_PKT2_PKS4_S4_S5_PS6_PS9_PS4_.private_seg_size, 0
	.set _ZN9rocsparseL32bsr2csr_block_per_row_2_7_kernelILj256ELj2E21rocsparse_complex_numIfEliEEv20rocsparse_direction_T3_S4_21rocsparse_index_base_PKT1_PKT2_PKS4_S4_S5_PS6_PS9_PS4_.uses_vcc, 1
	.set _ZN9rocsparseL32bsr2csr_block_per_row_2_7_kernelILj256ELj2E21rocsparse_complex_numIfEliEEv20rocsparse_direction_T3_S4_21rocsparse_index_base_PKT1_PKT2_PKS4_S4_S5_PS6_PS9_PS4_.uses_flat_scratch, 0
	.set _ZN9rocsparseL32bsr2csr_block_per_row_2_7_kernelILj256ELj2E21rocsparse_complex_numIfEliEEv20rocsparse_direction_T3_S4_21rocsparse_index_base_PKT1_PKT2_PKS4_S4_S5_PS6_PS9_PS4_.has_dyn_sized_stack, 0
	.set _ZN9rocsparseL32bsr2csr_block_per_row_2_7_kernelILj256ELj2E21rocsparse_complex_numIfEliEEv20rocsparse_direction_T3_S4_21rocsparse_index_base_PKT1_PKT2_PKS4_S4_S5_PS6_PS9_PS4_.has_recursion, 0
	.set _ZN9rocsparseL32bsr2csr_block_per_row_2_7_kernelILj256ELj2E21rocsparse_complex_numIfEliEEv20rocsparse_direction_T3_S4_21rocsparse_index_base_PKT1_PKT2_PKS4_S4_S5_PS6_PS9_PS4_.has_indirect_call, 0
	.section	.AMDGPU.csdata,"",@progbits
; Kernel info:
; codeLenInByte = 812
; TotalNumSgprs: 20
; NumVgprs: 21
; ScratchSize: 0
; MemoryBound: 0
; FloatMode: 240
; IeeeMode: 1
; LDSByteSize: 0 bytes/workgroup (compile time only)
; SGPRBlocks: 0
; VGPRBlocks: 2
; NumSGPRsForWavesPerEU: 20
; NumVGPRsForWavesPerEU: 21
; Occupancy: 16
; WaveLimiterHint : 0
; COMPUTE_PGM_RSRC2:SCRATCH_EN: 0
; COMPUTE_PGM_RSRC2:USER_SGPR: 6
; COMPUTE_PGM_RSRC2:TRAP_HANDLER: 0
; COMPUTE_PGM_RSRC2:TGID_X_EN: 1
; COMPUTE_PGM_RSRC2:TGID_Y_EN: 0
; COMPUTE_PGM_RSRC2:TGID_Z_EN: 0
; COMPUTE_PGM_RSRC2:TIDIG_COMP_CNT: 0
	.section	.text._ZN9rocsparseL32bsr2csr_block_per_row_2_7_kernelILj256ELj3E21rocsparse_complex_numIfEliEEv20rocsparse_direction_T3_S4_21rocsparse_index_base_PKT1_PKT2_PKS4_S4_S5_PS6_PS9_PS4_,"axG",@progbits,_ZN9rocsparseL32bsr2csr_block_per_row_2_7_kernelILj256ELj3E21rocsparse_complex_numIfEliEEv20rocsparse_direction_T3_S4_21rocsparse_index_base_PKT1_PKT2_PKS4_S4_S5_PS6_PS9_PS4_,comdat
	.globl	_ZN9rocsparseL32bsr2csr_block_per_row_2_7_kernelILj256ELj3E21rocsparse_complex_numIfEliEEv20rocsparse_direction_T3_S4_21rocsparse_index_base_PKT1_PKT2_PKS4_S4_S5_PS6_PS9_PS4_ ; -- Begin function _ZN9rocsparseL32bsr2csr_block_per_row_2_7_kernelILj256ELj3E21rocsparse_complex_numIfEliEEv20rocsparse_direction_T3_S4_21rocsparse_index_base_PKT1_PKT2_PKS4_S4_S5_PS6_PS9_PS4_
	.p2align	8
	.type	_ZN9rocsparseL32bsr2csr_block_per_row_2_7_kernelILj256ELj3E21rocsparse_complex_numIfEliEEv20rocsparse_direction_T3_S4_21rocsparse_index_base_PKT1_PKT2_PKS4_S4_S5_PS6_PS9_PS4_,@function
_ZN9rocsparseL32bsr2csr_block_per_row_2_7_kernelILj256ELj3E21rocsparse_complex_numIfEliEEv20rocsparse_direction_T3_S4_21rocsparse_index_base_PKT1_PKT2_PKS4_S4_S5_PS6_PS9_PS4_: ; @_ZN9rocsparseL32bsr2csr_block_per_row_2_7_kernelILj256ELj3E21rocsparse_complex_numIfEliEEv20rocsparse_direction_T3_S4_21rocsparse_index_base_PKT1_PKT2_PKS4_S4_S5_PS6_PS9_PS4_
; %bb.0:
	s_clause 0x2
	s_load_dwordx2 s[0:1], s[4:5], 0x18
	s_load_dword s8, s[4:5], 0x2c
	s_load_dwordx2 s[10:11], s[4:5], 0x38
	s_ashr_i32 s7, s6, 31
	v_or_b32_e32 v1, s6, v0
	s_lshl_b64 s[2:3], s[6:7], 3
	s_waitcnt lgkmcnt(0)
	s_add_u32 s0, s0, s2
	s_addc_u32 s1, s1, s3
	s_mov_b32 s2, exec_lo
	v_cmpx_eq_u32_e32 0, v1
	s_cbranch_execz .LBB171_2
; %bb.1:
	v_mov_b32_e32 v1, s8
	v_mov_b32_e32 v2, 0
	global_store_dwordx2 v2, v[1:2], s[10:11]
.LBB171_2:
	s_or_b32 exec_lo, exec_lo, s2
	v_and_b32_e32 v4, 3, v0
	s_mov_b32 s2, exec_lo
	v_cmpx_ne_u32_e32 3, v4
	s_cbranch_execz .LBB171_6
; %bb.3:
	s_load_dwordx4 s[0:3], s[0:1], 0x0
	s_load_dword s7, s[4:5], 0xc
	s_mul_i32 s6, s6, 3
	v_mov_b32_e32 v2, 0
	v_add3_u32 v1, v4, s6, 1
	v_lshrrev_b32_e32 v5, 2, v0
	v_lshlrev_b64 v[6:7], 3, v[1:2]
	v_add_co_u32 v6, vcc_lo, s10, v6
	v_add_co_ci_u32_e64 v7, null, s11, v7, vcc_lo
	s_waitcnt lgkmcnt(0)
	s_sub_u32 s6, s0, s7
	s_subb_u32 s9, s1, 0
	s_mul_hi_u32 s12, s6, 9
	s_mul_i32 s13, s9, 9
	s_sub_u32 s2, s2, s7
	s_subb_u32 s3, s3, 0
	s_add_i32 s12, s12, s13
	s_sub_u32 s13, s2, s6
	s_subb_u32 s11, s3, s9
	s_mul_i32 s14, s13, 3
	s_mul_hi_u32 s13, s13, 3
	v_mad_u64_u32 v[2:3], null, s14, v4, 0
	s_mul_i32 s11, s11, 3
	s_mul_i32 s10, s6, 9
	s_add_i32 s13, s13, s11
	v_add_co_u32 v0, s6, s6, v5
	v_add_co_ci_u32_e64 v1, null, s9, 0, s6
	v_mad_u64_u32 v[8:9], null, s13, v4, v[3:4]
	s_add_u32 s6, s14, s8
	s_addc_u32 s9, s13, 0
	s_add_u32 s6, s6, s10
	s_addc_u32 s9, s9, s12
	v_add_co_u32 v9, vcc_lo, s6, v2
	v_add_co_ci_u32_e64 v10, null, s9, v8, vcc_lo
	v_cmp_gt_i64_e32 vcc_lo, s[2:3], v[0:1]
	v_mov_b32_e32 v3, v8
	s_mov_b32 s6, 0
	global_store_dwordx2 v[6:7], v[9:10], off
	s_and_b32 exec_lo, exec_lo, vcc_lo
	s_cbranch_execz .LBB171_6
; %bb.4:
	v_mad_u64_u32 v[6:7], null, s0, 9, v[2:3]
	s_clause 0x1
	s_load_dwordx2 s[10:11], s[4:5], 0x30
	s_load_dwordx2 s[12:13], s[4:5], 0x10
	v_mul_u32_u24_e32 v13, 3, v4
	v_lshlrev_b32_e32 v9, 3, v4
	v_mov_b32_e32 v2, v7
	v_mad_u64_u32 v[2:3], null, s1, 9, v[2:3]
	s_clause 0x2
	s_load_dwordx2 s[0:1], s[4:5], 0x20
	s_load_dword s9, s[4:5], 0x0
	s_load_dwordx2 s[4:5], s[4:5], 0x40
	v_mov_b32_e32 v7, v2
	s_waitcnt lgkmcnt(0)
	v_mad_u64_u32 v[2:3], null, 0x48, v0, s[12:13]
	s_mul_i32 s13, s7, 9
	s_mul_hi_u32 s12, s7, 9
	v_mad_u64_u32 v[5:6], null, v5, 3, v[6:7]
	v_lshlrev_b64 v[7:8], 2, v[0:1]
	v_mad_u64_u32 v[10:11], null, 0x48, v1, v[3:4]
	v_sub_co_u32 v5, vcc_lo, v5, s13
	v_subrev_co_ci_u32_e64 v6, null, s12, v6, vcc_lo
	v_add_co_u32 v3, vcc_lo, s0, v7
	v_add_co_ci_u32_e64 v4, null, s1, v8, vcc_lo
	v_lshlrev_b64 v[11:12], 3, v[5:6]
	v_lshlrev_b64 v[5:6], 2, v[5:6]
	s_cmp_eq_u32 s9, 0
	v_add_co_u32 v7, vcc_lo, s10, v11
	v_add_co_ci_u32_e64 v8, null, s11, v12, vcc_lo
	v_add_co_u32 v11, vcc_lo, s4, v5
	v_add_co_ci_u32_e64 v12, null, s5, v6, vcc_lo
	;; [unrolled: 2-line block ×4, first 2 shown]
	v_lshlrev_b32_e32 v11, 3, v13
	s_cselect_b32 vcc_lo, -1, 0
.LBB171_5:                              ; =>This Inner Loop Header: Depth=1
	v_add_co_u32 v12, s0, v2, v11
	v_add_co_ci_u32_e64 v13, null, 0, v10, s0
	v_add_co_u32 v14, s0, v2, v9
	v_add_co_ci_u32_e64 v15, null, 0, v10, s0
	global_load_dword v18, v[3:4], off
	v_add_co_u32 v16, s0, v12, 8
	v_add_co_ci_u32_e64 v17, null, 0, v13, s0
	v_add_co_u32 v19, s0, v14, 24
	v_add_co_ci_u32_e64 v20, null, 0, v15, s0
	;; [unrolled: 2-line block ×4, first 2 shown]
	v_cndmask_b32_e32 v13, v15, v13, vcc_lo
	v_cndmask_b32_e32 v12, v14, v12, vcc_lo
	;; [unrolled: 1-line block ×6, first 2 shown]
	global_load_dwordx2 v[12:13], v[12:13], off
	global_load_dwordx2 v[14:15], v[14:15], off
	;; [unrolled: 1-line block ×3, first 2 shown]
	v_add_co_u32 v0, s0, v0, 64
	v_add_co_ci_u32_e64 v1, null, 0, v1, s0
	v_add_co_u32 v3, s0, 0x100, v3
	v_add_co_ci_u32_e64 v4, null, 0, v4, s0
	;; [unrolled: 2-line block ×3, first 2 shown]
	v_cmp_le_i64_e64 s0, s[2:3], v[0:1]
	s_waitcnt vmcnt(1)
	global_store_dwordx4 v[5:6], v[12:15], off offset:-8
	s_waitcnt vmcnt(0)
	global_store_dwordx2 v[5:6], v[19:20], off offset:8
	v_subrev_nc_u32_e32 v16, s7, v18
	v_add_co_u32 v5, s1, 0x600, v5
	v_add_co_ci_u32_e64 v6, null, 0, v6, s1
	v_mad_u64_u32 v[16:17], null, v16, 3, s[8:9]
	s_or_b32 s6, s0, s6
	v_add_nc_u32_e32 v17, 1, v16
	v_add_nc_u32_e32 v18, 2, v16
	global_store_dwordx3 v[7:8], v[16:18], off offset:-4
	v_add_co_u32 v7, s1, 0x300, v7
	v_add_co_ci_u32_e64 v8, null, 0, v8, s1
	s_andn2_b32 exec_lo, exec_lo, s6
	s_cbranch_execnz .LBB171_5
.LBB171_6:
	s_endpgm
	.section	.rodata,"a",@progbits
	.p2align	6, 0x0
	.amdhsa_kernel _ZN9rocsparseL32bsr2csr_block_per_row_2_7_kernelILj256ELj3E21rocsparse_complex_numIfEliEEv20rocsparse_direction_T3_S4_21rocsparse_index_base_PKT1_PKT2_PKS4_S4_S5_PS6_PS9_PS4_
		.amdhsa_group_segment_fixed_size 0
		.amdhsa_private_segment_fixed_size 0
		.amdhsa_kernarg_size 72
		.amdhsa_user_sgpr_count 6
		.amdhsa_user_sgpr_private_segment_buffer 1
		.amdhsa_user_sgpr_dispatch_ptr 0
		.amdhsa_user_sgpr_queue_ptr 0
		.amdhsa_user_sgpr_kernarg_segment_ptr 1
		.amdhsa_user_sgpr_dispatch_id 0
		.amdhsa_user_sgpr_flat_scratch_init 0
		.amdhsa_user_sgpr_private_segment_size 0
		.amdhsa_wavefront_size32 1
		.amdhsa_uses_dynamic_stack 0
		.amdhsa_system_sgpr_private_segment_wavefront_offset 0
		.amdhsa_system_sgpr_workgroup_id_x 1
		.amdhsa_system_sgpr_workgroup_id_y 0
		.amdhsa_system_sgpr_workgroup_id_z 0
		.amdhsa_system_sgpr_workgroup_info 0
		.amdhsa_system_vgpr_workitem_id 0
		.amdhsa_next_free_vgpr 25
		.amdhsa_next_free_sgpr 15
		.amdhsa_reserve_vcc 1
		.amdhsa_reserve_flat_scratch 0
		.amdhsa_float_round_mode_32 0
		.amdhsa_float_round_mode_16_64 0
		.amdhsa_float_denorm_mode_32 3
		.amdhsa_float_denorm_mode_16_64 3
		.amdhsa_dx10_clamp 1
		.amdhsa_ieee_mode 1
		.amdhsa_fp16_overflow 0
		.amdhsa_workgroup_processor_mode 1
		.amdhsa_memory_ordered 1
		.amdhsa_forward_progress 1
		.amdhsa_shared_vgpr_count 0
		.amdhsa_exception_fp_ieee_invalid_op 0
		.amdhsa_exception_fp_denorm_src 0
		.amdhsa_exception_fp_ieee_div_zero 0
		.amdhsa_exception_fp_ieee_overflow 0
		.amdhsa_exception_fp_ieee_underflow 0
		.amdhsa_exception_fp_ieee_inexact 0
		.amdhsa_exception_int_div_zero 0
	.end_amdhsa_kernel
	.section	.text._ZN9rocsparseL32bsr2csr_block_per_row_2_7_kernelILj256ELj3E21rocsparse_complex_numIfEliEEv20rocsparse_direction_T3_S4_21rocsparse_index_base_PKT1_PKT2_PKS4_S4_S5_PS6_PS9_PS4_,"axG",@progbits,_ZN9rocsparseL32bsr2csr_block_per_row_2_7_kernelILj256ELj3E21rocsparse_complex_numIfEliEEv20rocsparse_direction_T3_S4_21rocsparse_index_base_PKT1_PKT2_PKS4_S4_S5_PS6_PS9_PS4_,comdat
.Lfunc_end171:
	.size	_ZN9rocsparseL32bsr2csr_block_per_row_2_7_kernelILj256ELj3E21rocsparse_complex_numIfEliEEv20rocsparse_direction_T3_S4_21rocsparse_index_base_PKT1_PKT2_PKS4_S4_S5_PS6_PS9_PS4_, .Lfunc_end171-_ZN9rocsparseL32bsr2csr_block_per_row_2_7_kernelILj256ELj3E21rocsparse_complex_numIfEliEEv20rocsparse_direction_T3_S4_21rocsparse_index_base_PKT1_PKT2_PKS4_S4_S5_PS6_PS9_PS4_
                                        ; -- End function
	.set _ZN9rocsparseL32bsr2csr_block_per_row_2_7_kernelILj256ELj3E21rocsparse_complex_numIfEliEEv20rocsparse_direction_T3_S4_21rocsparse_index_base_PKT1_PKT2_PKS4_S4_S5_PS6_PS9_PS4_.num_vgpr, 25
	.set _ZN9rocsparseL32bsr2csr_block_per_row_2_7_kernelILj256ELj3E21rocsparse_complex_numIfEliEEv20rocsparse_direction_T3_S4_21rocsparse_index_base_PKT1_PKT2_PKS4_S4_S5_PS6_PS9_PS4_.num_agpr, 0
	.set _ZN9rocsparseL32bsr2csr_block_per_row_2_7_kernelILj256ELj3E21rocsparse_complex_numIfEliEEv20rocsparse_direction_T3_S4_21rocsparse_index_base_PKT1_PKT2_PKS4_S4_S5_PS6_PS9_PS4_.numbered_sgpr, 15
	.set _ZN9rocsparseL32bsr2csr_block_per_row_2_7_kernelILj256ELj3E21rocsparse_complex_numIfEliEEv20rocsparse_direction_T3_S4_21rocsparse_index_base_PKT1_PKT2_PKS4_S4_S5_PS6_PS9_PS4_.num_named_barrier, 0
	.set _ZN9rocsparseL32bsr2csr_block_per_row_2_7_kernelILj256ELj3E21rocsparse_complex_numIfEliEEv20rocsparse_direction_T3_S4_21rocsparse_index_base_PKT1_PKT2_PKS4_S4_S5_PS6_PS9_PS4_.private_seg_size, 0
	.set _ZN9rocsparseL32bsr2csr_block_per_row_2_7_kernelILj256ELj3E21rocsparse_complex_numIfEliEEv20rocsparse_direction_T3_S4_21rocsparse_index_base_PKT1_PKT2_PKS4_S4_S5_PS6_PS9_PS4_.uses_vcc, 1
	.set _ZN9rocsparseL32bsr2csr_block_per_row_2_7_kernelILj256ELj3E21rocsparse_complex_numIfEliEEv20rocsparse_direction_T3_S4_21rocsparse_index_base_PKT1_PKT2_PKS4_S4_S5_PS6_PS9_PS4_.uses_flat_scratch, 0
	.set _ZN9rocsparseL32bsr2csr_block_per_row_2_7_kernelILj256ELj3E21rocsparse_complex_numIfEliEEv20rocsparse_direction_T3_S4_21rocsparse_index_base_PKT1_PKT2_PKS4_S4_S5_PS6_PS9_PS4_.has_dyn_sized_stack, 0
	.set _ZN9rocsparseL32bsr2csr_block_per_row_2_7_kernelILj256ELj3E21rocsparse_complex_numIfEliEEv20rocsparse_direction_T3_S4_21rocsparse_index_base_PKT1_PKT2_PKS4_S4_S5_PS6_PS9_PS4_.has_recursion, 0
	.set _ZN9rocsparseL32bsr2csr_block_per_row_2_7_kernelILj256ELj3E21rocsparse_complex_numIfEliEEv20rocsparse_direction_T3_S4_21rocsparse_index_base_PKT1_PKT2_PKS4_S4_S5_PS6_PS9_PS4_.has_indirect_call, 0
	.section	.AMDGPU.csdata,"",@progbits
; Kernel info:
; codeLenInByte = 892
; TotalNumSgprs: 17
; NumVgprs: 25
; ScratchSize: 0
; MemoryBound: 0
; FloatMode: 240
; IeeeMode: 1
; LDSByteSize: 0 bytes/workgroup (compile time only)
; SGPRBlocks: 0
; VGPRBlocks: 3
; NumSGPRsForWavesPerEU: 17
; NumVGPRsForWavesPerEU: 25
; Occupancy: 16
; WaveLimiterHint : 0
; COMPUTE_PGM_RSRC2:SCRATCH_EN: 0
; COMPUTE_PGM_RSRC2:USER_SGPR: 6
; COMPUTE_PGM_RSRC2:TRAP_HANDLER: 0
; COMPUTE_PGM_RSRC2:TGID_X_EN: 1
; COMPUTE_PGM_RSRC2:TGID_Y_EN: 0
; COMPUTE_PGM_RSRC2:TGID_Z_EN: 0
; COMPUTE_PGM_RSRC2:TIDIG_COMP_CNT: 0
	.section	.text._ZN9rocsparseL32bsr2csr_block_per_row_2_7_kernelILj256ELj4E21rocsparse_complex_numIfEliEEv20rocsparse_direction_T3_S4_21rocsparse_index_base_PKT1_PKT2_PKS4_S4_S5_PS6_PS9_PS4_,"axG",@progbits,_ZN9rocsparseL32bsr2csr_block_per_row_2_7_kernelILj256ELj4E21rocsparse_complex_numIfEliEEv20rocsparse_direction_T3_S4_21rocsparse_index_base_PKT1_PKT2_PKS4_S4_S5_PS6_PS9_PS4_,comdat
	.globl	_ZN9rocsparseL32bsr2csr_block_per_row_2_7_kernelILj256ELj4E21rocsparse_complex_numIfEliEEv20rocsparse_direction_T3_S4_21rocsparse_index_base_PKT1_PKT2_PKS4_S4_S5_PS6_PS9_PS4_ ; -- Begin function _ZN9rocsparseL32bsr2csr_block_per_row_2_7_kernelILj256ELj4E21rocsparse_complex_numIfEliEEv20rocsparse_direction_T3_S4_21rocsparse_index_base_PKT1_PKT2_PKS4_S4_S5_PS6_PS9_PS4_
	.p2align	8
	.type	_ZN9rocsparseL32bsr2csr_block_per_row_2_7_kernelILj256ELj4E21rocsparse_complex_numIfEliEEv20rocsparse_direction_T3_S4_21rocsparse_index_base_PKT1_PKT2_PKS4_S4_S5_PS6_PS9_PS4_,@function
_ZN9rocsparseL32bsr2csr_block_per_row_2_7_kernelILj256ELj4E21rocsparse_complex_numIfEliEEv20rocsparse_direction_T3_S4_21rocsparse_index_base_PKT1_PKT2_PKS4_S4_S5_PS6_PS9_PS4_: ; @_ZN9rocsparseL32bsr2csr_block_per_row_2_7_kernelILj256ELj4E21rocsparse_complex_numIfEliEEv20rocsparse_direction_T3_S4_21rocsparse_index_base_PKT1_PKT2_PKS4_S4_S5_PS6_PS9_PS4_
; %bb.0:
	s_load_dwordx2 s[0:1], s[4:5], 0x18
	s_ashr_i32 s7, s6, 31
	s_clause 0x1
	s_load_dword s8, s[4:5], 0x2c
	s_load_dwordx2 s[12:13], s[4:5], 0x38
	s_lshl_b64 s[2:3], s[6:7], 3
	v_or_b32_e32 v1, s6, v0
	s_mov_b32 s11, 0
	s_mov_b32 s7, exec_lo
	s_waitcnt lgkmcnt(0)
	s_add_u32 s0, s0, s2
	s_addc_u32 s1, s1, s3
	s_load_dwordx4 s[0:3], s[0:1], 0x0
	v_cmpx_eq_u32_e32 0, v1
	s_cbranch_execz .LBB172_2
; %bb.1:
	s_mov_b32 s9, s11
	v_mov_b32_e32 v1, s8
	v_mov_b32_e32 v3, 0
	;; [unrolled: 1-line block ×3, first 2 shown]
	global_store_dwordx2 v3, v[1:2], s[12:13]
.LBB172_2:
	s_or_b32 exec_lo, exec_lo, s7
	s_load_dword s10, s[4:5], 0xc
	v_and_b32_e32 v4, 3, v0
	v_mov_b32_e32 v2, 0
	v_lshrrev_b32_e32 v5, 2, v0
	v_lshl_or_b32 v1, s6, 2, v4
	v_add_nc_u32_e32 v1, 1, v1
	v_lshlrev_b64 v[6:7], 3, v[1:2]
	s_waitcnt lgkmcnt(0)
	s_sub_u32 s6, s0, s10
	s_subb_u32 s7, s1, 0
	s_sub_u32 s2, s2, s10
	s_subb_u32 s3, s3, 0
	s_lshl_b64 s[14:15], s[6:7], 4
	s_sub_u32 s16, s2, s6
	s_subb_u32 s17, s3, s7
	v_add_co_u32 v0, s6, s6, v5
	s_lshl_b64 s[18:19], s[16:17], 2
	v_add_co_ci_u32_e64 v1, null, s7, 0, s6
	v_mad_u64_u32 v[2:3], null, s18, v4, 0
	s_lshr_b64 s[6:7], s[16:17], 30
	v_add_co_u32 v6, vcc_lo, s12, v6
	v_add_co_ci_u32_e64 v7, null, s13, v7, vcc_lo
	v_mad_u64_u32 v[8:9], null, s6, v4, v[3:4]
	s_add_u32 s6, s18, s8
	s_addc_u32 s7, s19, 0
	s_add_u32 s6, s6, s14
	s_addc_u32 s7, s7, s15
	v_add_co_u32 v9, vcc_lo, s6, v2
	v_add_co_ci_u32_e64 v10, null, s7, v8, vcc_lo
	v_mov_b32_e32 v3, v8
	s_mov_b32 s6, exec_lo
	global_store_dwordx2 v[6:7], v[9:10], off
	v_cmpx_gt_i64_e64 s[2:3], v[0:1]
	s_cbranch_execz .LBB172_5
; %bb.3:
	s_clause 0x4
	s_load_dwordx2 s[6:7], s[4:5], 0x20
	s_load_dwordx2 s[12:13], s[4:5], 0x30
	s_load_dword s9, s[4:5], 0x0
	s_load_dwordx2 s[14:15], s[4:5], 0x10
	s_load_dwordx2 s[4:5], s[4:5], 0x40
	v_lshlrev_b32_e32 v5, 2, v5
	v_lshlrev_b64 v[6:7], 2, v[0:1]
	v_lshlrev_b32_e32 v8, 3, v4
	v_lshlrev_b32_e32 v9, 5, v4
	v_lshlrev_b64 v[10:11], 7, v[0:1]
	s_waitcnt lgkmcnt(0)
	s_cmp_eq_u32 s9, 0
	s_cselect_b32 vcc_lo, -1, 0
	s_lshl_b64 s[0:1], s[0:1], 4
	v_add_co_u32 v2, s0, v2, s0
	v_add_co_ci_u32_e64 v3, null, s1, v3, s0
	v_add_co_u32 v2, s0, v2, v5
	v_add_co_ci_u32_e64 v3, null, 0, v3, s0
	s_lshl_b64 s[0:1], s[10:11], 4
	v_sub_co_u32 v4, s0, v2, s0
	v_subrev_co_ci_u32_e64 v5, null, s1, v3, s0
	v_add_co_u32 v2, s0, s6, v6
	v_add_co_ci_u32_e64 v3, null, s7, v7, s0
	v_lshlrev_b64 v[6:7], 3, v[4:5]
	v_lshlrev_b64 v[4:5], 2, v[4:5]
	v_add_co_u32 v10, s0, s14, v10
	v_add_co_ci_u32_e64 v11, null, s15, v11, s0
	v_add_co_u32 v6, s0, s12, v6
	v_add_co_ci_u32_e64 v7, null, s13, v7, s0
	v_add_co_u32 v12, s0, s4, v4
	v_add_co_ci_u32_e64 v13, null, s5, v5, s0
	v_add_co_u32 v4, s0, v6, 16
	v_add_co_ci_u32_e64 v5, null, 0, v7, s0
	v_add_co_u32 v6, s0, v12, 8
	v_add_co_ci_u32_e64 v7, null, 0, v13, s0
	s_mov_b32 s4, 0
.LBB172_4:                              ; =>This Inner Loop Header: Depth=1
	v_add_co_u32 v14, s0, v10, v8
	v_add_co_ci_u32_e64 v15, null, 0, v11, s0
	v_add_co_u32 v16, s0, v10, v9
	v_add_co_ci_u32_e64 v17, null, 0, v11, s0
	global_load_dword v20, v[2:3], off
	v_add_co_u32 v18, s0, v16, 8
	v_add_co_ci_u32_e64 v19, null, 0, v17, s0
	v_add_co_u32 v21, s0, v14, 32
	v_add_co_ci_u32_e64 v22, null, 0, v15, s0
	;; [unrolled: 2-line block ×6, first 2 shown]
	v_cndmask_b32_e32 v13, v15, v17, vcc_lo
	v_cndmask_b32_e32 v12, v14, v16, vcc_lo
	;; [unrolled: 1-line block ×8, first 2 shown]
	global_load_dwordx2 v[12:13], v[12:13], off
	global_load_dwordx2 v[14:15], v[14:15], off
	;; [unrolled: 1-line block ×4, first 2 shown]
	v_add_co_u32 v0, s0, v0, 64
	v_add_co_ci_u32_e64 v1, null, 0, v1, s0
	v_add_co_u32 v2, s0, 0x100, v2
	v_add_co_ci_u32_e64 v3, null, 0, v3, s0
	;; [unrolled: 2-line block ×3, first 2 shown]
	v_cmp_le_i64_e64 s0, s[2:3], v[0:1]
	s_or_b32 s4, s0, s4
	s_waitcnt vmcnt(4)
	v_subrev_nc_u32_e32 v20, s10, v20
	v_lshl_add_u32 v20, v20, 2, s8
	v_add_nc_u32_e32 v21, 1, v20
	v_add_nc_u32_e32 v22, 2, v20
	;; [unrolled: 1-line block ×3, first 2 shown]
	s_waitcnt vmcnt(2)
	global_store_dwordx4 v[4:5], v[12:15], off offset:-16
	global_store_dwordx4 v[6:7], v[20:23], off offset:-8
	s_waitcnt vmcnt(0)
	global_store_dwordx4 v[4:5], v[16:19], off
	v_add_co_u32 v4, s1, 0x800, v4
	v_add_co_ci_u32_e64 v5, null, 0, v5, s1
	v_add_co_u32 v6, s1, 0x400, v6
	v_add_co_ci_u32_e64 v7, null, 0, v7, s1
	s_andn2_b32 exec_lo, exec_lo, s4
	s_cbranch_execnz .LBB172_4
.LBB172_5:
	s_endpgm
	.section	.rodata,"a",@progbits
	.p2align	6, 0x0
	.amdhsa_kernel _ZN9rocsparseL32bsr2csr_block_per_row_2_7_kernelILj256ELj4E21rocsparse_complex_numIfEliEEv20rocsparse_direction_T3_S4_21rocsparse_index_base_PKT1_PKT2_PKS4_S4_S5_PS6_PS9_PS4_
		.amdhsa_group_segment_fixed_size 0
		.amdhsa_private_segment_fixed_size 0
		.amdhsa_kernarg_size 72
		.amdhsa_user_sgpr_count 6
		.amdhsa_user_sgpr_private_segment_buffer 1
		.amdhsa_user_sgpr_dispatch_ptr 0
		.amdhsa_user_sgpr_queue_ptr 0
		.amdhsa_user_sgpr_kernarg_segment_ptr 1
		.amdhsa_user_sgpr_dispatch_id 0
		.amdhsa_user_sgpr_flat_scratch_init 0
		.amdhsa_user_sgpr_private_segment_size 0
		.amdhsa_wavefront_size32 1
		.amdhsa_uses_dynamic_stack 0
		.amdhsa_system_sgpr_private_segment_wavefront_offset 0
		.amdhsa_system_sgpr_workgroup_id_x 1
		.amdhsa_system_sgpr_workgroup_id_y 0
		.amdhsa_system_sgpr_workgroup_id_z 0
		.amdhsa_system_sgpr_workgroup_info 0
		.amdhsa_system_vgpr_workitem_id 0
		.amdhsa_next_free_vgpr 31
		.amdhsa_next_free_sgpr 20
		.amdhsa_reserve_vcc 1
		.amdhsa_reserve_flat_scratch 0
		.amdhsa_float_round_mode_32 0
		.amdhsa_float_round_mode_16_64 0
		.amdhsa_float_denorm_mode_32 3
		.amdhsa_float_denorm_mode_16_64 3
		.amdhsa_dx10_clamp 1
		.amdhsa_ieee_mode 1
		.amdhsa_fp16_overflow 0
		.amdhsa_workgroup_processor_mode 1
		.amdhsa_memory_ordered 1
		.amdhsa_forward_progress 1
		.amdhsa_shared_vgpr_count 0
		.amdhsa_exception_fp_ieee_invalid_op 0
		.amdhsa_exception_fp_denorm_src 0
		.amdhsa_exception_fp_ieee_div_zero 0
		.amdhsa_exception_fp_ieee_overflow 0
		.amdhsa_exception_fp_ieee_underflow 0
		.amdhsa_exception_fp_ieee_inexact 0
		.amdhsa_exception_int_div_zero 0
	.end_amdhsa_kernel
	.section	.text._ZN9rocsparseL32bsr2csr_block_per_row_2_7_kernelILj256ELj4E21rocsparse_complex_numIfEliEEv20rocsparse_direction_T3_S4_21rocsparse_index_base_PKT1_PKT2_PKS4_S4_S5_PS6_PS9_PS4_,"axG",@progbits,_ZN9rocsparseL32bsr2csr_block_per_row_2_7_kernelILj256ELj4E21rocsparse_complex_numIfEliEEv20rocsparse_direction_T3_S4_21rocsparse_index_base_PKT1_PKT2_PKS4_S4_S5_PS6_PS9_PS4_,comdat
.Lfunc_end172:
	.size	_ZN9rocsparseL32bsr2csr_block_per_row_2_7_kernelILj256ELj4E21rocsparse_complex_numIfEliEEv20rocsparse_direction_T3_S4_21rocsparse_index_base_PKT1_PKT2_PKS4_S4_S5_PS6_PS9_PS4_, .Lfunc_end172-_ZN9rocsparseL32bsr2csr_block_per_row_2_7_kernelILj256ELj4E21rocsparse_complex_numIfEliEEv20rocsparse_direction_T3_S4_21rocsparse_index_base_PKT1_PKT2_PKS4_S4_S5_PS6_PS9_PS4_
                                        ; -- End function
	.set _ZN9rocsparseL32bsr2csr_block_per_row_2_7_kernelILj256ELj4E21rocsparse_complex_numIfEliEEv20rocsparse_direction_T3_S4_21rocsparse_index_base_PKT1_PKT2_PKS4_S4_S5_PS6_PS9_PS4_.num_vgpr, 31
	.set _ZN9rocsparseL32bsr2csr_block_per_row_2_7_kernelILj256ELj4E21rocsparse_complex_numIfEliEEv20rocsparse_direction_T3_S4_21rocsparse_index_base_PKT1_PKT2_PKS4_S4_S5_PS6_PS9_PS4_.num_agpr, 0
	.set _ZN9rocsparseL32bsr2csr_block_per_row_2_7_kernelILj256ELj4E21rocsparse_complex_numIfEliEEv20rocsparse_direction_T3_S4_21rocsparse_index_base_PKT1_PKT2_PKS4_S4_S5_PS6_PS9_PS4_.numbered_sgpr, 20
	.set _ZN9rocsparseL32bsr2csr_block_per_row_2_7_kernelILj256ELj4E21rocsparse_complex_numIfEliEEv20rocsparse_direction_T3_S4_21rocsparse_index_base_PKT1_PKT2_PKS4_S4_S5_PS6_PS9_PS4_.num_named_barrier, 0
	.set _ZN9rocsparseL32bsr2csr_block_per_row_2_7_kernelILj256ELj4E21rocsparse_complex_numIfEliEEv20rocsparse_direction_T3_S4_21rocsparse_index_base_PKT1_PKT2_PKS4_S4_S5_PS6_PS9_PS4_.private_seg_size, 0
	.set _ZN9rocsparseL32bsr2csr_block_per_row_2_7_kernelILj256ELj4E21rocsparse_complex_numIfEliEEv20rocsparse_direction_T3_S4_21rocsparse_index_base_PKT1_PKT2_PKS4_S4_S5_PS6_PS9_PS4_.uses_vcc, 1
	.set _ZN9rocsparseL32bsr2csr_block_per_row_2_7_kernelILj256ELj4E21rocsparse_complex_numIfEliEEv20rocsparse_direction_T3_S4_21rocsparse_index_base_PKT1_PKT2_PKS4_S4_S5_PS6_PS9_PS4_.uses_flat_scratch, 0
	.set _ZN9rocsparseL32bsr2csr_block_per_row_2_7_kernelILj256ELj4E21rocsparse_complex_numIfEliEEv20rocsparse_direction_T3_S4_21rocsparse_index_base_PKT1_PKT2_PKS4_S4_S5_PS6_PS9_PS4_.has_dyn_sized_stack, 0
	.set _ZN9rocsparseL32bsr2csr_block_per_row_2_7_kernelILj256ELj4E21rocsparse_complex_numIfEliEEv20rocsparse_direction_T3_S4_21rocsparse_index_base_PKT1_PKT2_PKS4_S4_S5_PS6_PS9_PS4_.has_recursion, 0
	.set _ZN9rocsparseL32bsr2csr_block_per_row_2_7_kernelILj256ELj4E21rocsparse_complex_numIfEliEEv20rocsparse_direction_T3_S4_21rocsparse_index_base_PKT1_PKT2_PKS4_S4_S5_PS6_PS9_PS4_.has_indirect_call, 0
	.section	.AMDGPU.csdata,"",@progbits
; Kernel info:
; codeLenInByte = 932
; TotalNumSgprs: 22
; NumVgprs: 31
; ScratchSize: 0
; MemoryBound: 0
; FloatMode: 240
; IeeeMode: 1
; LDSByteSize: 0 bytes/workgroup (compile time only)
; SGPRBlocks: 0
; VGPRBlocks: 3
; NumSGPRsForWavesPerEU: 22
; NumVGPRsForWavesPerEU: 31
; Occupancy: 16
; WaveLimiterHint : 0
; COMPUTE_PGM_RSRC2:SCRATCH_EN: 0
; COMPUTE_PGM_RSRC2:USER_SGPR: 6
; COMPUTE_PGM_RSRC2:TRAP_HANDLER: 0
; COMPUTE_PGM_RSRC2:TGID_X_EN: 1
; COMPUTE_PGM_RSRC2:TGID_Y_EN: 0
; COMPUTE_PGM_RSRC2:TGID_Z_EN: 0
; COMPUTE_PGM_RSRC2:TIDIG_COMP_CNT: 0
	.section	.text._ZN9rocsparseL32bsr2csr_block_per_row_2_7_kernelILj256ELj5E21rocsparse_complex_numIfEliEEv20rocsparse_direction_T3_S4_21rocsparse_index_base_PKT1_PKT2_PKS4_S4_S5_PS6_PS9_PS4_,"axG",@progbits,_ZN9rocsparseL32bsr2csr_block_per_row_2_7_kernelILj256ELj5E21rocsparse_complex_numIfEliEEv20rocsparse_direction_T3_S4_21rocsparse_index_base_PKT1_PKT2_PKS4_S4_S5_PS6_PS9_PS4_,comdat
	.globl	_ZN9rocsparseL32bsr2csr_block_per_row_2_7_kernelILj256ELj5E21rocsparse_complex_numIfEliEEv20rocsparse_direction_T3_S4_21rocsparse_index_base_PKT1_PKT2_PKS4_S4_S5_PS6_PS9_PS4_ ; -- Begin function _ZN9rocsparseL32bsr2csr_block_per_row_2_7_kernelILj256ELj5E21rocsparse_complex_numIfEliEEv20rocsparse_direction_T3_S4_21rocsparse_index_base_PKT1_PKT2_PKS4_S4_S5_PS6_PS9_PS4_
	.p2align	8
	.type	_ZN9rocsparseL32bsr2csr_block_per_row_2_7_kernelILj256ELj5E21rocsparse_complex_numIfEliEEv20rocsparse_direction_T3_S4_21rocsparse_index_base_PKT1_PKT2_PKS4_S4_S5_PS6_PS9_PS4_,@function
_ZN9rocsparseL32bsr2csr_block_per_row_2_7_kernelILj256ELj5E21rocsparse_complex_numIfEliEEv20rocsparse_direction_T3_S4_21rocsparse_index_base_PKT1_PKT2_PKS4_S4_S5_PS6_PS9_PS4_: ; @_ZN9rocsparseL32bsr2csr_block_per_row_2_7_kernelILj256ELj5E21rocsparse_complex_numIfEliEEv20rocsparse_direction_T3_S4_21rocsparse_index_base_PKT1_PKT2_PKS4_S4_S5_PS6_PS9_PS4_
; %bb.0:
	s_clause 0x2
	s_load_dwordx2 s[0:1], s[4:5], 0x18
	s_load_dword s8, s[4:5], 0x2c
	s_load_dwordx2 s[10:11], s[4:5], 0x38
	s_ashr_i32 s7, s6, 31
	v_or_b32_e32 v1, s6, v0
	s_lshl_b64 s[2:3], s[6:7], 3
	s_waitcnt lgkmcnt(0)
	s_add_u32 s0, s0, s2
	s_addc_u32 s1, s1, s3
	s_mov_b32 s2, exec_lo
	v_cmpx_eq_u32_e32 0, v1
	s_cbranch_execz .LBB173_2
; %bb.1:
	v_mov_b32_e32 v1, s8
	v_mov_b32_e32 v2, 0
	global_store_dwordx2 v2, v[1:2], s[10:11]
.LBB173_2:
	s_or_b32 exec_lo, exec_lo, s2
	v_and_b32_e32 v4, 7, v0
	s_mov_b32 s2, exec_lo
	v_cmpx_gt_u32_e32 5, v4
	s_cbranch_execz .LBB173_6
; %bb.3:
	s_load_dwordx4 s[0:3], s[0:1], 0x0
	s_load_dword s7, s[4:5], 0xc
	s_mul_i32 s6, s6, 5
	v_mov_b32_e32 v2, 0
	v_add3_u32 v1, v4, s6, 1
	v_lshrrev_b32_e32 v5, 3, v0
	v_lshlrev_b64 v[6:7], 3, v[1:2]
	v_add_co_u32 v6, vcc_lo, s10, v6
	v_add_co_ci_u32_e64 v7, null, s11, v7, vcc_lo
	s_waitcnt lgkmcnt(0)
	s_sub_u32 s6, s0, s7
	s_subb_u32 s9, s1, 0
	s_mul_hi_u32 s12, s6, 25
	s_mul_i32 s13, s9, 25
	s_sub_u32 s2, s2, s7
	s_subb_u32 s3, s3, 0
	s_add_i32 s12, s12, s13
	s_sub_u32 s13, s2, s6
	s_subb_u32 s11, s3, s9
	s_mul_i32 s14, s13, 5
	s_mul_hi_u32 s13, s13, 5
	v_mad_u64_u32 v[2:3], null, s14, v4, 0
	s_mul_i32 s11, s11, 5
	s_mul_i32 s10, s6, 25
	s_add_i32 s13, s13, s11
	v_add_co_u32 v0, s6, s6, v5
	v_add_co_ci_u32_e64 v1, null, s9, 0, s6
	v_mad_u64_u32 v[8:9], null, s13, v4, v[3:4]
	s_add_u32 s6, s14, s8
	s_addc_u32 s9, s13, 0
	s_add_u32 s6, s6, s10
	s_addc_u32 s9, s9, s12
	v_add_co_u32 v9, vcc_lo, s6, v2
	v_add_co_ci_u32_e64 v10, null, s9, v8, vcc_lo
	v_cmp_gt_i64_e32 vcc_lo, s[2:3], v[0:1]
	v_mov_b32_e32 v3, v8
	s_mov_b32 s6, 0
	global_store_dwordx2 v[6:7], v[9:10], off
	s_and_b32 exec_lo, exec_lo, vcc_lo
	s_cbranch_execz .LBB173_6
; %bb.4:
	v_mad_u64_u32 v[6:7], null, s0, 25, v[2:3]
	s_clause 0x1
	s_load_dwordx2 s[10:11], s[4:5], 0x30
	s_load_dwordx2 s[12:13], s[4:5], 0x10
	v_mul_u32_u24_e32 v10, 5, v4
	v_lshlrev_b32_e32 v9, 3, v4
	v_lshlrev_b32_e32 v10, 3, v10
	v_mov_b32_e32 v2, v7
	v_mad_u64_u32 v[2:3], null, s1, 25, v[2:3]
	s_clause 0x2
	s_load_dwordx2 s[0:1], s[4:5], 0x20
	s_load_dword s9, s[4:5], 0x0
	s_load_dwordx2 s[4:5], s[4:5], 0x40
	v_mov_b32_e32 v7, v2
	s_waitcnt lgkmcnt(0)
	v_mad_u64_u32 v[2:3], null, 0xc8, v0, s[12:13]
	s_mul_i32 s13, s7, 25
	s_mul_hi_u32 s12, s7, 25
	v_mad_u64_u32 v[5:6], null, v5, 5, v[6:7]
	v_lshlrev_b64 v[7:8], 2, v[0:1]
	v_mad_u64_u32 v[11:12], null, 0xc8, v1, v[3:4]
	v_sub_co_u32 v5, vcc_lo, v5, s13
	v_subrev_co_ci_u32_e64 v6, null, s12, v6, vcc_lo
	v_add_co_u32 v3, vcc_lo, s0, v7
	v_add_co_ci_u32_e64 v4, null, s1, v8, vcc_lo
	v_lshlrev_b64 v[12:13], 3, v[5:6]
	v_lshlrev_b64 v[5:6], 2, v[5:6]
	s_cmp_eq_u32 s9, 0
	v_add_co_u32 v7, vcc_lo, s10, v12
	v_add_co_ci_u32_e64 v8, null, s11, v13, vcc_lo
	v_add_co_u32 v12, vcc_lo, s4, v5
	v_add_co_ci_u32_e64 v13, null, s5, v6, vcc_lo
	;; [unrolled: 2-line block ×4, first 2 shown]
	s_cselect_b32 vcc_lo, -1, 0
.LBB173_5:                              ; =>This Inner Loop Header: Depth=1
	v_add_co_u32 v14, s0, v2, v9
	v_add_co_ci_u32_e64 v15, null, 0, v11, s0
	v_add_co_u32 v16, s0, v2, v10
	v_add_co_ci_u32_e64 v17, null, 0, v11, s0
	global_load_dword v22, v[3:4], off
	v_add_co_u32 v18, s0, v16, 8
	v_add_co_ci_u32_e64 v19, null, 0, v17, s0
	v_add_co_u32 v20, s0, v14, 40
	v_add_co_ci_u32_e64 v21, null, 0, v15, s0
	;; [unrolled: 2-line block ×8, first 2 shown]
	v_cndmask_b32_e32 v13, v15, v17, vcc_lo
	v_cndmask_b32_e32 v12, v14, v16, vcc_lo
	;; [unrolled: 1-line block ×10, first 2 shown]
	global_load_dwordx2 v[12:13], v[12:13], off
	global_load_dwordx2 v[14:15], v[14:15], off
	;; [unrolled: 1-line block ×5, first 2 shown]
	v_add_co_u32 v0, s0, v0, 32
	v_add_co_ci_u32_e64 v1, null, 0, v1, s0
	v_add_co_u32 v3, s0, 0x80, v3
	v_add_co_ci_u32_e64 v4, null, 0, v4, s0
	;; [unrolled: 2-line block ×3, first 2 shown]
	v_cmp_le_i64_e64 s0, s[2:3], v[0:1]
	s_waitcnt vmcnt(3)
	global_store_dwordx4 v[5:6], v[12:15], off offset:-16
	s_waitcnt vmcnt(1)
	global_store_dwordx4 v[5:6], v[16:19], off
	s_waitcnt vmcnt(0)
	global_store_dwordx2 v[5:6], v[24:25], off offset:16
	v_subrev_nc_u32_e32 v20, s7, v22
	v_add_co_u32 v5, s1, 0x500, v5
	v_add_co_ci_u32_e64 v6, null, 0, v6, s1
	v_mad_u64_u32 v[20:21], null, v20, 5, s[8:9]
	s_or_b32 s6, s0, s6
	v_add_nc_u32_e32 v21, 1, v20
	v_add_nc_u32_e32 v22, 2, v20
	;; [unrolled: 1-line block ×4, first 2 shown]
	global_store_dwordx4 v[7:8], v[20:23], off offset:-8
	global_store_dword v[7:8], v26, off offset:8
	v_add_co_u32 v7, s1, 0x280, v7
	v_add_co_ci_u32_e64 v8, null, 0, v8, s1
	s_andn2_b32 exec_lo, exec_lo, s6
	s_cbranch_execnz .LBB173_5
.LBB173_6:
	s_endpgm
	.section	.rodata,"a",@progbits
	.p2align	6, 0x0
	.amdhsa_kernel _ZN9rocsparseL32bsr2csr_block_per_row_2_7_kernelILj256ELj5E21rocsparse_complex_numIfEliEEv20rocsparse_direction_T3_S4_21rocsparse_index_base_PKT1_PKT2_PKS4_S4_S5_PS6_PS9_PS4_
		.amdhsa_group_segment_fixed_size 0
		.amdhsa_private_segment_fixed_size 0
		.amdhsa_kernarg_size 72
		.amdhsa_user_sgpr_count 6
		.amdhsa_user_sgpr_private_segment_buffer 1
		.amdhsa_user_sgpr_dispatch_ptr 0
		.amdhsa_user_sgpr_queue_ptr 0
		.amdhsa_user_sgpr_kernarg_segment_ptr 1
		.amdhsa_user_sgpr_dispatch_id 0
		.amdhsa_user_sgpr_flat_scratch_init 0
		.amdhsa_user_sgpr_private_segment_size 0
		.amdhsa_wavefront_size32 1
		.amdhsa_uses_dynamic_stack 0
		.amdhsa_system_sgpr_private_segment_wavefront_offset 0
		.amdhsa_system_sgpr_workgroup_id_x 1
		.amdhsa_system_sgpr_workgroup_id_y 0
		.amdhsa_system_sgpr_workgroup_id_z 0
		.amdhsa_system_sgpr_workgroup_info 0
		.amdhsa_system_vgpr_workitem_id 0
		.amdhsa_next_free_vgpr 35
		.amdhsa_next_free_sgpr 15
		.amdhsa_reserve_vcc 1
		.amdhsa_reserve_flat_scratch 0
		.amdhsa_float_round_mode_32 0
		.amdhsa_float_round_mode_16_64 0
		.amdhsa_float_denorm_mode_32 3
		.amdhsa_float_denorm_mode_16_64 3
		.amdhsa_dx10_clamp 1
		.amdhsa_ieee_mode 1
		.amdhsa_fp16_overflow 0
		.amdhsa_workgroup_processor_mode 1
		.amdhsa_memory_ordered 1
		.amdhsa_forward_progress 1
		.amdhsa_shared_vgpr_count 0
		.amdhsa_exception_fp_ieee_invalid_op 0
		.amdhsa_exception_fp_denorm_src 0
		.amdhsa_exception_fp_ieee_div_zero 0
		.amdhsa_exception_fp_ieee_overflow 0
		.amdhsa_exception_fp_ieee_underflow 0
		.amdhsa_exception_fp_ieee_inexact 0
		.amdhsa_exception_int_div_zero 0
	.end_amdhsa_kernel
	.section	.text._ZN9rocsparseL32bsr2csr_block_per_row_2_7_kernelILj256ELj5E21rocsparse_complex_numIfEliEEv20rocsparse_direction_T3_S4_21rocsparse_index_base_PKT1_PKT2_PKS4_S4_S5_PS6_PS9_PS4_,"axG",@progbits,_ZN9rocsparseL32bsr2csr_block_per_row_2_7_kernelILj256ELj5E21rocsparse_complex_numIfEliEEv20rocsparse_direction_T3_S4_21rocsparse_index_base_PKT1_PKT2_PKS4_S4_S5_PS6_PS9_PS4_,comdat
.Lfunc_end173:
	.size	_ZN9rocsparseL32bsr2csr_block_per_row_2_7_kernelILj256ELj5E21rocsparse_complex_numIfEliEEv20rocsparse_direction_T3_S4_21rocsparse_index_base_PKT1_PKT2_PKS4_S4_S5_PS6_PS9_PS4_, .Lfunc_end173-_ZN9rocsparseL32bsr2csr_block_per_row_2_7_kernelILj256ELj5E21rocsparse_complex_numIfEliEEv20rocsparse_direction_T3_S4_21rocsparse_index_base_PKT1_PKT2_PKS4_S4_S5_PS6_PS9_PS4_
                                        ; -- End function
	.set _ZN9rocsparseL32bsr2csr_block_per_row_2_7_kernelILj256ELj5E21rocsparse_complex_numIfEliEEv20rocsparse_direction_T3_S4_21rocsparse_index_base_PKT1_PKT2_PKS4_S4_S5_PS6_PS9_PS4_.num_vgpr, 35
	.set _ZN9rocsparseL32bsr2csr_block_per_row_2_7_kernelILj256ELj5E21rocsparse_complex_numIfEliEEv20rocsparse_direction_T3_S4_21rocsparse_index_base_PKT1_PKT2_PKS4_S4_S5_PS6_PS9_PS4_.num_agpr, 0
	.set _ZN9rocsparseL32bsr2csr_block_per_row_2_7_kernelILj256ELj5E21rocsparse_complex_numIfEliEEv20rocsparse_direction_T3_S4_21rocsparse_index_base_PKT1_PKT2_PKS4_S4_S5_PS6_PS9_PS4_.numbered_sgpr, 15
	.set _ZN9rocsparseL32bsr2csr_block_per_row_2_7_kernelILj256ELj5E21rocsparse_complex_numIfEliEEv20rocsparse_direction_T3_S4_21rocsparse_index_base_PKT1_PKT2_PKS4_S4_S5_PS6_PS9_PS4_.num_named_barrier, 0
	.set _ZN9rocsparseL32bsr2csr_block_per_row_2_7_kernelILj256ELj5E21rocsparse_complex_numIfEliEEv20rocsparse_direction_T3_S4_21rocsparse_index_base_PKT1_PKT2_PKS4_S4_S5_PS6_PS9_PS4_.private_seg_size, 0
	.set _ZN9rocsparseL32bsr2csr_block_per_row_2_7_kernelILj256ELj5E21rocsparse_complex_numIfEliEEv20rocsparse_direction_T3_S4_21rocsparse_index_base_PKT1_PKT2_PKS4_S4_S5_PS6_PS9_PS4_.uses_vcc, 1
	.set _ZN9rocsparseL32bsr2csr_block_per_row_2_7_kernelILj256ELj5E21rocsparse_complex_numIfEliEEv20rocsparse_direction_T3_S4_21rocsparse_index_base_PKT1_PKT2_PKS4_S4_S5_PS6_PS9_PS4_.uses_flat_scratch, 0
	.set _ZN9rocsparseL32bsr2csr_block_per_row_2_7_kernelILj256ELj5E21rocsparse_complex_numIfEliEEv20rocsparse_direction_T3_S4_21rocsparse_index_base_PKT1_PKT2_PKS4_S4_S5_PS6_PS9_PS4_.has_dyn_sized_stack, 0
	.set _ZN9rocsparseL32bsr2csr_block_per_row_2_7_kernelILj256ELj5E21rocsparse_complex_numIfEliEEv20rocsparse_direction_T3_S4_21rocsparse_index_base_PKT1_PKT2_PKS4_S4_S5_PS6_PS9_PS4_.has_recursion, 0
	.set _ZN9rocsparseL32bsr2csr_block_per_row_2_7_kernelILj256ELj5E21rocsparse_complex_numIfEliEEv20rocsparse_direction_T3_S4_21rocsparse_index_base_PKT1_PKT2_PKS4_S4_S5_PS6_PS9_PS4_.has_indirect_call, 0
	.section	.AMDGPU.csdata,"",@progbits
; Kernel info:
; codeLenInByte = 1028
; TotalNumSgprs: 17
; NumVgprs: 35
; ScratchSize: 0
; MemoryBound: 0
; FloatMode: 240
; IeeeMode: 1
; LDSByteSize: 0 bytes/workgroup (compile time only)
; SGPRBlocks: 0
; VGPRBlocks: 4
; NumSGPRsForWavesPerEU: 17
; NumVGPRsForWavesPerEU: 35
; Occupancy: 16
; WaveLimiterHint : 0
; COMPUTE_PGM_RSRC2:SCRATCH_EN: 0
; COMPUTE_PGM_RSRC2:USER_SGPR: 6
; COMPUTE_PGM_RSRC2:TRAP_HANDLER: 0
; COMPUTE_PGM_RSRC2:TGID_X_EN: 1
; COMPUTE_PGM_RSRC2:TGID_Y_EN: 0
; COMPUTE_PGM_RSRC2:TGID_Z_EN: 0
; COMPUTE_PGM_RSRC2:TIDIG_COMP_CNT: 0
	.section	.text._ZN9rocsparseL32bsr2csr_block_per_row_2_7_kernelILj256ELj6E21rocsparse_complex_numIfEliEEv20rocsparse_direction_T3_S4_21rocsparse_index_base_PKT1_PKT2_PKS4_S4_S5_PS6_PS9_PS4_,"axG",@progbits,_ZN9rocsparseL32bsr2csr_block_per_row_2_7_kernelILj256ELj6E21rocsparse_complex_numIfEliEEv20rocsparse_direction_T3_S4_21rocsparse_index_base_PKT1_PKT2_PKS4_S4_S5_PS6_PS9_PS4_,comdat
	.globl	_ZN9rocsparseL32bsr2csr_block_per_row_2_7_kernelILj256ELj6E21rocsparse_complex_numIfEliEEv20rocsparse_direction_T3_S4_21rocsparse_index_base_PKT1_PKT2_PKS4_S4_S5_PS6_PS9_PS4_ ; -- Begin function _ZN9rocsparseL32bsr2csr_block_per_row_2_7_kernelILj256ELj6E21rocsparse_complex_numIfEliEEv20rocsparse_direction_T3_S4_21rocsparse_index_base_PKT1_PKT2_PKS4_S4_S5_PS6_PS9_PS4_
	.p2align	8
	.type	_ZN9rocsparseL32bsr2csr_block_per_row_2_7_kernelILj256ELj6E21rocsparse_complex_numIfEliEEv20rocsparse_direction_T3_S4_21rocsparse_index_base_PKT1_PKT2_PKS4_S4_S5_PS6_PS9_PS4_,@function
_ZN9rocsparseL32bsr2csr_block_per_row_2_7_kernelILj256ELj6E21rocsparse_complex_numIfEliEEv20rocsparse_direction_T3_S4_21rocsparse_index_base_PKT1_PKT2_PKS4_S4_S5_PS6_PS9_PS4_: ; @_ZN9rocsparseL32bsr2csr_block_per_row_2_7_kernelILj256ELj6E21rocsparse_complex_numIfEliEEv20rocsparse_direction_T3_S4_21rocsparse_index_base_PKT1_PKT2_PKS4_S4_S5_PS6_PS9_PS4_
; %bb.0:
	s_clause 0x2
	s_load_dwordx2 s[0:1], s[4:5], 0x18
	s_load_dword s8, s[4:5], 0x2c
	s_load_dwordx2 s[10:11], s[4:5], 0x38
	s_ashr_i32 s7, s6, 31
	v_or_b32_e32 v1, s6, v0
	s_lshl_b64 s[2:3], s[6:7], 3
	s_waitcnt lgkmcnt(0)
	s_add_u32 s0, s0, s2
	s_addc_u32 s1, s1, s3
	s_mov_b32 s2, exec_lo
	v_cmpx_eq_u32_e32 0, v1
	s_cbranch_execz .LBB174_2
; %bb.1:
	v_mov_b32_e32 v1, s8
	v_mov_b32_e32 v2, 0
	global_store_dwordx2 v2, v[1:2], s[10:11]
.LBB174_2:
	s_or_b32 exec_lo, exec_lo, s2
	v_and_b32_e32 v4, 7, v0
	s_mov_b32 s2, exec_lo
	v_cmpx_gt_u32_e32 6, v4
	s_cbranch_execz .LBB174_6
; %bb.3:
	s_load_dwordx4 s[0:3], s[0:1], 0x0
	s_load_dword s7, s[4:5], 0xc
	s_mul_i32 s6, s6, 6
	v_mov_b32_e32 v2, 0
	v_add3_u32 v1, v4, s6, 1
	v_lshrrev_b32_e32 v5, 3, v0
	v_lshlrev_b64 v[6:7], 3, v[1:2]
	v_add_co_u32 v6, vcc_lo, s10, v6
	v_add_co_ci_u32_e64 v7, null, s11, v7, vcc_lo
	s_waitcnt lgkmcnt(0)
	s_sub_u32 s6, s0, s7
	s_subb_u32 s9, s1, 0
	s_mul_hi_u32 s12, s6, 36
	s_mul_i32 s13, s9, 36
	s_sub_u32 s2, s2, s7
	s_subb_u32 s3, s3, 0
	s_add_i32 s12, s12, s13
	s_sub_u32 s13, s2, s6
	s_subb_u32 s11, s3, s9
	s_mul_i32 s14, s13, 6
	s_mul_hi_u32 s13, s13, 6
	v_mad_u64_u32 v[2:3], null, s14, v4, 0
	s_mul_i32 s11, s11, 6
	s_mul_i32 s10, s6, 36
	s_add_i32 s13, s13, s11
	v_add_co_u32 v0, s6, s6, v5
	v_add_co_ci_u32_e64 v1, null, s9, 0, s6
	v_mad_u64_u32 v[8:9], null, s13, v4, v[3:4]
	s_add_u32 s6, s14, s8
	s_addc_u32 s9, s13, 0
	s_add_u32 s6, s6, s10
	s_addc_u32 s9, s9, s12
	v_add_co_u32 v9, vcc_lo, s6, v2
	v_add_co_ci_u32_e64 v10, null, s9, v8, vcc_lo
	v_cmp_gt_i64_e32 vcc_lo, s[2:3], v[0:1]
	v_mov_b32_e32 v3, v8
	s_mov_b32 s6, 0
	global_store_dwordx2 v[6:7], v[9:10], off
	s_and_b32 exec_lo, exec_lo, vcc_lo
	s_cbranch_execz .LBB174_6
; %bb.4:
	v_mad_u64_u32 v[6:7], null, s0, 36, v[2:3]
	s_clause 0x1
	s_load_dwordx2 s[10:11], s[4:5], 0x30
	s_load_dwordx2 s[12:13], s[4:5], 0x10
	v_mul_u32_u24_e32 v10, 6, v4
	v_lshlrev_b32_e32 v9, 3, v4
	v_lshlrev_b32_e32 v10, 3, v10
	v_mov_b32_e32 v2, v7
	v_mad_u64_u32 v[2:3], null, s1, 36, v[2:3]
	s_clause 0x2
	s_load_dwordx2 s[0:1], s[4:5], 0x20
	s_load_dword s9, s[4:5], 0x0
	s_load_dwordx2 s[4:5], s[4:5], 0x40
	v_mov_b32_e32 v7, v2
	s_waitcnt lgkmcnt(0)
	v_mad_u64_u32 v[2:3], null, 0x120, v0, s[12:13]
	s_mul_i32 s13, s7, 36
	s_mul_hi_u32 s12, s7, 36
	v_mad_u64_u32 v[5:6], null, v5, 6, v[6:7]
	v_lshlrev_b64 v[7:8], 2, v[0:1]
	v_mad_u64_u32 v[11:12], null, 0x120, v1, v[3:4]
	v_sub_co_u32 v5, vcc_lo, v5, s13
	v_subrev_co_ci_u32_e64 v6, null, s12, v6, vcc_lo
	v_add_co_u32 v3, vcc_lo, s0, v7
	v_add_co_ci_u32_e64 v4, null, s1, v8, vcc_lo
	v_lshlrev_b64 v[12:13], 3, v[5:6]
	v_lshlrev_b64 v[5:6], 2, v[5:6]
	s_cmp_eq_u32 s9, 0
	v_add_co_u32 v7, vcc_lo, s10, v12
	v_add_co_ci_u32_e64 v8, null, s11, v13, vcc_lo
	v_add_co_u32 v12, vcc_lo, s4, v5
	v_add_co_ci_u32_e64 v13, null, s5, v6, vcc_lo
	;; [unrolled: 2-line block ×4, first 2 shown]
	s_cselect_b32 vcc_lo, -1, 0
.LBB174_5:                              ; =>This Inner Loop Header: Depth=1
	v_add_co_u32 v14, s0, v2, v9
	v_add_co_ci_u32_e64 v15, null, 0, v11, s0
	v_add_co_u32 v16, s0, v2, v10
	v_add_co_ci_u32_e64 v17, null, 0, v11, s0
	global_load_dword v24, v[3:4], off
	v_add_co_u32 v18, s0, v16, 8
	v_add_co_ci_u32_e64 v19, null, 0, v17, s0
	v_add_co_u32 v20, s0, v14, 48
	v_add_co_ci_u32_e64 v21, null, 0, v15, s0
	;; [unrolled: 2-line block ×10, first 2 shown]
	v_cndmask_b32_e32 v13, v15, v17, vcc_lo
	v_cndmask_b32_e32 v12, v14, v16, vcc_lo
	v_cndmask_b32_e32 v15, v21, v19, vcc_lo
	v_cndmask_b32_e32 v14, v20, v18, vcc_lo
	v_cndmask_b32_e32 v17, v26, v23, vcc_lo
	v_cndmask_b32_e32 v16, v25, v22, vcc_lo
	v_cndmask_b32_e32 v19, v30, v28, vcc_lo
	v_cndmask_b32_e32 v18, v29, v27, vcc_lo
	v_cndmask_b32_e32 v21, v34, v32, vcc_lo
	v_cndmask_b32_e32 v20, v33, v31, vcc_lo
	v_cndmask_b32_e32 v23, v38, v36, vcc_lo
	v_cndmask_b32_e32 v22, v37, v35, vcc_lo
	global_load_dwordx2 v[12:13], v[12:13], off
	global_load_dwordx2 v[14:15], v[14:15], off
	;; [unrolled: 1-line block ×6, first 2 shown]
	v_add_co_u32 v0, s0, v0, 32
	v_add_co_ci_u32_e64 v1, null, 0, v1, s0
	v_add_co_u32 v3, s0, 0x80, v3
	v_add_co_ci_u32_e64 v4, null, 0, v4, s0
	v_add_co_u32 v2, s0, 0x2400, v2
	v_add_co_ci_u32_e64 v11, null, 0, v11, s0
	v_cmp_le_i64_e64 s0, s[2:3], v[0:1]
	s_waitcnt vmcnt(4)
	global_store_dwordx4 v[5:6], v[12:15], off offset:-24
	s_waitcnt vmcnt(2)
	global_store_dwordx4 v[5:6], v[16:19], off offset:-8
	s_waitcnt vmcnt(0)
	global_store_dwordx4 v[5:6], v[20:23], off offset:8
	v_subrev_nc_u32_e32 v24, s7, v24
	v_add_co_u32 v5, s1, 0x600, v5
	v_add_co_ci_u32_e64 v6, null, 0, v6, s1
	v_mad_u64_u32 v[24:25], null, v24, 6, s[8:9]
	s_or_b32 s6, s0, s6
	v_add_nc_u32_e32 v25, 1, v24
	v_add_nc_u32_e32 v26, 2, v24
	;; [unrolled: 1-line block ×5, first 2 shown]
	global_store_dwordx4 v[7:8], v[24:27], off offset:-12
	global_store_dwordx2 v[7:8], v[28:29], off offset:4
	v_add_co_u32 v7, s1, 0x300, v7
	v_add_co_ci_u32_e64 v8, null, 0, v8, s1
	s_andn2_b32 exec_lo, exec_lo, s6
	s_cbranch_execnz .LBB174_5
.LBB174_6:
	s_endpgm
	.section	.rodata,"a",@progbits
	.p2align	6, 0x0
	.amdhsa_kernel _ZN9rocsparseL32bsr2csr_block_per_row_2_7_kernelILj256ELj6E21rocsparse_complex_numIfEliEEv20rocsparse_direction_T3_S4_21rocsparse_index_base_PKT1_PKT2_PKS4_S4_S5_PS6_PS9_PS4_
		.amdhsa_group_segment_fixed_size 0
		.amdhsa_private_segment_fixed_size 0
		.amdhsa_kernarg_size 72
		.amdhsa_user_sgpr_count 6
		.amdhsa_user_sgpr_private_segment_buffer 1
		.amdhsa_user_sgpr_dispatch_ptr 0
		.amdhsa_user_sgpr_queue_ptr 0
		.amdhsa_user_sgpr_kernarg_segment_ptr 1
		.amdhsa_user_sgpr_dispatch_id 0
		.amdhsa_user_sgpr_flat_scratch_init 0
		.amdhsa_user_sgpr_private_segment_size 0
		.amdhsa_wavefront_size32 1
		.amdhsa_uses_dynamic_stack 0
		.amdhsa_system_sgpr_private_segment_wavefront_offset 0
		.amdhsa_system_sgpr_workgroup_id_x 1
		.amdhsa_system_sgpr_workgroup_id_y 0
		.amdhsa_system_sgpr_workgroup_id_z 0
		.amdhsa_system_sgpr_workgroup_info 0
		.amdhsa_system_vgpr_workitem_id 0
		.amdhsa_next_free_vgpr 39
		.amdhsa_next_free_sgpr 15
		.amdhsa_reserve_vcc 1
		.amdhsa_reserve_flat_scratch 0
		.amdhsa_float_round_mode_32 0
		.amdhsa_float_round_mode_16_64 0
		.amdhsa_float_denorm_mode_32 3
		.amdhsa_float_denorm_mode_16_64 3
		.amdhsa_dx10_clamp 1
		.amdhsa_ieee_mode 1
		.amdhsa_fp16_overflow 0
		.amdhsa_workgroup_processor_mode 1
		.amdhsa_memory_ordered 1
		.amdhsa_forward_progress 1
		.amdhsa_shared_vgpr_count 0
		.amdhsa_exception_fp_ieee_invalid_op 0
		.amdhsa_exception_fp_denorm_src 0
		.amdhsa_exception_fp_ieee_div_zero 0
		.amdhsa_exception_fp_ieee_overflow 0
		.amdhsa_exception_fp_ieee_underflow 0
		.amdhsa_exception_fp_ieee_inexact 0
		.amdhsa_exception_int_div_zero 0
	.end_amdhsa_kernel
	.section	.text._ZN9rocsparseL32bsr2csr_block_per_row_2_7_kernelILj256ELj6E21rocsparse_complex_numIfEliEEv20rocsparse_direction_T3_S4_21rocsparse_index_base_PKT1_PKT2_PKS4_S4_S5_PS6_PS9_PS4_,"axG",@progbits,_ZN9rocsparseL32bsr2csr_block_per_row_2_7_kernelILj256ELj6E21rocsparse_complex_numIfEliEEv20rocsparse_direction_T3_S4_21rocsparse_index_base_PKT1_PKT2_PKS4_S4_S5_PS6_PS9_PS4_,comdat
.Lfunc_end174:
	.size	_ZN9rocsparseL32bsr2csr_block_per_row_2_7_kernelILj256ELj6E21rocsparse_complex_numIfEliEEv20rocsparse_direction_T3_S4_21rocsparse_index_base_PKT1_PKT2_PKS4_S4_S5_PS6_PS9_PS4_, .Lfunc_end174-_ZN9rocsparseL32bsr2csr_block_per_row_2_7_kernelILj256ELj6E21rocsparse_complex_numIfEliEEv20rocsparse_direction_T3_S4_21rocsparse_index_base_PKT1_PKT2_PKS4_S4_S5_PS6_PS9_PS4_
                                        ; -- End function
	.set _ZN9rocsparseL32bsr2csr_block_per_row_2_7_kernelILj256ELj6E21rocsparse_complex_numIfEliEEv20rocsparse_direction_T3_S4_21rocsparse_index_base_PKT1_PKT2_PKS4_S4_S5_PS6_PS9_PS4_.num_vgpr, 39
	.set _ZN9rocsparseL32bsr2csr_block_per_row_2_7_kernelILj256ELj6E21rocsparse_complex_numIfEliEEv20rocsparse_direction_T3_S4_21rocsparse_index_base_PKT1_PKT2_PKS4_S4_S5_PS6_PS9_PS4_.num_agpr, 0
	.set _ZN9rocsparseL32bsr2csr_block_per_row_2_7_kernelILj256ELj6E21rocsparse_complex_numIfEliEEv20rocsparse_direction_T3_S4_21rocsparse_index_base_PKT1_PKT2_PKS4_S4_S5_PS6_PS9_PS4_.numbered_sgpr, 15
	.set _ZN9rocsparseL32bsr2csr_block_per_row_2_7_kernelILj256ELj6E21rocsparse_complex_numIfEliEEv20rocsparse_direction_T3_S4_21rocsparse_index_base_PKT1_PKT2_PKS4_S4_S5_PS6_PS9_PS4_.num_named_barrier, 0
	.set _ZN9rocsparseL32bsr2csr_block_per_row_2_7_kernelILj256ELj6E21rocsparse_complex_numIfEliEEv20rocsparse_direction_T3_S4_21rocsparse_index_base_PKT1_PKT2_PKS4_S4_S5_PS6_PS9_PS4_.private_seg_size, 0
	.set _ZN9rocsparseL32bsr2csr_block_per_row_2_7_kernelILj256ELj6E21rocsparse_complex_numIfEliEEv20rocsparse_direction_T3_S4_21rocsparse_index_base_PKT1_PKT2_PKS4_S4_S5_PS6_PS9_PS4_.uses_vcc, 1
	.set _ZN9rocsparseL32bsr2csr_block_per_row_2_7_kernelILj256ELj6E21rocsparse_complex_numIfEliEEv20rocsparse_direction_T3_S4_21rocsparse_index_base_PKT1_PKT2_PKS4_S4_S5_PS6_PS9_PS4_.uses_flat_scratch, 0
	.set _ZN9rocsparseL32bsr2csr_block_per_row_2_7_kernelILj256ELj6E21rocsparse_complex_numIfEliEEv20rocsparse_direction_T3_S4_21rocsparse_index_base_PKT1_PKT2_PKS4_S4_S5_PS6_PS9_PS4_.has_dyn_sized_stack, 0
	.set _ZN9rocsparseL32bsr2csr_block_per_row_2_7_kernelILj256ELj6E21rocsparse_complex_numIfEliEEv20rocsparse_direction_T3_S4_21rocsparse_index_base_PKT1_PKT2_PKS4_S4_S5_PS6_PS9_PS4_.has_recursion, 0
	.set _ZN9rocsparseL32bsr2csr_block_per_row_2_7_kernelILj256ELj6E21rocsparse_complex_numIfEliEEv20rocsparse_direction_T3_S4_21rocsparse_index_base_PKT1_PKT2_PKS4_S4_S5_PS6_PS9_PS4_.has_indirect_call, 0
	.section	.AMDGPU.csdata,"",@progbits
; Kernel info:
; codeLenInByte = 1084
; TotalNumSgprs: 17
; NumVgprs: 39
; ScratchSize: 0
; MemoryBound: 0
; FloatMode: 240
; IeeeMode: 1
; LDSByteSize: 0 bytes/workgroup (compile time only)
; SGPRBlocks: 0
; VGPRBlocks: 4
; NumSGPRsForWavesPerEU: 17
; NumVGPRsForWavesPerEU: 39
; Occupancy: 16
; WaveLimiterHint : 0
; COMPUTE_PGM_RSRC2:SCRATCH_EN: 0
; COMPUTE_PGM_RSRC2:USER_SGPR: 6
; COMPUTE_PGM_RSRC2:TRAP_HANDLER: 0
; COMPUTE_PGM_RSRC2:TGID_X_EN: 1
; COMPUTE_PGM_RSRC2:TGID_Y_EN: 0
; COMPUTE_PGM_RSRC2:TGID_Z_EN: 0
; COMPUTE_PGM_RSRC2:TIDIG_COMP_CNT: 0
	.section	.text._ZN9rocsparseL32bsr2csr_block_per_row_2_7_kernelILj256ELj7E21rocsparse_complex_numIfEliEEv20rocsparse_direction_T3_S4_21rocsparse_index_base_PKT1_PKT2_PKS4_S4_S5_PS6_PS9_PS4_,"axG",@progbits,_ZN9rocsparseL32bsr2csr_block_per_row_2_7_kernelILj256ELj7E21rocsparse_complex_numIfEliEEv20rocsparse_direction_T3_S4_21rocsparse_index_base_PKT1_PKT2_PKS4_S4_S5_PS6_PS9_PS4_,comdat
	.globl	_ZN9rocsparseL32bsr2csr_block_per_row_2_7_kernelILj256ELj7E21rocsparse_complex_numIfEliEEv20rocsparse_direction_T3_S4_21rocsparse_index_base_PKT1_PKT2_PKS4_S4_S5_PS6_PS9_PS4_ ; -- Begin function _ZN9rocsparseL32bsr2csr_block_per_row_2_7_kernelILj256ELj7E21rocsparse_complex_numIfEliEEv20rocsparse_direction_T3_S4_21rocsparse_index_base_PKT1_PKT2_PKS4_S4_S5_PS6_PS9_PS4_
	.p2align	8
	.type	_ZN9rocsparseL32bsr2csr_block_per_row_2_7_kernelILj256ELj7E21rocsparse_complex_numIfEliEEv20rocsparse_direction_T3_S4_21rocsparse_index_base_PKT1_PKT2_PKS4_S4_S5_PS6_PS9_PS4_,@function
_ZN9rocsparseL32bsr2csr_block_per_row_2_7_kernelILj256ELj7E21rocsparse_complex_numIfEliEEv20rocsparse_direction_T3_S4_21rocsparse_index_base_PKT1_PKT2_PKS4_S4_S5_PS6_PS9_PS4_: ; @_ZN9rocsparseL32bsr2csr_block_per_row_2_7_kernelILj256ELj7E21rocsparse_complex_numIfEliEEv20rocsparse_direction_T3_S4_21rocsparse_index_base_PKT1_PKT2_PKS4_S4_S5_PS6_PS9_PS4_
; %bb.0:
	s_clause 0x2
	s_load_dwordx2 s[0:1], s[4:5], 0x18
	s_load_dword s8, s[4:5], 0x2c
	s_load_dwordx2 s[10:11], s[4:5], 0x38
	s_ashr_i32 s7, s6, 31
	v_or_b32_e32 v1, s6, v0
	s_lshl_b64 s[2:3], s[6:7], 3
	s_waitcnt lgkmcnt(0)
	s_add_u32 s0, s0, s2
	s_addc_u32 s1, s1, s3
	s_mov_b32 s2, exec_lo
	v_cmpx_eq_u32_e32 0, v1
	s_cbranch_execz .LBB175_2
; %bb.1:
	v_mov_b32_e32 v1, s8
	v_mov_b32_e32 v2, 0
	global_store_dwordx2 v2, v[1:2], s[10:11]
.LBB175_2:
	s_or_b32 exec_lo, exec_lo, s2
	v_and_b32_e32 v4, 7, v0
	s_mov_b32 s2, exec_lo
	v_cmpx_ne_u32_e32 7, v4
	s_cbranch_execz .LBB175_6
; %bb.3:
	s_load_dwordx4 s[0:3], s[0:1], 0x0
	s_load_dword s7, s[4:5], 0xc
	s_mul_i32 s6, s6, 7
	v_mov_b32_e32 v2, 0
	v_add3_u32 v1, v4, s6, 1
	v_lshrrev_b32_e32 v5, 3, v0
	v_lshlrev_b64 v[6:7], 3, v[1:2]
	v_add_co_u32 v6, vcc_lo, s10, v6
	v_add_co_ci_u32_e64 v7, null, s11, v7, vcc_lo
	s_waitcnt lgkmcnt(0)
	s_sub_u32 s6, s0, s7
	s_subb_u32 s9, s1, 0
	s_mul_hi_u32 s12, s6, 49
	s_mul_i32 s13, s9, 49
	s_sub_u32 s2, s2, s7
	s_subb_u32 s3, s3, 0
	s_add_i32 s12, s12, s13
	s_sub_u32 s13, s2, s6
	s_subb_u32 s11, s3, s9
	s_mul_i32 s14, s13, 7
	s_mul_hi_u32 s13, s13, 7
	v_mad_u64_u32 v[2:3], null, s14, v4, 0
	s_mul_i32 s11, s11, 7
	s_mul_i32 s10, s6, 49
	s_add_i32 s13, s13, s11
	v_add_co_u32 v0, s6, s6, v5
	v_add_co_ci_u32_e64 v1, null, s9, 0, s6
	v_mad_u64_u32 v[8:9], null, s13, v4, v[3:4]
	s_add_u32 s6, s14, s8
	s_addc_u32 s9, s13, 0
	s_add_u32 s6, s6, s10
	s_addc_u32 s9, s9, s12
	v_add_co_u32 v9, vcc_lo, s6, v2
	v_add_co_ci_u32_e64 v10, null, s9, v8, vcc_lo
	v_cmp_gt_i64_e32 vcc_lo, s[2:3], v[0:1]
	v_mov_b32_e32 v3, v8
	s_mov_b32 s6, 0
	global_store_dwordx2 v[6:7], v[9:10], off
	s_and_b32 exec_lo, exec_lo, vcc_lo
	s_cbranch_execz .LBB175_6
; %bb.4:
	v_mad_u64_u32 v[6:7], null, s0, 49, v[2:3]
	s_clause 0x1
	s_load_dwordx2 s[10:11], s[4:5], 0x30
	s_load_dwordx2 s[12:13], s[4:5], 0x10
	v_mul_u32_u24_e32 v10, 7, v4
	v_lshlrev_b32_e32 v9, 3, v4
	v_lshlrev_b32_e32 v10, 3, v10
	v_mov_b32_e32 v2, v7
	v_mad_u64_u32 v[2:3], null, s1, 49, v[2:3]
	s_clause 0x2
	s_load_dwordx2 s[0:1], s[4:5], 0x20
	s_load_dword s9, s[4:5], 0x0
	s_load_dwordx2 s[4:5], s[4:5], 0x40
	v_mov_b32_e32 v7, v2
	s_waitcnt lgkmcnt(0)
	v_mad_u64_u32 v[2:3], null, 0x188, v0, s[12:13]
	s_mul_i32 s13, s7, 49
	s_mul_hi_u32 s12, s7, 49
	v_mad_u64_u32 v[5:6], null, v5, 7, v[6:7]
	v_lshlrev_b64 v[7:8], 2, v[0:1]
	v_mad_u64_u32 v[11:12], null, 0x188, v1, v[3:4]
	v_sub_co_u32 v5, vcc_lo, v5, s13
	v_subrev_co_ci_u32_e64 v6, null, s12, v6, vcc_lo
	v_add_co_u32 v3, vcc_lo, s0, v7
	v_add_co_ci_u32_e64 v4, null, s1, v8, vcc_lo
	v_lshlrev_b64 v[12:13], 3, v[5:6]
	v_lshlrev_b64 v[5:6], 2, v[5:6]
	s_cmp_eq_u32 s9, 0
	v_add_co_u32 v7, vcc_lo, s10, v12
	v_add_co_ci_u32_e64 v8, null, s11, v13, vcc_lo
	v_add_co_u32 v12, vcc_lo, s4, v5
	v_add_co_ci_u32_e64 v13, null, s5, v6, vcc_lo
	;; [unrolled: 2-line block ×4, first 2 shown]
	s_cselect_b32 vcc_lo, -1, 0
.LBB175_5:                              ; =>This Inner Loop Header: Depth=1
	v_add_co_u32 v14, s0, v2, v9
	v_add_co_ci_u32_e64 v15, null, 0, v11, s0
	v_add_co_u32 v16, s0, v2, v10
	v_add_co_ci_u32_e64 v17, null, 0, v11, s0
	global_load_dword v26, v[3:4], off
	v_add_co_u32 v18, s0, v16, 8
	v_add_co_ci_u32_e64 v19, null, 0, v17, s0
	v_add_co_u32 v20, s0, v14, 56
	v_add_co_ci_u32_e64 v21, null, 0, v15, s0
	;; [unrolled: 2-line block ×11, first 2 shown]
	v_add_co_u32 v41, s0, 0x150, v14
	v_cndmask_b32_e32 v13, v15, v17, vcc_lo
	v_cndmask_b32_e32 v12, v14, v16, vcc_lo
	v_add_co_ci_u32_e64 v42, null, 0, v15, s0
	v_cndmask_b32_e32 v15, v21, v19, vcc_lo
	v_cndmask_b32_e32 v14, v20, v18, vcc_lo
	;; [unrolled: 1-line block ×10, first 2 shown]
	global_load_dwordx2 v[12:13], v[12:13], off
	v_cndmask_b32_e32 v25, v42, v40, vcc_lo
	v_cndmask_b32_e32 v24, v41, v39, vcc_lo
	global_load_dwordx2 v[14:15], v[14:15], off
	global_load_dwordx2 v[16:17], v[16:17], off
	;; [unrolled: 1-line block ×6, first 2 shown]
	v_add_co_u32 v0, s0, v0, 32
	v_add_co_ci_u32_e64 v1, null, 0, v1, s0
	v_add_co_u32 v3, s0, 0x80, v3
	v_add_co_ci_u32_e64 v4, null, 0, v4, s0
	;; [unrolled: 2-line block ×3, first 2 shown]
	v_cmp_le_i64_e64 s0, s[2:3], v[0:1]
	s_waitcnt vmcnt(5)
	global_store_dwordx4 v[5:6], v[12:15], off offset:-24
	s_waitcnt vmcnt(3)
	global_store_dwordx4 v[5:6], v[16:19], off offset:-8
	s_waitcnt vmcnt(1)
	global_store_dwordx4 v[5:6], v[20:23], off offset:8
	s_waitcnt vmcnt(0)
	global_store_dwordx2 v[5:6], v[31:32], off offset:24
	v_subrev_nc_u32_e32 v24, s7, v26
	v_add_co_u32 v5, s1, 0x700, v5
	v_add_co_ci_u32_e64 v6, null, 0, v6, s1
	v_mad_u64_u32 v[24:25], null, v24, 7, s[8:9]
	s_or_b32 s6, s0, s6
	v_add_nc_u32_e32 v25, 1, v24
	v_add_nc_u32_e32 v26, 2, v24
	;; [unrolled: 1-line block ×6, first 2 shown]
	global_store_dwordx4 v[7:8], v[24:27], off offset:-12
	global_store_dwordx3 v[7:8], v[28:30], off offset:4
	v_add_co_u32 v7, s1, 0x380, v7
	v_add_co_ci_u32_e64 v8, null, 0, v8, s1
	s_andn2_b32 exec_lo, exec_lo, s6
	s_cbranch_execnz .LBB175_5
.LBB175_6:
	s_endpgm
	.section	.rodata,"a",@progbits
	.p2align	6, 0x0
	.amdhsa_kernel _ZN9rocsparseL32bsr2csr_block_per_row_2_7_kernelILj256ELj7E21rocsparse_complex_numIfEliEEv20rocsparse_direction_T3_S4_21rocsparse_index_base_PKT1_PKT2_PKS4_S4_S5_PS6_PS9_PS4_
		.amdhsa_group_segment_fixed_size 0
		.amdhsa_private_segment_fixed_size 0
		.amdhsa_kernarg_size 72
		.amdhsa_user_sgpr_count 6
		.amdhsa_user_sgpr_private_segment_buffer 1
		.amdhsa_user_sgpr_dispatch_ptr 0
		.amdhsa_user_sgpr_queue_ptr 0
		.amdhsa_user_sgpr_kernarg_segment_ptr 1
		.amdhsa_user_sgpr_dispatch_id 0
		.amdhsa_user_sgpr_flat_scratch_init 0
		.amdhsa_user_sgpr_private_segment_size 0
		.amdhsa_wavefront_size32 1
		.amdhsa_uses_dynamic_stack 0
		.amdhsa_system_sgpr_private_segment_wavefront_offset 0
		.amdhsa_system_sgpr_workgroup_id_x 1
		.amdhsa_system_sgpr_workgroup_id_y 0
		.amdhsa_system_sgpr_workgroup_id_z 0
		.amdhsa_system_sgpr_workgroup_info 0
		.amdhsa_system_vgpr_workitem_id 0
		.amdhsa_next_free_vgpr 43
		.amdhsa_next_free_sgpr 15
		.amdhsa_reserve_vcc 1
		.amdhsa_reserve_flat_scratch 0
		.amdhsa_float_round_mode_32 0
		.amdhsa_float_round_mode_16_64 0
		.amdhsa_float_denorm_mode_32 3
		.amdhsa_float_denorm_mode_16_64 3
		.amdhsa_dx10_clamp 1
		.amdhsa_ieee_mode 1
		.amdhsa_fp16_overflow 0
		.amdhsa_workgroup_processor_mode 1
		.amdhsa_memory_ordered 1
		.amdhsa_forward_progress 1
		.amdhsa_shared_vgpr_count 0
		.amdhsa_exception_fp_ieee_invalid_op 0
		.amdhsa_exception_fp_denorm_src 0
		.amdhsa_exception_fp_ieee_div_zero 0
		.amdhsa_exception_fp_ieee_overflow 0
		.amdhsa_exception_fp_ieee_underflow 0
		.amdhsa_exception_fp_ieee_inexact 0
		.amdhsa_exception_int_div_zero 0
	.end_amdhsa_kernel
	.section	.text._ZN9rocsparseL32bsr2csr_block_per_row_2_7_kernelILj256ELj7E21rocsparse_complex_numIfEliEEv20rocsparse_direction_T3_S4_21rocsparse_index_base_PKT1_PKT2_PKS4_S4_S5_PS6_PS9_PS4_,"axG",@progbits,_ZN9rocsparseL32bsr2csr_block_per_row_2_7_kernelILj256ELj7E21rocsparse_complex_numIfEliEEv20rocsparse_direction_T3_S4_21rocsparse_index_base_PKT1_PKT2_PKS4_S4_S5_PS6_PS9_PS4_,comdat
.Lfunc_end175:
	.size	_ZN9rocsparseL32bsr2csr_block_per_row_2_7_kernelILj256ELj7E21rocsparse_complex_numIfEliEEv20rocsparse_direction_T3_S4_21rocsparse_index_base_PKT1_PKT2_PKS4_S4_S5_PS6_PS9_PS4_, .Lfunc_end175-_ZN9rocsparseL32bsr2csr_block_per_row_2_7_kernelILj256ELj7E21rocsparse_complex_numIfEliEEv20rocsparse_direction_T3_S4_21rocsparse_index_base_PKT1_PKT2_PKS4_S4_S5_PS6_PS9_PS4_
                                        ; -- End function
	.set _ZN9rocsparseL32bsr2csr_block_per_row_2_7_kernelILj256ELj7E21rocsparse_complex_numIfEliEEv20rocsparse_direction_T3_S4_21rocsparse_index_base_PKT1_PKT2_PKS4_S4_S5_PS6_PS9_PS4_.num_vgpr, 43
	.set _ZN9rocsparseL32bsr2csr_block_per_row_2_7_kernelILj256ELj7E21rocsparse_complex_numIfEliEEv20rocsparse_direction_T3_S4_21rocsparse_index_base_PKT1_PKT2_PKS4_S4_S5_PS6_PS9_PS4_.num_agpr, 0
	.set _ZN9rocsparseL32bsr2csr_block_per_row_2_7_kernelILj256ELj7E21rocsparse_complex_numIfEliEEv20rocsparse_direction_T3_S4_21rocsparse_index_base_PKT1_PKT2_PKS4_S4_S5_PS6_PS9_PS4_.numbered_sgpr, 15
	.set _ZN9rocsparseL32bsr2csr_block_per_row_2_7_kernelILj256ELj7E21rocsparse_complex_numIfEliEEv20rocsparse_direction_T3_S4_21rocsparse_index_base_PKT1_PKT2_PKS4_S4_S5_PS6_PS9_PS4_.num_named_barrier, 0
	.set _ZN9rocsparseL32bsr2csr_block_per_row_2_7_kernelILj256ELj7E21rocsparse_complex_numIfEliEEv20rocsparse_direction_T3_S4_21rocsparse_index_base_PKT1_PKT2_PKS4_S4_S5_PS6_PS9_PS4_.private_seg_size, 0
	.set _ZN9rocsparseL32bsr2csr_block_per_row_2_7_kernelILj256ELj7E21rocsparse_complex_numIfEliEEv20rocsparse_direction_T3_S4_21rocsparse_index_base_PKT1_PKT2_PKS4_S4_S5_PS6_PS9_PS4_.uses_vcc, 1
	.set _ZN9rocsparseL32bsr2csr_block_per_row_2_7_kernelILj256ELj7E21rocsparse_complex_numIfEliEEv20rocsparse_direction_T3_S4_21rocsparse_index_base_PKT1_PKT2_PKS4_S4_S5_PS6_PS9_PS4_.uses_flat_scratch, 0
	.set _ZN9rocsparseL32bsr2csr_block_per_row_2_7_kernelILj256ELj7E21rocsparse_complex_numIfEliEEv20rocsparse_direction_T3_S4_21rocsparse_index_base_PKT1_PKT2_PKS4_S4_S5_PS6_PS9_PS4_.has_dyn_sized_stack, 0
	.set _ZN9rocsparseL32bsr2csr_block_per_row_2_7_kernelILj256ELj7E21rocsparse_complex_numIfEliEEv20rocsparse_direction_T3_S4_21rocsparse_index_base_PKT1_PKT2_PKS4_S4_S5_PS6_PS9_PS4_.has_recursion, 0
	.set _ZN9rocsparseL32bsr2csr_block_per_row_2_7_kernelILj256ELj7E21rocsparse_complex_numIfEliEEv20rocsparse_direction_T3_S4_21rocsparse_index_base_PKT1_PKT2_PKS4_S4_S5_PS6_PS9_PS4_.has_indirect_call, 0
	.section	.AMDGPU.csdata,"",@progbits
; Kernel info:
; codeLenInByte = 1152
; TotalNumSgprs: 17
; NumVgprs: 43
; ScratchSize: 0
; MemoryBound: 0
; FloatMode: 240
; IeeeMode: 1
; LDSByteSize: 0 bytes/workgroup (compile time only)
; SGPRBlocks: 0
; VGPRBlocks: 5
; NumSGPRsForWavesPerEU: 17
; NumVGPRsForWavesPerEU: 43
; Occupancy: 16
; WaveLimiterHint : 0
; COMPUTE_PGM_RSRC2:SCRATCH_EN: 0
; COMPUTE_PGM_RSRC2:USER_SGPR: 6
; COMPUTE_PGM_RSRC2:TRAP_HANDLER: 0
; COMPUTE_PGM_RSRC2:TGID_X_EN: 1
; COMPUTE_PGM_RSRC2:TGID_Y_EN: 0
; COMPUTE_PGM_RSRC2:TGID_Z_EN: 0
; COMPUTE_PGM_RSRC2:TIDIG_COMP_CNT: 0
	.section	.text._ZN9rocsparseL33bsr2csr_block_per_row_8_32_kernelILj1024ELj8E21rocsparse_complex_numIfEliEEv20rocsparse_direction_T3_S4_21rocsparse_index_base_PKT1_PKT2_PKS4_S4_S5_PS6_PS9_PS4_,"axG",@progbits,_ZN9rocsparseL33bsr2csr_block_per_row_8_32_kernelILj1024ELj8E21rocsparse_complex_numIfEliEEv20rocsparse_direction_T3_S4_21rocsparse_index_base_PKT1_PKT2_PKS4_S4_S5_PS6_PS9_PS4_,comdat
	.globl	_ZN9rocsparseL33bsr2csr_block_per_row_8_32_kernelILj1024ELj8E21rocsparse_complex_numIfEliEEv20rocsparse_direction_T3_S4_21rocsparse_index_base_PKT1_PKT2_PKS4_S4_S5_PS6_PS9_PS4_ ; -- Begin function _ZN9rocsparseL33bsr2csr_block_per_row_8_32_kernelILj1024ELj8E21rocsparse_complex_numIfEliEEv20rocsparse_direction_T3_S4_21rocsparse_index_base_PKT1_PKT2_PKS4_S4_S5_PS6_PS9_PS4_
	.p2align	8
	.type	_ZN9rocsparseL33bsr2csr_block_per_row_8_32_kernelILj1024ELj8E21rocsparse_complex_numIfEliEEv20rocsparse_direction_T3_S4_21rocsparse_index_base_PKT1_PKT2_PKS4_S4_S5_PS6_PS9_PS4_,@function
_ZN9rocsparseL33bsr2csr_block_per_row_8_32_kernelILj1024ELj8E21rocsparse_complex_numIfEliEEv20rocsparse_direction_T3_S4_21rocsparse_index_base_PKT1_PKT2_PKS4_S4_S5_PS6_PS9_PS4_: ; @_ZN9rocsparseL33bsr2csr_block_per_row_8_32_kernelILj1024ELj8E21rocsparse_complex_numIfEliEEv20rocsparse_direction_T3_S4_21rocsparse_index_base_PKT1_PKT2_PKS4_S4_S5_PS6_PS9_PS4_
; %bb.0:
	s_clause 0x2
	s_load_dwordx2 s[8:9], s[4:5], 0x18
	s_load_dwordx2 s[2:3], s[4:5], 0x28
	;; [unrolled: 1-line block ×3, first 2 shown]
	s_ashr_i32 s7, s6, 31
	v_or_b32_e32 v1, s6, v0
	s_lshl_b64 s[10:11], s[6:7], 3
	s_mov_b32 s7, exec_lo
	s_waitcnt lgkmcnt(0)
	s_add_u32 s8, s8, s10
	s_addc_u32 s9, s9, s11
	v_cmpx_eq_u32_e32 0, v1
	s_cbranch_execz .LBB176_2
; %bb.1:
	v_mov_b32_e32 v1, s3
	v_mov_b32_e32 v2, 0
	global_store_dwordx2 v2, v[1:2], s[0:1]
.LBB176_2:
	s_or_b32 exec_lo, exec_lo, s7
	v_and_b32_e32 v5, 7, v0
	v_bfe_u32 v2, v0, 3, 3
	s_mov_b32 s7, exec_lo
	v_max_i32_e32 v1, v2, v5
	v_cmpx_gt_i32_e64 s2, v1
	s_cbranch_execz .LBB176_6
; %bb.3:
	s_load_dwordx4 s[16:19], s[8:9], 0x0
	s_load_dword s14, s[4:5], 0xc
	s_mul_i32 s8, s2, s2
	v_mad_u64_u32 v[6:7], null, s2, s6, v[2:3]
	v_lshrrev_b32_e32 v3, 6, v0
	v_mov_b32_e32 v4, 0
	v_ashrrev_i32_e32 v7, 31, v6
	v_lshlrev_b64 v[6:7], 3, v[6:7]
	s_waitcnt lgkmcnt(0)
	s_sub_u32 s9, s16, s14
	s_subb_u32 s15, s17, 0
	s_mul_hi_u32 s11, s9, s8
	s_mul_i32 s12, s15, s8
	s_sub_u32 s6, s18, s14
	s_subb_u32 s7, s19, 0
	s_add_i32 s11, s11, s12
	s_sub_u32 s13, s6, s9
	s_subb_u32 s12, s7, s15
	s_mul_hi_u32 s16, s13, s2
	s_mul_i32 s17, s12, s2
	s_mul_i32 s18, s13, s2
	s_add_i32 s19, s16, s17
	s_mul_i32 s10, s9, s8
	s_add_u32 s16, s18, s3
	s_addc_u32 s17, s19, 0
	s_add_u32 s16, s16, s10
	s_addc_u32 s17, s17, s11
	v_add_co_u32 v0, s9, s9, v3
	v_mad_u64_u32 v[8:9], null, s18, v2, s[16:17]
	v_add_co_u32 v6, vcc_lo, s0, v6
	v_add_co_ci_u32_e64 v7, null, s1, v7, vcc_lo
	v_mov_b32_e32 v1, v9
	v_mad_u64_u32 v[9:10], null, s19, v2, v[1:2]
	v_add_co_ci_u32_e64 v1, null, s15, 0, s9
	s_mov_b32 s9, 0
	v_cmp_gt_i64_e32 vcc_lo, s[6:7], v[0:1]
	global_store_dwordx2 v[6:7], v[8:9], off offset:8
	s_and_b32 exec_lo, exec_lo, vcc_lo
	s_cbranch_execz .LBB176_6
; %bb.4:
	s_clause 0x3
	s_load_dwordx2 s[0:1], s[4:5], 0x10
	s_load_dwordx2 s[16:17], s[4:5], 0x20
	;; [unrolled: 1-line block ×3, first 2 shown]
	s_load_dword s15, s[4:5], 0x0
	v_mul_lo_u32 v6, s2, v5
	v_mov_b32_e32 v7, v4
	v_mul_lo_u32 v8, s2, v2
	v_mad_u64_u32 v[10:11], null, s13, v2, v[3:4]
	v_mov_b32_e32 v9, v4
	v_lshlrev_b32_e32 v12, 3, v2
	s_mov_b32 s20, s2
	v_lshlrev_b64 v[3:4], 3, v[6:7]
	v_mad_u64_u32 v[6:7], null, v0, s8, 0
	v_lshlrev_b64 v[8:9], 3, v[8:9]
	v_lshlrev_b32_e32 v16, 3, v5
	s_load_dwordx2 s[4:5], s[4:5], 0x40
	s_mov_b32 s21, s9
	s_waitcnt lgkmcnt(0)
	v_add_co_u32 v3, vcc_lo, s0, v3
	v_add_co_ci_u32_e64 v4, null, s1, v4, vcc_lo
	s_cmp_eq_u32 s15, 0
	v_add_co_u32 v12, vcc_lo, v3, v12
	v_add_co_ci_u32_e64 v13, null, 0, v4, vcc_lo
	v_add_co_u32 v14, vcc_lo, s0, v8
	v_mad_u64_u32 v[3:4], null, v10, s20, s[10:11]
	v_add_co_ci_u32_e64 v15, null, s1, v9, vcc_lo
	v_mad_u64_u32 v[8:9], null, s12, v2, v[11:12]
	v_add_co_u32 v14, vcc_lo, v14, v16
	v_mov_b32_e32 v2, v4
	v_add_co_ci_u32_e64 v4, null, 0, v15, vcc_lo
	s_cselect_b32 vcc_lo, -1, 0
	v_mad_u64_u32 v[9:10], null, v1, s8, v[7:8]
	v_mad_u64_u32 v[10:11], null, v8, s20, v[2:3]
	v_add_co_u32 v8, s0, v3, v5
	v_cndmask_b32_e32 v11, v13, v4, vcc_lo
	v_add_nc_u32_e32 v2, s3, v5
	v_mov_b32_e32 v7, v9
	s_lshl_b64 s[10:11], s[20:21], 7
	v_add_co_ci_u32_e64 v9, null, 0, v10, s0
	s_lshl_b64 s[12:13], s[20:21], 6
	v_lshlrev_b64 v[3:4], 3, v[6:7]
	v_cndmask_b32_e32 v7, v12, v14, vcc_lo
	v_lshlrev_b64 v[5:6], 3, v[8:9]
	v_add_co_u32 v3, vcc_lo, v7, v3
	v_lshlrev_b64 v[7:8], 2, v[8:9]
	v_lshlrev_b64 v[9:10], 2, v[0:1]
	v_add_co_ci_u32_e64 v4, null, v11, v4, vcc_lo
	v_add_co_u32 v5, vcc_lo, s18, v5
	v_add_co_ci_u32_e64 v6, null, s19, v6, vcc_lo
	v_add_co_u32 v7, vcc_lo, s4, v7
	;; [unrolled: 2-line block ×3, first 2 shown]
	v_add_co_ci_u32_e64 v10, null, s17, v10, vcc_lo
	s_lshl_b64 s[4:5], s[8:9], 7
	s_inst_prefetch 0x1
	.p2align	6
.LBB176_5:                              ; =>This Inner Loop Header: Depth=1
	global_load_dword v13, v[9:10], off
	global_load_dwordx2 v[11:12], v[3:4], off
	v_add_co_u32 v0, vcc_lo, v0, 16
	v_add_co_ci_u32_e64 v1, null, 0, v1, vcc_lo
	v_add_co_u32 v3, vcc_lo, v3, s4
	v_add_co_ci_u32_e64 v4, null, s5, v4, vcc_lo
	;; [unrolled: 2-line block ×3, first 2 shown]
	v_cmp_le_i64_e32 vcc_lo, s[6:7], v[0:1]
	s_or_b32 s9, vcc_lo, s9
	s_waitcnt vmcnt(1)
	v_subrev_nc_u32_e32 v13, s14, v13
	s_waitcnt vmcnt(0)
	global_store_dwordx2 v[5:6], v[11:12], off
	v_add_co_u32 v5, s0, v5, s10
	v_add_co_ci_u32_e64 v6, null, s11, v6, s0
	v_mad_u64_u32 v[11:12], null, v13, s2, v[2:3]
	global_store_dword v[7:8], v11, off
	v_add_co_u32 v7, s0, v7, s12
	v_add_co_ci_u32_e64 v8, null, s13, v8, s0
	s_andn2_b32 exec_lo, exec_lo, s9
	s_cbranch_execnz .LBB176_5
.LBB176_6:
	s_inst_prefetch 0x2
	s_endpgm
	.section	.rodata,"a",@progbits
	.p2align	6, 0x0
	.amdhsa_kernel _ZN9rocsparseL33bsr2csr_block_per_row_8_32_kernelILj1024ELj8E21rocsparse_complex_numIfEliEEv20rocsparse_direction_T3_S4_21rocsparse_index_base_PKT1_PKT2_PKS4_S4_S5_PS6_PS9_PS4_
		.amdhsa_group_segment_fixed_size 0
		.amdhsa_private_segment_fixed_size 0
		.amdhsa_kernarg_size 72
		.amdhsa_user_sgpr_count 6
		.amdhsa_user_sgpr_private_segment_buffer 1
		.amdhsa_user_sgpr_dispatch_ptr 0
		.amdhsa_user_sgpr_queue_ptr 0
		.amdhsa_user_sgpr_kernarg_segment_ptr 1
		.amdhsa_user_sgpr_dispatch_id 0
		.amdhsa_user_sgpr_flat_scratch_init 0
		.amdhsa_user_sgpr_private_segment_size 0
		.amdhsa_wavefront_size32 1
		.amdhsa_uses_dynamic_stack 0
		.amdhsa_system_sgpr_private_segment_wavefront_offset 0
		.amdhsa_system_sgpr_workgroup_id_x 1
		.amdhsa_system_sgpr_workgroup_id_y 0
		.amdhsa_system_sgpr_workgroup_id_z 0
		.amdhsa_system_sgpr_workgroup_info 0
		.amdhsa_system_vgpr_workitem_id 0
		.amdhsa_next_free_vgpr 17
		.amdhsa_next_free_sgpr 22
		.amdhsa_reserve_vcc 1
		.amdhsa_reserve_flat_scratch 0
		.amdhsa_float_round_mode_32 0
		.amdhsa_float_round_mode_16_64 0
		.amdhsa_float_denorm_mode_32 3
		.amdhsa_float_denorm_mode_16_64 3
		.amdhsa_dx10_clamp 1
		.amdhsa_ieee_mode 1
		.amdhsa_fp16_overflow 0
		.amdhsa_workgroup_processor_mode 1
		.amdhsa_memory_ordered 1
		.amdhsa_forward_progress 1
		.amdhsa_shared_vgpr_count 0
		.amdhsa_exception_fp_ieee_invalid_op 0
		.amdhsa_exception_fp_denorm_src 0
		.amdhsa_exception_fp_ieee_div_zero 0
		.amdhsa_exception_fp_ieee_overflow 0
		.amdhsa_exception_fp_ieee_underflow 0
		.amdhsa_exception_fp_ieee_inexact 0
		.amdhsa_exception_int_div_zero 0
	.end_amdhsa_kernel
	.section	.text._ZN9rocsparseL33bsr2csr_block_per_row_8_32_kernelILj1024ELj8E21rocsparse_complex_numIfEliEEv20rocsparse_direction_T3_S4_21rocsparse_index_base_PKT1_PKT2_PKS4_S4_S5_PS6_PS9_PS4_,"axG",@progbits,_ZN9rocsparseL33bsr2csr_block_per_row_8_32_kernelILj1024ELj8E21rocsparse_complex_numIfEliEEv20rocsparse_direction_T3_S4_21rocsparse_index_base_PKT1_PKT2_PKS4_S4_S5_PS6_PS9_PS4_,comdat
.Lfunc_end176:
	.size	_ZN9rocsparseL33bsr2csr_block_per_row_8_32_kernelILj1024ELj8E21rocsparse_complex_numIfEliEEv20rocsparse_direction_T3_S4_21rocsparse_index_base_PKT1_PKT2_PKS4_S4_S5_PS6_PS9_PS4_, .Lfunc_end176-_ZN9rocsparseL33bsr2csr_block_per_row_8_32_kernelILj1024ELj8E21rocsparse_complex_numIfEliEEv20rocsparse_direction_T3_S4_21rocsparse_index_base_PKT1_PKT2_PKS4_S4_S5_PS6_PS9_PS4_
                                        ; -- End function
	.set _ZN9rocsparseL33bsr2csr_block_per_row_8_32_kernelILj1024ELj8E21rocsparse_complex_numIfEliEEv20rocsparse_direction_T3_S4_21rocsparse_index_base_PKT1_PKT2_PKS4_S4_S5_PS6_PS9_PS4_.num_vgpr, 17
	.set _ZN9rocsparseL33bsr2csr_block_per_row_8_32_kernelILj1024ELj8E21rocsparse_complex_numIfEliEEv20rocsparse_direction_T3_S4_21rocsparse_index_base_PKT1_PKT2_PKS4_S4_S5_PS6_PS9_PS4_.num_agpr, 0
	.set _ZN9rocsparseL33bsr2csr_block_per_row_8_32_kernelILj1024ELj8E21rocsparse_complex_numIfEliEEv20rocsparse_direction_T3_S4_21rocsparse_index_base_PKT1_PKT2_PKS4_S4_S5_PS6_PS9_PS4_.numbered_sgpr, 22
	.set _ZN9rocsparseL33bsr2csr_block_per_row_8_32_kernelILj1024ELj8E21rocsparse_complex_numIfEliEEv20rocsparse_direction_T3_S4_21rocsparse_index_base_PKT1_PKT2_PKS4_S4_S5_PS6_PS9_PS4_.num_named_barrier, 0
	.set _ZN9rocsparseL33bsr2csr_block_per_row_8_32_kernelILj1024ELj8E21rocsparse_complex_numIfEliEEv20rocsparse_direction_T3_S4_21rocsparse_index_base_PKT1_PKT2_PKS4_S4_S5_PS6_PS9_PS4_.private_seg_size, 0
	.set _ZN9rocsparseL33bsr2csr_block_per_row_8_32_kernelILj1024ELj8E21rocsparse_complex_numIfEliEEv20rocsparse_direction_T3_S4_21rocsparse_index_base_PKT1_PKT2_PKS4_S4_S5_PS6_PS9_PS4_.uses_vcc, 1
	.set _ZN9rocsparseL33bsr2csr_block_per_row_8_32_kernelILj1024ELj8E21rocsparse_complex_numIfEliEEv20rocsparse_direction_T3_S4_21rocsparse_index_base_PKT1_PKT2_PKS4_S4_S5_PS6_PS9_PS4_.uses_flat_scratch, 0
	.set _ZN9rocsparseL33bsr2csr_block_per_row_8_32_kernelILj1024ELj8E21rocsparse_complex_numIfEliEEv20rocsparse_direction_T3_S4_21rocsparse_index_base_PKT1_PKT2_PKS4_S4_S5_PS6_PS9_PS4_.has_dyn_sized_stack, 0
	.set _ZN9rocsparseL33bsr2csr_block_per_row_8_32_kernelILj1024ELj8E21rocsparse_complex_numIfEliEEv20rocsparse_direction_T3_S4_21rocsparse_index_base_PKT1_PKT2_PKS4_S4_S5_PS6_PS9_PS4_.has_recursion, 0
	.set _ZN9rocsparseL33bsr2csr_block_per_row_8_32_kernelILj1024ELj8E21rocsparse_complex_numIfEliEEv20rocsparse_direction_T3_S4_21rocsparse_index_base_PKT1_PKT2_PKS4_S4_S5_PS6_PS9_PS4_.has_indirect_call, 0
	.section	.AMDGPU.csdata,"",@progbits
; Kernel info:
; codeLenInByte = 860
; TotalNumSgprs: 24
; NumVgprs: 17
; ScratchSize: 0
; MemoryBound: 0
; FloatMode: 240
; IeeeMode: 1
; LDSByteSize: 0 bytes/workgroup (compile time only)
; SGPRBlocks: 0
; VGPRBlocks: 2
; NumSGPRsForWavesPerEU: 24
; NumVGPRsForWavesPerEU: 17
; Occupancy: 16
; WaveLimiterHint : 0
; COMPUTE_PGM_RSRC2:SCRATCH_EN: 0
; COMPUTE_PGM_RSRC2:USER_SGPR: 6
; COMPUTE_PGM_RSRC2:TRAP_HANDLER: 0
; COMPUTE_PGM_RSRC2:TGID_X_EN: 1
; COMPUTE_PGM_RSRC2:TGID_Y_EN: 0
; COMPUTE_PGM_RSRC2:TGID_Z_EN: 0
; COMPUTE_PGM_RSRC2:TIDIG_COMP_CNT: 0
	.section	.text._ZN9rocsparseL33bsr2csr_block_per_row_8_32_kernelILj1024ELj16E21rocsparse_complex_numIfEliEEv20rocsparse_direction_T3_S4_21rocsparse_index_base_PKT1_PKT2_PKS4_S4_S5_PS6_PS9_PS4_,"axG",@progbits,_ZN9rocsparseL33bsr2csr_block_per_row_8_32_kernelILj1024ELj16E21rocsparse_complex_numIfEliEEv20rocsparse_direction_T3_S4_21rocsparse_index_base_PKT1_PKT2_PKS4_S4_S5_PS6_PS9_PS4_,comdat
	.globl	_ZN9rocsparseL33bsr2csr_block_per_row_8_32_kernelILj1024ELj16E21rocsparse_complex_numIfEliEEv20rocsparse_direction_T3_S4_21rocsparse_index_base_PKT1_PKT2_PKS4_S4_S5_PS6_PS9_PS4_ ; -- Begin function _ZN9rocsparseL33bsr2csr_block_per_row_8_32_kernelILj1024ELj16E21rocsparse_complex_numIfEliEEv20rocsparse_direction_T3_S4_21rocsparse_index_base_PKT1_PKT2_PKS4_S4_S5_PS6_PS9_PS4_
	.p2align	8
	.type	_ZN9rocsparseL33bsr2csr_block_per_row_8_32_kernelILj1024ELj16E21rocsparse_complex_numIfEliEEv20rocsparse_direction_T3_S4_21rocsparse_index_base_PKT1_PKT2_PKS4_S4_S5_PS6_PS9_PS4_,@function
_ZN9rocsparseL33bsr2csr_block_per_row_8_32_kernelILj1024ELj16E21rocsparse_complex_numIfEliEEv20rocsparse_direction_T3_S4_21rocsparse_index_base_PKT1_PKT2_PKS4_S4_S5_PS6_PS9_PS4_: ; @_ZN9rocsparseL33bsr2csr_block_per_row_8_32_kernelILj1024ELj16E21rocsparse_complex_numIfEliEEv20rocsparse_direction_T3_S4_21rocsparse_index_base_PKT1_PKT2_PKS4_S4_S5_PS6_PS9_PS4_
; %bb.0:
	s_clause 0x2
	s_load_dwordx2 s[8:9], s[4:5], 0x18
	s_load_dwordx2 s[2:3], s[4:5], 0x28
	;; [unrolled: 1-line block ×3, first 2 shown]
	s_ashr_i32 s7, s6, 31
	v_or_b32_e32 v1, s6, v0
	s_lshl_b64 s[10:11], s[6:7], 3
	s_mov_b32 s7, exec_lo
	s_waitcnt lgkmcnt(0)
	s_add_u32 s8, s8, s10
	s_addc_u32 s9, s9, s11
	v_cmpx_eq_u32_e32 0, v1
	s_cbranch_execz .LBB177_2
; %bb.1:
	v_mov_b32_e32 v1, s3
	v_mov_b32_e32 v2, 0
	global_store_dwordx2 v2, v[1:2], s[0:1]
.LBB177_2:
	s_or_b32 exec_lo, exec_lo, s7
	v_and_b32_e32 v5, 15, v0
	v_bfe_u32 v2, v0, 4, 4
	s_mov_b32 s7, exec_lo
	v_max_i32_e32 v1, v2, v5
	v_cmpx_gt_i32_e64 s2, v1
	s_cbranch_execz .LBB177_6
; %bb.3:
	s_load_dwordx4 s[16:19], s[8:9], 0x0
	s_load_dword s14, s[4:5], 0xc
	s_mul_i32 s8, s2, s2
	v_mad_u64_u32 v[6:7], null, s2, s6, v[2:3]
	v_lshrrev_b32_e32 v3, 8, v0
	v_mov_b32_e32 v4, 0
	v_ashrrev_i32_e32 v7, 31, v6
	v_lshlrev_b64 v[6:7], 3, v[6:7]
	s_waitcnt lgkmcnt(0)
	s_sub_u32 s9, s16, s14
	s_subb_u32 s15, s17, 0
	s_mul_hi_u32 s11, s9, s8
	s_mul_i32 s12, s15, s8
	s_sub_u32 s6, s18, s14
	s_subb_u32 s7, s19, 0
	s_add_i32 s11, s11, s12
	s_sub_u32 s13, s6, s9
	s_subb_u32 s12, s7, s15
	s_mul_hi_u32 s16, s13, s2
	s_mul_i32 s17, s12, s2
	s_mul_i32 s18, s13, s2
	s_add_i32 s19, s16, s17
	s_mul_i32 s10, s9, s8
	s_add_u32 s16, s18, s3
	s_addc_u32 s17, s19, 0
	s_add_u32 s16, s16, s10
	s_addc_u32 s17, s17, s11
	v_add_co_u32 v0, s9, s9, v3
	v_mad_u64_u32 v[8:9], null, s18, v2, s[16:17]
	v_add_co_u32 v6, vcc_lo, s0, v6
	v_add_co_ci_u32_e64 v7, null, s1, v7, vcc_lo
	v_mov_b32_e32 v1, v9
	v_mad_u64_u32 v[9:10], null, s19, v2, v[1:2]
	v_add_co_ci_u32_e64 v1, null, s15, 0, s9
	s_mov_b32 s9, 0
	v_cmp_gt_i64_e32 vcc_lo, s[6:7], v[0:1]
	global_store_dwordx2 v[6:7], v[8:9], off offset:8
	s_and_b32 exec_lo, exec_lo, vcc_lo
	s_cbranch_execz .LBB177_6
; %bb.4:
	s_clause 0x3
	s_load_dwordx2 s[0:1], s[4:5], 0x10
	s_load_dwordx2 s[16:17], s[4:5], 0x20
	s_load_dwordx2 s[18:19], s[4:5], 0x30
	s_load_dword s15, s[4:5], 0x0
	v_mul_lo_u32 v6, s2, v5
	v_mov_b32_e32 v7, v4
	v_mul_lo_u32 v8, s2, v2
	v_mad_u64_u32 v[10:11], null, s13, v2, v[3:4]
	v_mov_b32_e32 v9, v4
	v_lshlrev_b32_e32 v12, 3, v2
	s_mov_b32 s20, s2
	v_lshlrev_b64 v[3:4], 3, v[6:7]
	v_mad_u64_u32 v[6:7], null, v0, s8, 0
	v_lshlrev_b64 v[8:9], 3, v[8:9]
	v_lshlrev_b32_e32 v16, 3, v5
	s_load_dwordx2 s[4:5], s[4:5], 0x40
	s_mov_b32 s21, s9
	s_waitcnt lgkmcnt(0)
	v_add_co_u32 v3, vcc_lo, s0, v3
	v_add_co_ci_u32_e64 v4, null, s1, v4, vcc_lo
	s_cmp_eq_u32 s15, 0
	v_add_co_u32 v12, vcc_lo, v3, v12
	v_add_co_ci_u32_e64 v13, null, 0, v4, vcc_lo
	v_add_co_u32 v14, vcc_lo, s0, v8
	v_mad_u64_u32 v[3:4], null, v10, s20, s[10:11]
	v_add_co_ci_u32_e64 v15, null, s1, v9, vcc_lo
	v_mad_u64_u32 v[8:9], null, s12, v2, v[11:12]
	v_add_co_u32 v14, vcc_lo, v14, v16
	v_mov_b32_e32 v2, v4
	v_add_co_ci_u32_e64 v4, null, 0, v15, vcc_lo
	s_cselect_b32 vcc_lo, -1, 0
	v_mad_u64_u32 v[9:10], null, v1, s8, v[7:8]
	v_mad_u64_u32 v[10:11], null, v8, s20, v[2:3]
	v_add_co_u32 v8, s0, v3, v5
	v_cndmask_b32_e32 v11, v13, v4, vcc_lo
	v_add_nc_u32_e32 v2, s3, v5
	v_mov_b32_e32 v7, v9
	s_lshl_b64 s[10:11], s[20:21], 5
	v_add_co_ci_u32_e64 v9, null, 0, v10, s0
	s_lshl_b64 s[12:13], s[20:21], 4
	v_lshlrev_b64 v[3:4], 3, v[6:7]
	v_cndmask_b32_e32 v7, v12, v14, vcc_lo
	v_lshlrev_b64 v[5:6], 3, v[8:9]
	v_add_co_u32 v3, vcc_lo, v7, v3
	v_lshlrev_b64 v[7:8], 2, v[8:9]
	v_lshlrev_b64 v[9:10], 2, v[0:1]
	v_add_co_ci_u32_e64 v4, null, v11, v4, vcc_lo
	v_add_co_u32 v5, vcc_lo, s18, v5
	v_add_co_ci_u32_e64 v6, null, s19, v6, vcc_lo
	v_add_co_u32 v7, vcc_lo, s4, v7
	;; [unrolled: 2-line block ×3, first 2 shown]
	v_add_co_ci_u32_e64 v10, null, s17, v10, vcc_lo
	s_lshl_b64 s[4:5], s[8:9], 5
	s_inst_prefetch 0x1
	.p2align	6
.LBB177_5:                              ; =>This Inner Loop Header: Depth=1
	global_load_dword v13, v[9:10], off
	global_load_dwordx2 v[11:12], v[3:4], off
	v_add_co_u32 v0, vcc_lo, v0, 4
	v_add_co_ci_u32_e64 v1, null, 0, v1, vcc_lo
	v_add_co_u32 v3, vcc_lo, v3, s4
	v_add_co_ci_u32_e64 v4, null, s5, v4, vcc_lo
	;; [unrolled: 2-line block ×3, first 2 shown]
	v_cmp_le_i64_e32 vcc_lo, s[6:7], v[0:1]
	s_or_b32 s9, vcc_lo, s9
	s_waitcnt vmcnt(1)
	v_subrev_nc_u32_e32 v13, s14, v13
	s_waitcnt vmcnt(0)
	global_store_dwordx2 v[5:6], v[11:12], off
	v_add_co_u32 v5, s0, v5, s10
	v_add_co_ci_u32_e64 v6, null, s11, v6, s0
	v_mad_u64_u32 v[11:12], null, v13, s2, v[2:3]
	global_store_dword v[7:8], v11, off
	v_add_co_u32 v7, s0, v7, s12
	v_add_co_ci_u32_e64 v8, null, s13, v8, s0
	s_andn2_b32 exec_lo, exec_lo, s9
	s_cbranch_execnz .LBB177_5
.LBB177_6:
	s_inst_prefetch 0x2
	s_endpgm
	.section	.rodata,"a",@progbits
	.p2align	6, 0x0
	.amdhsa_kernel _ZN9rocsparseL33bsr2csr_block_per_row_8_32_kernelILj1024ELj16E21rocsparse_complex_numIfEliEEv20rocsparse_direction_T3_S4_21rocsparse_index_base_PKT1_PKT2_PKS4_S4_S5_PS6_PS9_PS4_
		.amdhsa_group_segment_fixed_size 0
		.amdhsa_private_segment_fixed_size 0
		.amdhsa_kernarg_size 72
		.amdhsa_user_sgpr_count 6
		.amdhsa_user_sgpr_private_segment_buffer 1
		.amdhsa_user_sgpr_dispatch_ptr 0
		.amdhsa_user_sgpr_queue_ptr 0
		.amdhsa_user_sgpr_kernarg_segment_ptr 1
		.amdhsa_user_sgpr_dispatch_id 0
		.amdhsa_user_sgpr_flat_scratch_init 0
		.amdhsa_user_sgpr_private_segment_size 0
		.amdhsa_wavefront_size32 1
		.amdhsa_uses_dynamic_stack 0
		.amdhsa_system_sgpr_private_segment_wavefront_offset 0
		.amdhsa_system_sgpr_workgroup_id_x 1
		.amdhsa_system_sgpr_workgroup_id_y 0
		.amdhsa_system_sgpr_workgroup_id_z 0
		.amdhsa_system_sgpr_workgroup_info 0
		.amdhsa_system_vgpr_workitem_id 0
		.amdhsa_next_free_vgpr 17
		.amdhsa_next_free_sgpr 22
		.amdhsa_reserve_vcc 1
		.amdhsa_reserve_flat_scratch 0
		.amdhsa_float_round_mode_32 0
		.amdhsa_float_round_mode_16_64 0
		.amdhsa_float_denorm_mode_32 3
		.amdhsa_float_denorm_mode_16_64 3
		.amdhsa_dx10_clamp 1
		.amdhsa_ieee_mode 1
		.amdhsa_fp16_overflow 0
		.amdhsa_workgroup_processor_mode 1
		.amdhsa_memory_ordered 1
		.amdhsa_forward_progress 1
		.amdhsa_shared_vgpr_count 0
		.amdhsa_exception_fp_ieee_invalid_op 0
		.amdhsa_exception_fp_denorm_src 0
		.amdhsa_exception_fp_ieee_div_zero 0
		.amdhsa_exception_fp_ieee_overflow 0
		.amdhsa_exception_fp_ieee_underflow 0
		.amdhsa_exception_fp_ieee_inexact 0
		.amdhsa_exception_int_div_zero 0
	.end_amdhsa_kernel
	.section	.text._ZN9rocsparseL33bsr2csr_block_per_row_8_32_kernelILj1024ELj16E21rocsparse_complex_numIfEliEEv20rocsparse_direction_T3_S4_21rocsparse_index_base_PKT1_PKT2_PKS4_S4_S5_PS6_PS9_PS4_,"axG",@progbits,_ZN9rocsparseL33bsr2csr_block_per_row_8_32_kernelILj1024ELj16E21rocsparse_complex_numIfEliEEv20rocsparse_direction_T3_S4_21rocsparse_index_base_PKT1_PKT2_PKS4_S4_S5_PS6_PS9_PS4_,comdat
.Lfunc_end177:
	.size	_ZN9rocsparseL33bsr2csr_block_per_row_8_32_kernelILj1024ELj16E21rocsparse_complex_numIfEliEEv20rocsparse_direction_T3_S4_21rocsparse_index_base_PKT1_PKT2_PKS4_S4_S5_PS6_PS9_PS4_, .Lfunc_end177-_ZN9rocsparseL33bsr2csr_block_per_row_8_32_kernelILj1024ELj16E21rocsparse_complex_numIfEliEEv20rocsparse_direction_T3_S4_21rocsparse_index_base_PKT1_PKT2_PKS4_S4_S5_PS6_PS9_PS4_
                                        ; -- End function
	.set _ZN9rocsparseL33bsr2csr_block_per_row_8_32_kernelILj1024ELj16E21rocsparse_complex_numIfEliEEv20rocsparse_direction_T3_S4_21rocsparse_index_base_PKT1_PKT2_PKS4_S4_S5_PS6_PS9_PS4_.num_vgpr, 17
	.set _ZN9rocsparseL33bsr2csr_block_per_row_8_32_kernelILj1024ELj16E21rocsparse_complex_numIfEliEEv20rocsparse_direction_T3_S4_21rocsparse_index_base_PKT1_PKT2_PKS4_S4_S5_PS6_PS9_PS4_.num_agpr, 0
	.set _ZN9rocsparseL33bsr2csr_block_per_row_8_32_kernelILj1024ELj16E21rocsparse_complex_numIfEliEEv20rocsparse_direction_T3_S4_21rocsparse_index_base_PKT1_PKT2_PKS4_S4_S5_PS6_PS9_PS4_.numbered_sgpr, 22
	.set _ZN9rocsparseL33bsr2csr_block_per_row_8_32_kernelILj1024ELj16E21rocsparse_complex_numIfEliEEv20rocsparse_direction_T3_S4_21rocsparse_index_base_PKT1_PKT2_PKS4_S4_S5_PS6_PS9_PS4_.num_named_barrier, 0
	.set _ZN9rocsparseL33bsr2csr_block_per_row_8_32_kernelILj1024ELj16E21rocsparse_complex_numIfEliEEv20rocsparse_direction_T3_S4_21rocsparse_index_base_PKT1_PKT2_PKS4_S4_S5_PS6_PS9_PS4_.private_seg_size, 0
	.set _ZN9rocsparseL33bsr2csr_block_per_row_8_32_kernelILj1024ELj16E21rocsparse_complex_numIfEliEEv20rocsparse_direction_T3_S4_21rocsparse_index_base_PKT1_PKT2_PKS4_S4_S5_PS6_PS9_PS4_.uses_vcc, 1
	.set _ZN9rocsparseL33bsr2csr_block_per_row_8_32_kernelILj1024ELj16E21rocsparse_complex_numIfEliEEv20rocsparse_direction_T3_S4_21rocsparse_index_base_PKT1_PKT2_PKS4_S4_S5_PS6_PS9_PS4_.uses_flat_scratch, 0
	.set _ZN9rocsparseL33bsr2csr_block_per_row_8_32_kernelILj1024ELj16E21rocsparse_complex_numIfEliEEv20rocsparse_direction_T3_S4_21rocsparse_index_base_PKT1_PKT2_PKS4_S4_S5_PS6_PS9_PS4_.has_dyn_sized_stack, 0
	.set _ZN9rocsparseL33bsr2csr_block_per_row_8_32_kernelILj1024ELj16E21rocsparse_complex_numIfEliEEv20rocsparse_direction_T3_S4_21rocsparse_index_base_PKT1_PKT2_PKS4_S4_S5_PS6_PS9_PS4_.has_recursion, 0
	.set _ZN9rocsparseL33bsr2csr_block_per_row_8_32_kernelILj1024ELj16E21rocsparse_complex_numIfEliEEv20rocsparse_direction_T3_S4_21rocsparse_index_base_PKT1_PKT2_PKS4_S4_S5_PS6_PS9_PS4_.has_indirect_call, 0
	.section	.AMDGPU.csdata,"",@progbits
; Kernel info:
; codeLenInByte = 860
; TotalNumSgprs: 24
; NumVgprs: 17
; ScratchSize: 0
; MemoryBound: 0
; FloatMode: 240
; IeeeMode: 1
; LDSByteSize: 0 bytes/workgroup (compile time only)
; SGPRBlocks: 0
; VGPRBlocks: 2
; NumSGPRsForWavesPerEU: 24
; NumVGPRsForWavesPerEU: 17
; Occupancy: 16
; WaveLimiterHint : 0
; COMPUTE_PGM_RSRC2:SCRATCH_EN: 0
; COMPUTE_PGM_RSRC2:USER_SGPR: 6
; COMPUTE_PGM_RSRC2:TRAP_HANDLER: 0
; COMPUTE_PGM_RSRC2:TGID_X_EN: 1
; COMPUTE_PGM_RSRC2:TGID_Y_EN: 0
; COMPUTE_PGM_RSRC2:TGID_Z_EN: 0
; COMPUTE_PGM_RSRC2:TIDIG_COMP_CNT: 0
	.section	.text._ZN9rocsparseL33bsr2csr_block_per_row_8_32_kernelILj1024ELj32E21rocsparse_complex_numIfEliEEv20rocsparse_direction_T3_S4_21rocsparse_index_base_PKT1_PKT2_PKS4_S4_S5_PS6_PS9_PS4_,"axG",@progbits,_ZN9rocsparseL33bsr2csr_block_per_row_8_32_kernelILj1024ELj32E21rocsparse_complex_numIfEliEEv20rocsparse_direction_T3_S4_21rocsparse_index_base_PKT1_PKT2_PKS4_S4_S5_PS6_PS9_PS4_,comdat
	.globl	_ZN9rocsparseL33bsr2csr_block_per_row_8_32_kernelILj1024ELj32E21rocsparse_complex_numIfEliEEv20rocsparse_direction_T3_S4_21rocsparse_index_base_PKT1_PKT2_PKS4_S4_S5_PS6_PS9_PS4_ ; -- Begin function _ZN9rocsparseL33bsr2csr_block_per_row_8_32_kernelILj1024ELj32E21rocsparse_complex_numIfEliEEv20rocsparse_direction_T3_S4_21rocsparse_index_base_PKT1_PKT2_PKS4_S4_S5_PS6_PS9_PS4_
	.p2align	8
	.type	_ZN9rocsparseL33bsr2csr_block_per_row_8_32_kernelILj1024ELj32E21rocsparse_complex_numIfEliEEv20rocsparse_direction_T3_S4_21rocsparse_index_base_PKT1_PKT2_PKS4_S4_S5_PS6_PS9_PS4_,@function
_ZN9rocsparseL33bsr2csr_block_per_row_8_32_kernelILj1024ELj32E21rocsparse_complex_numIfEliEEv20rocsparse_direction_T3_S4_21rocsparse_index_base_PKT1_PKT2_PKS4_S4_S5_PS6_PS9_PS4_: ; @_ZN9rocsparseL33bsr2csr_block_per_row_8_32_kernelILj1024ELj32E21rocsparse_complex_numIfEliEEv20rocsparse_direction_T3_S4_21rocsparse_index_base_PKT1_PKT2_PKS4_S4_S5_PS6_PS9_PS4_
; %bb.0:
	s_clause 0x2
	s_load_dwordx2 s[0:1], s[4:5], 0x18
	s_load_dwordx2 s[8:9], s[4:5], 0x28
	;; [unrolled: 1-line block ×3, first 2 shown]
	s_ashr_i32 s7, s6, 31
	v_or_b32_e32 v1, s6, v0
	s_lshl_b64 s[2:3], s[6:7], 3
	s_waitcnt lgkmcnt(0)
	s_add_u32 s0, s0, s2
	s_addc_u32 s1, s1, s3
	s_mov_b32 s2, exec_lo
	v_cmpx_eq_u32_e32 0, v1
	s_cbranch_execz .LBB178_2
; %bb.1:
	v_mov_b32_e32 v1, s9
	v_mov_b32_e32 v2, 0
	global_store_dwordx2 v2, v[1:2], s[16:17]
.LBB178_2:
	s_or_b32 exec_lo, exec_lo, s2
	v_and_b32_e32 v3, 31, v0
	v_lshrrev_b32_e32 v0, 5, v0
	s_mov_b32 s2, exec_lo
	v_max_i32_e32 v1, v0, v3
	v_cmpx_gt_i32_e64 s8, v1
	s_cbranch_execz .LBB178_6
; %bb.3:
	s_load_dwordx4 s[0:3], s[0:1], 0x0
	s_load_dword s10, s[4:5], 0xc
	v_mad_u64_u32 v[4:5], null, s8, s6, v[0:1]
	s_mul_i32 s14, s8, s8
	v_ashrrev_i32_e32 v5, 31, v4
	v_lshlrev_b64 v[4:5], 3, v[4:5]
	v_add_co_u32 v4, vcc_lo, s16, v4
	s_waitcnt lgkmcnt(0)
	s_sub_u32 s6, s0, s10
	s_subb_u32 s7, s1, 0
	s_mul_hi_u32 s11, s6, s14
	s_mul_i32 s15, s7, s14
	s_sub_u32 s12, s2, s10
	s_subb_u32 s13, s3, 0
	s_add_i32 s19, s11, s15
	s_sub_u32 s11, s12, s6
	s_mul_i32 s18, s6, s14
	s_mul_i32 s15, s11, s8
	s_subb_u32 s20, s13, s7
	v_mad_u64_u32 v[1:2], null, s15, v0, s[18:19]
	s_mul_hi_u32 s11, s11, s8
	s_mul_i32 s20, s20, s8
	v_cmp_ge_i64_e64 s2, s[0:1], s[2:3]
	s_add_i32 s11, s11, s20
	s_add_u32 s3, s15, s9
	v_add_co_ci_u32_e64 v5, null, s17, v5, vcc_lo
	v_mad_u64_u32 v[6:7], null, s11, v0, v[2:3]
	s_addc_u32 s11, s11, 0
	v_add_co_u32 v7, vcc_lo, s3, v1
	v_add_co_ci_u32_e64 v8, null, s11, v6, vcc_lo
	s_mov_b32 s11, 0
	s_and_b32 vcc_lo, exec_lo, s2
	global_store_dwordx2 v[4:5], v[7:8], off offset:8
	s_cbranch_vccnz .LBB178_6
; %bb.4:
	s_clause 0x3
	s_load_dwordx2 s[16:17], s[4:5], 0x20
	s_load_dwordx2 s[20:21], s[4:5], 0x30
	s_load_dword s26, s[4:5], 0x0
	s_load_dwordx2 s[2:3], s[4:5], 0x10
	v_mul_lo_u32 v4, s8, v3
	v_mov_b32_e32 v5, 0
	v_mov_b32_e32 v2, v6
	v_lshlrev_b32_e32 v8, 3, v3
	s_load_dwordx2 s[22:23], s[4:5], 0x40
	s_mov_b32 s15, s11
	s_mov_b32 s24, s8
	s_mov_b32 s25, s11
	v_lshlrev_b64 v[6:7], 3, v[4:5]
	v_mul_lo_u32 v4, s8, v0
	v_lshlrev_b32_e32 v0, 3, v0
	v_lshlrev_b64 v[4:5], 3, v[4:5]
	s_waitcnt lgkmcnt(0)
	s_cmp_eq_u32 s26, 0
	v_add_co_u32 v6, vcc_lo, s2, v6
	v_add_co_ci_u32_e64 v7, null, s3, v7, vcc_lo
	v_add_co_u32 v4, vcc_lo, s2, v4
	v_add_co_ci_u32_e64 v5, null, s3, v5, vcc_lo
	;; [unrolled: 2-line block ×5, first 2 shown]
	s_cselect_b32 vcc_lo, -1, 0
	s_lshl_b64 s[2:3], s[18:19], 3
	v_cndmask_b32_e32 v1, v0, v7, vcc_lo
	v_cndmask_b32_e32 v2, v6, v8, vcc_lo
	v_lshlrev_b64 v[6:7], 3, v[4:5]
	v_lshlrev_b64 v[8:9], 2, v[4:5]
	v_add_nc_u32_e32 v0, s9, v3
	v_add_co_u32 v1, vcc_lo, v1, s2
	v_add_co_ci_u32_e64 v2, null, s3, v2, vcc_lo
	v_add_co_u32 v3, vcc_lo, s20, v6
	v_add_co_ci_u32_e64 v4, null, s21, v7, vcc_lo
	v_add_co_u32 v5, vcc_lo, s22, v8
	s_lshl_b64 s[0:1], s[0:1], 2
	s_lshl_b64 s[18:19], s[10:11], 2
	;; [unrolled: 1-line block ×5, first 2 shown]
	v_add_co_ci_u32_e64 v6, null, s23, v9, vcc_lo
	s_sub_u32 s0, s0, s18
	s_subb_u32 s1, s1, s19
	s_add_u32 s16, s16, s0
	s_addc_u32 s17, s17, s1
	.p2align	6
.LBB178_5:                              ; =>This Inner Loop Header: Depth=1
	global_load_dwordx2 v[7:8], v[1:2], off
	s_load_dword s0, s[16:17], 0x0
	v_add_co_u32 v1, vcc_lo, v1, s2
	v_add_co_ci_u32_e64 v2, null, s3, v2, vcc_lo
	s_waitcnt lgkmcnt(0)
	s_sub_i32 s0, s0, s10
	s_add_u32 s6, s6, 1
	v_mad_u64_u32 v[9:10], null, s0, s8, v[0:1]
	s_addc_u32 s7, s7, 0
	s_add_u32 s16, s16, 4
	v_cmp_lt_i64_e64 s0, s[6:7], s[12:13]
	s_addc_u32 s17, s17, 0
	global_store_dword v[5:6], v9, off
	v_add_co_u32 v5, vcc_lo, v5, s14
	v_add_co_ci_u32_e64 v6, null, s15, v6, vcc_lo
	s_and_b32 vcc_lo, exec_lo, s0
	s_waitcnt vmcnt(0)
	global_store_dwordx2 v[3:4], v[7:8], off
	v_add_co_u32 v3, s0, v3, s4
	v_add_co_ci_u32_e64 v4, null, s5, v4, s0
	s_cbranch_vccnz .LBB178_5
.LBB178_6:
	s_endpgm
	.section	.rodata,"a",@progbits
	.p2align	6, 0x0
	.amdhsa_kernel _ZN9rocsparseL33bsr2csr_block_per_row_8_32_kernelILj1024ELj32E21rocsparse_complex_numIfEliEEv20rocsparse_direction_T3_S4_21rocsparse_index_base_PKT1_PKT2_PKS4_S4_S5_PS6_PS9_PS4_
		.amdhsa_group_segment_fixed_size 0
		.amdhsa_private_segment_fixed_size 0
		.amdhsa_kernarg_size 72
		.amdhsa_user_sgpr_count 6
		.amdhsa_user_sgpr_private_segment_buffer 1
		.amdhsa_user_sgpr_dispatch_ptr 0
		.amdhsa_user_sgpr_queue_ptr 0
		.amdhsa_user_sgpr_kernarg_segment_ptr 1
		.amdhsa_user_sgpr_dispatch_id 0
		.amdhsa_user_sgpr_flat_scratch_init 0
		.amdhsa_user_sgpr_private_segment_size 0
		.amdhsa_wavefront_size32 1
		.amdhsa_uses_dynamic_stack 0
		.amdhsa_system_sgpr_private_segment_wavefront_offset 0
		.amdhsa_system_sgpr_workgroup_id_x 1
		.amdhsa_system_sgpr_workgroup_id_y 0
		.amdhsa_system_sgpr_workgroup_id_z 0
		.amdhsa_system_sgpr_workgroup_info 0
		.amdhsa_system_vgpr_workitem_id 0
		.amdhsa_next_free_vgpr 11
		.amdhsa_next_free_sgpr 27
		.amdhsa_reserve_vcc 1
		.amdhsa_reserve_flat_scratch 0
		.amdhsa_float_round_mode_32 0
		.amdhsa_float_round_mode_16_64 0
		.amdhsa_float_denorm_mode_32 3
		.amdhsa_float_denorm_mode_16_64 3
		.amdhsa_dx10_clamp 1
		.amdhsa_ieee_mode 1
		.amdhsa_fp16_overflow 0
		.amdhsa_workgroup_processor_mode 1
		.amdhsa_memory_ordered 1
		.amdhsa_forward_progress 1
		.amdhsa_shared_vgpr_count 0
		.amdhsa_exception_fp_ieee_invalid_op 0
		.amdhsa_exception_fp_denorm_src 0
		.amdhsa_exception_fp_ieee_div_zero 0
		.amdhsa_exception_fp_ieee_overflow 0
		.amdhsa_exception_fp_ieee_underflow 0
		.amdhsa_exception_fp_ieee_inexact 0
		.amdhsa_exception_int_div_zero 0
	.end_amdhsa_kernel
	.section	.text._ZN9rocsparseL33bsr2csr_block_per_row_8_32_kernelILj1024ELj32E21rocsparse_complex_numIfEliEEv20rocsparse_direction_T3_S4_21rocsparse_index_base_PKT1_PKT2_PKS4_S4_S5_PS6_PS9_PS4_,"axG",@progbits,_ZN9rocsparseL33bsr2csr_block_per_row_8_32_kernelILj1024ELj32E21rocsparse_complex_numIfEliEEv20rocsparse_direction_T3_S4_21rocsparse_index_base_PKT1_PKT2_PKS4_S4_S5_PS6_PS9_PS4_,comdat
.Lfunc_end178:
	.size	_ZN9rocsparseL33bsr2csr_block_per_row_8_32_kernelILj1024ELj32E21rocsparse_complex_numIfEliEEv20rocsparse_direction_T3_S4_21rocsparse_index_base_PKT1_PKT2_PKS4_S4_S5_PS6_PS9_PS4_, .Lfunc_end178-_ZN9rocsparseL33bsr2csr_block_per_row_8_32_kernelILj1024ELj32E21rocsparse_complex_numIfEliEEv20rocsparse_direction_T3_S4_21rocsparse_index_base_PKT1_PKT2_PKS4_S4_S5_PS6_PS9_PS4_
                                        ; -- End function
	.set _ZN9rocsparseL33bsr2csr_block_per_row_8_32_kernelILj1024ELj32E21rocsparse_complex_numIfEliEEv20rocsparse_direction_T3_S4_21rocsparse_index_base_PKT1_PKT2_PKS4_S4_S5_PS6_PS9_PS4_.num_vgpr, 11
	.set _ZN9rocsparseL33bsr2csr_block_per_row_8_32_kernelILj1024ELj32E21rocsparse_complex_numIfEliEEv20rocsparse_direction_T3_S4_21rocsparse_index_base_PKT1_PKT2_PKS4_S4_S5_PS6_PS9_PS4_.num_agpr, 0
	.set _ZN9rocsparseL33bsr2csr_block_per_row_8_32_kernelILj1024ELj32E21rocsparse_complex_numIfEliEEv20rocsparse_direction_T3_S4_21rocsparse_index_base_PKT1_PKT2_PKS4_S4_S5_PS6_PS9_PS4_.numbered_sgpr, 27
	.set _ZN9rocsparseL33bsr2csr_block_per_row_8_32_kernelILj1024ELj32E21rocsparse_complex_numIfEliEEv20rocsparse_direction_T3_S4_21rocsparse_index_base_PKT1_PKT2_PKS4_S4_S5_PS6_PS9_PS4_.num_named_barrier, 0
	.set _ZN9rocsparseL33bsr2csr_block_per_row_8_32_kernelILj1024ELj32E21rocsparse_complex_numIfEliEEv20rocsparse_direction_T3_S4_21rocsparse_index_base_PKT1_PKT2_PKS4_S4_S5_PS6_PS9_PS4_.private_seg_size, 0
	.set _ZN9rocsparseL33bsr2csr_block_per_row_8_32_kernelILj1024ELj32E21rocsparse_complex_numIfEliEEv20rocsparse_direction_T3_S4_21rocsparse_index_base_PKT1_PKT2_PKS4_S4_S5_PS6_PS9_PS4_.uses_vcc, 1
	.set _ZN9rocsparseL33bsr2csr_block_per_row_8_32_kernelILj1024ELj32E21rocsparse_complex_numIfEliEEv20rocsparse_direction_T3_S4_21rocsparse_index_base_PKT1_PKT2_PKS4_S4_S5_PS6_PS9_PS4_.uses_flat_scratch, 0
	.set _ZN9rocsparseL33bsr2csr_block_per_row_8_32_kernelILj1024ELj32E21rocsparse_complex_numIfEliEEv20rocsparse_direction_T3_S4_21rocsparse_index_base_PKT1_PKT2_PKS4_S4_S5_PS6_PS9_PS4_.has_dyn_sized_stack, 0
	.set _ZN9rocsparseL33bsr2csr_block_per_row_8_32_kernelILj1024ELj32E21rocsparse_complex_numIfEliEEv20rocsparse_direction_T3_S4_21rocsparse_index_base_PKT1_PKT2_PKS4_S4_S5_PS6_PS9_PS4_.has_recursion, 0
	.set _ZN9rocsparseL33bsr2csr_block_per_row_8_32_kernelILj1024ELj32E21rocsparse_complex_numIfEliEEv20rocsparse_direction_T3_S4_21rocsparse_index_base_PKT1_PKT2_PKS4_S4_S5_PS6_PS9_PS4_.has_indirect_call, 0
	.section	.AMDGPU.csdata,"",@progbits
; Kernel info:
; codeLenInByte = 776
; TotalNumSgprs: 29
; NumVgprs: 11
; ScratchSize: 0
; MemoryBound: 0
; FloatMode: 240
; IeeeMode: 1
; LDSByteSize: 0 bytes/workgroup (compile time only)
; SGPRBlocks: 0
; VGPRBlocks: 1
; NumSGPRsForWavesPerEU: 29
; NumVGPRsForWavesPerEU: 11
; Occupancy: 16
; WaveLimiterHint : 0
; COMPUTE_PGM_RSRC2:SCRATCH_EN: 0
; COMPUTE_PGM_RSRC2:USER_SGPR: 6
; COMPUTE_PGM_RSRC2:TRAP_HANDLER: 0
; COMPUTE_PGM_RSRC2:TGID_X_EN: 1
; COMPUTE_PGM_RSRC2:TGID_Y_EN: 0
; COMPUTE_PGM_RSRC2:TGID_Z_EN: 0
; COMPUTE_PGM_RSRC2:TIDIG_COMP_CNT: 0
	.section	.text._ZN9rocsparseL35bsr2csr_block_per_row_33_256_kernelILj1024ELj64ELj32E21rocsparse_complex_numIfEliEEv20rocsparse_direction_T4_S4_21rocsparse_index_base_PKT2_PKT3_PKS4_S4_S5_PS6_PS9_PS4_,"axG",@progbits,_ZN9rocsparseL35bsr2csr_block_per_row_33_256_kernelILj1024ELj64ELj32E21rocsparse_complex_numIfEliEEv20rocsparse_direction_T4_S4_21rocsparse_index_base_PKT2_PKT3_PKS4_S4_S5_PS6_PS9_PS4_,comdat
	.globl	_ZN9rocsparseL35bsr2csr_block_per_row_33_256_kernelILj1024ELj64ELj32E21rocsparse_complex_numIfEliEEv20rocsparse_direction_T4_S4_21rocsparse_index_base_PKT2_PKT3_PKS4_S4_S5_PS6_PS9_PS4_ ; -- Begin function _ZN9rocsparseL35bsr2csr_block_per_row_33_256_kernelILj1024ELj64ELj32E21rocsparse_complex_numIfEliEEv20rocsparse_direction_T4_S4_21rocsparse_index_base_PKT2_PKT3_PKS4_S4_S5_PS6_PS9_PS4_
	.p2align	8
	.type	_ZN9rocsparseL35bsr2csr_block_per_row_33_256_kernelILj1024ELj64ELj32E21rocsparse_complex_numIfEliEEv20rocsparse_direction_T4_S4_21rocsparse_index_base_PKT2_PKT3_PKS4_S4_S5_PS6_PS9_PS4_,@function
_ZN9rocsparseL35bsr2csr_block_per_row_33_256_kernelILj1024ELj64ELj32E21rocsparse_complex_numIfEliEEv20rocsparse_direction_T4_S4_21rocsparse_index_base_PKT2_PKT3_PKS4_S4_S5_PS6_PS9_PS4_: ; @_ZN9rocsparseL35bsr2csr_block_per_row_33_256_kernelILj1024ELj64ELj32E21rocsparse_complex_numIfEliEEv20rocsparse_direction_T4_S4_21rocsparse_index_base_PKT2_PKT3_PKS4_S4_S5_PS6_PS9_PS4_
; %bb.0:
	s_load_dwordx2 s[0:1], s[4:5], 0x18
	s_ashr_i32 s7, s6, 31
	s_clause 0x1
	s_load_dwordx2 s[12:13], s[4:5], 0x28
	s_load_dwordx2 s[22:23], s[4:5], 0x38
	s_lshl_b64 s[2:3], s[6:7], 3
	v_or_b32_e32 v1, s6, v0
	s_mov_b32 s15, 0
	s_waitcnt lgkmcnt(0)
	s_add_u32 s0, s0, s2
	s_addc_u32 s1, s1, s3
	s_load_dwordx4 s[8:11], s[0:1], 0x0
	s_mov_b32 s0, exec_lo
	v_cmpx_eq_u32_e32 0, v1
	s_cbranch_execz .LBB179_2
; %bb.1:
	s_mov_b32 s14, s13
	v_mov_b32_e32 v3, 0
	v_mov_b32_e32 v1, s14
	;; [unrolled: 1-line block ×3, first 2 shown]
	global_store_dwordx2 v3, v[1:2], s[22:23]
.LBB179_2:
	s_or_b32 exec_lo, exec_lo, s0
	s_load_dword s14, s[4:5], 0xc
	s_mul_i32 s26, s12, s12
	v_lshrrev_b32_e32 v1, 5, v0
	v_cmp_gt_i32_e64 s1, s12, v1
	s_waitcnt lgkmcnt(0)
	s_sub_u32 s16, s8, s14
	s_subb_u32 s17, s9, 0
	s_mul_hi_u32 s0, s16, s26
	s_mul_i32 s2, s17, s26
	s_sub_u32 s18, s10, s14
	s_subb_u32 s19, s11, 0
	s_add_i32 s21, s0, s2
	s_sub_u32 s35, s18, s16
	s_subb_u32 s34, s19, s17
	s_mul_hi_u32 s0, s35, s12
	s_mul_i32 s2, s34, s12
	s_mul_i32 s20, s16, s26
	s_add_i32 s0, s0, s2
	s_mul_i32 s7, s35, s12
	s_add_u32 s2, s20, s13
	s_addc_u32 s3, s21, 0
	s_add_u32 s24, s2, s7
	s_addc_u32 s25, s3, s0
	s_mul_i32 s3, s12, s6
	s_and_saveexec_b32 s2, s1
	s_cbranch_execz .LBB179_4
; %bb.3:
	v_add_nc_u32_e32 v4, s3, v1
	v_mad_u64_u32 v[2:3], null, s7, v1, s[24:25]
	v_ashrrev_i32_e32 v5, 31, v4
	v_mad_u64_u32 v[6:7], null, s0, v1, v[3:4]
	v_lshlrev_b64 v[4:5], 3, v[4:5]
	v_add_co_u32 v4, vcc_lo, s22, v4
	v_mov_b32_e32 v3, v6
	v_add_co_ci_u32_e64 v5, null, s23, v5, vcc_lo
	global_store_dwordx2 v[4:5], v[2:3], off offset:8
.LBB179_4:
	s_or_b32 exec_lo, exec_lo, s2
	v_or_b32_e32 v12, 32, v1
	v_cmp_gt_i32_e64 s2, s12, v12
	s_and_saveexec_b32 s6, s2
	s_cbranch_execz .LBB179_6
; %bb.5:
	v_mad_u64_u32 v[2:3], null, s7, v12, s[24:25]
	s_ashr_i32 s7, s3, 31
	v_add_co_u32 v4, s3, v1, s3
	v_add_co_ci_u32_e64 v5, null, 0, s7, s3
	v_mad_u64_u32 v[6:7], null, s0, v12, v[3:4]
	v_lshlrev_b64 v[4:5], 3, v[4:5]
	v_add_co_u32 v4, vcc_lo, s22, v4
	v_mov_b32_e32 v3, v6
	v_add_co_ci_u32_e64 v5, null, s23, v5, vcc_lo
	global_store_dwordx2 v[4:5], v[2:3], off offset:264
.LBB179_6:
	s_or_b32 exec_lo, exec_lo, s6
	v_cmp_lt_i64_e64 s0, s[8:9], s[10:11]
	s_and_b32 vcc_lo, exec_lo, s0
	s_cbranch_vccz .LBB179_17
; %bb.7:
	s_clause 0x4
	s_load_dwordx2 s[6:7], s[4:5], 0x20
	s_load_dwordx2 s[22:23], s[4:5], 0x30
	s_load_dword s0, s[4:5], 0x0
	s_load_dwordx2 s[28:29], s[4:5], 0x10
	s_load_dwordx2 s[24:25], s[4:5], 0x40
	v_mul_lo_u32 v4, v1, s12
	v_mov_b32_e32 v5, 0
	v_and_b32_e32 v2, 31, v0
	v_mad_u64_u32 v[13:14], null, v1, s35, 0
	s_mov_b32 s10, s12
	v_mov_b32_e32 v7, v5
	v_mov_b32_e32 v11, v5
	;; [unrolled: 1-line block ×3, first 2 shown]
	v_cmp_gt_i32_e32 vcc_lo, s12, v2
	v_lshlrev_b32_e32 v22, 3, v2
	v_mul_lo_u32 v6, v2, s12
	v_mad_u64_u32 v[16:17], null, v13, s10, 0
	v_lshlrev_b32_e32 v18, 3, v1
	v_or_b32_e32 v3, 32, v2
	s_mov_b32 s27, s15
	s_waitcnt lgkmcnt(0)
	s_cmp_eq_u32 s0, 0
	s_mov_b32 s11, s15
	s_cselect_b32 s0, -1, 0
	s_lshl_b32 s4, s12, 5
	s_and_b32 s30, s1, vcc_lo
	v_add_nc_u32_e32 v8, s4, v4
	v_lshlrev_b64 v[4:5], 3, v[4:5]
	s_and_b32 s31, s2, vcc_lo
	v_add_nc_u32_e32 v10, s4, v6
	v_cmp_gt_i32_e64 s3, s12, v3
	v_lshlrev_b64 v[8:9], 3, v[8:9]
	s_lshl_b64 s[4:5], s[26:27], 3
	v_add_co_u32 v0, vcc_lo, v4, v22
	v_add_co_ci_u32_e64 v5, null, 0, v5, vcc_lo
	v_lshlrev_b64 v[10:11], 3, v[10:11]
	v_add_co_u32 v4, vcc_lo, s28, v0
	v_add_co_ci_u32_e64 v5, null, s29, v5, vcc_lo
	v_add_co_u32 v0, vcc_lo, v8, v22
	v_add_co_ci_u32_e64 v15, null, 0, v9, vcc_lo
	v_lshlrev_b64 v[8:9], 3, v[6:7]
	v_add_co_u32 v6, vcc_lo, s28, v0
	v_mov_b32_e32 v0, v14
	v_mad_u64_u32 v[13:14], null, s35, v12, 0
	v_add_co_ci_u32_e64 v7, null, s29, v15, vcc_lo
	v_mad_u64_u32 v[0:1], null, v1, s34, v[0:1]
	v_mov_b32_e32 v1, v17
	v_add_co_u32 v8, vcc_lo, v18, v8
	v_add_co_ci_u32_e64 v9, null, 0, v9, vcc_lo
	s_lshl_b64 s[8:9], s[8:9], 2
	v_mad_u64_u32 v[0:1], null, v0, s10, v[1:2]
	v_add_co_u32 v8, vcc_lo, s28, v8
	v_add_co_ci_u32_e64 v9, null, s29, v9, vcc_lo
	v_add_co_u32 v10, vcc_lo, v18, v10
	v_mov_b32_e32 v1, v14
	v_mad_u64_u32 v[18:19], null, v13, s10, 0
	v_mov_b32_e32 v17, v0
	v_add_co_ci_u32_e64 v11, null, 0, v11, vcc_lo
	v_mad_u64_u32 v[0:1], null, s34, v12, v[1:2]
	v_lshlrev_b64 v[12:13], 2, v[16:17]
	v_mov_b32_e32 v1, v19
	v_add_co_u32 v10, vcc_lo, s28, v10
	v_add_co_ci_u32_e64 v11, null, s29, v11, vcc_lo
	v_mad_u64_u32 v[0:1], null, v0, s10, v[1:2]
	v_add_co_u32 v1, vcc_lo, s24, v12
	v_add_co_ci_u32_e64 v13, null, s25, v13, vcc_lo
	v_add_co_u32 v12, vcc_lo, v18, s20
	v_add_co_ci_u32_e64 v15, null, s21, v0, vcc_lo
	s_lshl_b64 s[26:27], s[14:15], 2
	v_add_co_u32 v14, vcc_lo, v12, v2
	v_add_co_ci_u32_e64 v15, null, 0, v15, vcc_lo
	s_and_b32 s1, s1, s3
	s_and_b32 s33, s2, s3
	s_lshl_b64 s[2:3], s[20:21], 3
	s_sub_u32 s8, s8, s26
	v_lshlrev_b32_e32 v19, 2, v2
	v_lshlrev_b64 v[20:21], 3, v[14:15]
	s_subb_u32 s9, s9, s27
	s_add_u32 s6, s6, s8
	s_addc_u32 s7, s7, s9
	s_lshl_b64 s[8:9], s[20:21], 2
	v_add_co_u32 v12, vcc_lo, 0x80, v1
	v_add_co_u32 v14, s8, s8, v19
	v_mov_b32_e32 v19, v0
	v_add_co_ci_u32_e64 v13, null, 0, v13, vcc_lo
	v_add_co_u32 v0, vcc_lo, s22, v20
	v_lshlrev_b64 v[16:17], 3, v[16:17]
	v_add_co_ci_u32_e64 v1, null, s23, v21, vcc_lo
	v_lshlrev_b64 v[18:19], 2, v[18:19]
	v_add_co_u32 v0, vcc_lo, 0x100, v0
	v_add_co_ci_u32_e64 v1, null, 0, v1, vcc_lo
	v_add_co_u32 v20, vcc_lo, v16, v22
	v_add_co_ci_u32_e64 v21, null, 0, v17, vcc_lo
	;; [unrolled: 2-line block ×3, first 2 shown]
	v_add_co_u32 v18, vcc_lo, s2, v20
	v_add_co_ci_u32_e64 v15, null, s9, 0, s8
	v_add_co_ci_u32_e64 v19, null, s3, v21, vcc_lo
	s_lshl_b64 s[8:9], s[10:11], 2
	s_lshl_b64 s[10:11], s[10:11], 3
	s_add_u32 s15, s22, 0x100
	s_addc_u32 s20, s23, 0
	s_branch .LBB179_9
.LBB179_8:                              ;   in Loop: Header=BB179_9 Depth=1
	s_or_b32 exec_lo, exec_lo, s21
	v_add_co_u32 v4, vcc_lo, v4, s4
	v_add_co_ci_u32_e64 v5, null, s5, v5, vcc_lo
	v_add_co_u32 v6, vcc_lo, v6, s4
	v_add_co_ci_u32_e64 v7, null, s5, v7, vcc_lo
	v_add_co_u32 v8, vcc_lo, v8, s4
	s_add_u32 s16, s16, 1
	v_add_co_ci_u32_e64 v9, null, s5, v9, vcc_lo
	v_add_co_u32 v10, vcc_lo, v10, s4
	s_addc_u32 s17, s17, 0
	v_add_co_ci_u32_e64 v11, null, s5, v11, vcc_lo
	v_add_co_u32 v14, vcc_lo, v14, s8
	v_cmp_ge_i64_e64 s21, s[16:17], s[18:19]
	v_add_co_ci_u32_e64 v15, null, s9, v15, vcc_lo
	v_add_co_u32 v0, vcc_lo, v0, s10
	s_add_u32 s6, s6, 4
	v_add_co_ci_u32_e64 v1, null, s11, v1, vcc_lo
	s_addc_u32 s7, s7, 0
	s_add_u32 s15, s15, s10
	s_addc_u32 s20, s20, s11
	s_and_b32 vcc_lo, exec_lo, s21
	s_cbranch_vccnz .LBB179_17
.LBB179_9:                              ; =>This Inner Loop Header: Depth=1
	s_load_dword s21, s[6:7], 0x0
	s_waitcnt lgkmcnt(0)
	s_sub_i32 s21, s21, s14
	s_mul_i32 s21, s21, s12
	s_add_i32 s21, s21, s13
	v_add_nc_u32_e32 v20, s21, v2
	s_and_saveexec_b32 s22, s30
	s_cbranch_execnz .LBB179_13
; %bb.10:                               ;   in Loop: Header=BB179_9 Depth=1
	s_or_b32 exec_lo, exec_lo, s22
	v_add_nc_u32_e32 v21, s21, v3
	s_and_saveexec_b32 s21, s1
	s_cbranch_execnz .LBB179_14
.LBB179_11:                             ;   in Loop: Header=BB179_9 Depth=1
	s_or_b32 exec_lo, exec_lo, s21
	s_and_saveexec_b32 s21, s31
	s_cbranch_execnz .LBB179_15
.LBB179_12:                             ;   in Loop: Header=BB179_9 Depth=1
	s_or_b32 exec_lo, exec_lo, s21
	s_and_saveexec_b32 s21, s33
	s_cbranch_execz .LBB179_8
	s_branch .LBB179_16
.LBB179_13:                             ;   in Loop: Header=BB179_9 Depth=1
	v_add_co_u32 v21, vcc_lo, v4, s2
	v_add_co_ci_u32_e64 v22, null, s3, v5, vcc_lo
	v_add_co_u32 v23, vcc_lo, v8, s2
	v_add_co_ci_u32_e64 v24, null, s3, v9, vcc_lo
	v_cndmask_b32_e64 v21, v23, v21, s0
	v_add_co_u32 v23, vcc_lo, v12, v14
	v_cndmask_b32_e64 v22, v24, v22, s0
	v_add_co_ci_u32_e64 v24, null, v13, v15, vcc_lo
	v_add_co_u32 v25, vcc_lo, s15, v18
	global_load_dwordx2 v[21:22], v[21:22], off
	v_add_co_ci_u32_e64 v26, null, s20, v19, vcc_lo
	global_store_dword v[23:24], v20, off offset:-128
	s_waitcnt vmcnt(0)
	global_store_dwordx2 v[25:26], v[21:22], off offset:-256
	s_or_b32 exec_lo, exec_lo, s22
	v_add_nc_u32_e32 v21, s21, v3
	s_and_saveexec_b32 s21, s1
	s_cbranch_execz .LBB179_11
.LBB179_14:                             ;   in Loop: Header=BB179_9 Depth=1
	v_add_co_u32 v22, vcc_lo, v4, s2
	v_add_co_ci_u32_e64 v23, null, s3, v5, vcc_lo
	v_add_co_u32 v22, vcc_lo, 0x100, v22
	v_add_co_ci_u32_e64 v23, null, 0, v23, vcc_lo
	;; [unrolled: 2-line block ×3, first 2 shown]
	v_cndmask_b32_e64 v22, v24, v22, s0
	v_add_co_u32 v24, vcc_lo, v12, v14
	v_cndmask_b32_e64 v23, v25, v23, s0
	v_add_co_ci_u32_e64 v25, null, v13, v15, vcc_lo
	v_add_co_u32 v26, vcc_lo, s15, v18
	global_load_dwordx2 v[22:23], v[22:23], off
	v_add_co_ci_u32_e64 v27, null, s20, v19, vcc_lo
	global_store_dword v[24:25], v21, off
	s_waitcnt vmcnt(0)
	global_store_dwordx2 v[26:27], v[22:23], off
	s_or_b32 exec_lo, exec_lo, s21
	s_and_saveexec_b32 s21, s31
	s_cbranch_execz .LBB179_12
.LBB179_15:                             ;   in Loop: Header=BB179_9 Depth=1
	v_add_co_u32 v22, vcc_lo, v8, s2
	v_add_co_ci_u32_e64 v23, null, s3, v9, vcc_lo
	v_add_co_u32 v24, vcc_lo, v6, s2
	v_add_co_ci_u32_e64 v25, null, s3, v7, vcc_lo
	;; [unrolled: 2-line block ×3, first 2 shown]
	v_cndmask_b32_e64 v22, v22, v24, s0
	v_add_co_u32 v24, vcc_lo, v16, v14
	v_cndmask_b32_e64 v23, v23, v25, s0
	v_add_co_ci_u32_e64 v25, null, v17, v15, vcc_lo
	global_load_dwordx2 v[22:23], v[22:23], off
	global_store_dword v[24:25], v20, off
	s_waitcnt vmcnt(0)
	global_store_dwordx2 v[0:1], v[22:23], off offset:-256
	s_or_b32 exec_lo, exec_lo, s21
	s_and_saveexec_b32 s21, s33
	s_cbranch_execz .LBB179_8
.LBB179_16:                             ;   in Loop: Header=BB179_9 Depth=1
	v_add_co_u32 v20, vcc_lo, v6, s2
	v_add_co_ci_u32_e64 v22, null, s3, v7, vcc_lo
	v_add_co_u32 v24, vcc_lo, v10, s2
	v_add_co_ci_u32_e64 v23, null, s3, v11, vcc_lo
	v_cndmask_b32_e64 v23, v23, v22, s0
	v_cndmask_b32_e64 v22, v24, v20, s0
	v_add_co_u32 v24, vcc_lo, v16, v14
	v_add_co_ci_u32_e64 v25, null, v17, v15, vcc_lo
	global_load_dwordx2 v[22:23], v[22:23], off offset:256
	global_store_dword v[24:25], v21, off offset:128
	s_waitcnt vmcnt(0)
	global_store_dwordx2 v[0:1], v[22:23], off
	s_branch .LBB179_8
.LBB179_17:
	s_endpgm
	.section	.rodata,"a",@progbits
	.p2align	6, 0x0
	.amdhsa_kernel _ZN9rocsparseL35bsr2csr_block_per_row_33_256_kernelILj1024ELj64ELj32E21rocsparse_complex_numIfEliEEv20rocsparse_direction_T4_S4_21rocsparse_index_base_PKT2_PKT3_PKS4_S4_S5_PS6_PS9_PS4_
		.amdhsa_group_segment_fixed_size 0
		.amdhsa_private_segment_fixed_size 0
		.amdhsa_kernarg_size 72
		.amdhsa_user_sgpr_count 6
		.amdhsa_user_sgpr_private_segment_buffer 1
		.amdhsa_user_sgpr_dispatch_ptr 0
		.amdhsa_user_sgpr_queue_ptr 0
		.amdhsa_user_sgpr_kernarg_segment_ptr 1
		.amdhsa_user_sgpr_dispatch_id 0
		.amdhsa_user_sgpr_flat_scratch_init 0
		.amdhsa_user_sgpr_private_segment_size 0
		.amdhsa_wavefront_size32 1
		.amdhsa_uses_dynamic_stack 0
		.amdhsa_system_sgpr_private_segment_wavefront_offset 0
		.amdhsa_system_sgpr_workgroup_id_x 1
		.amdhsa_system_sgpr_workgroup_id_y 0
		.amdhsa_system_sgpr_workgroup_id_z 0
		.amdhsa_system_sgpr_workgroup_info 0
		.amdhsa_system_vgpr_workitem_id 0
		.amdhsa_next_free_vgpr 28
		.amdhsa_next_free_sgpr 36
		.amdhsa_reserve_vcc 1
		.amdhsa_reserve_flat_scratch 0
		.amdhsa_float_round_mode_32 0
		.amdhsa_float_round_mode_16_64 0
		.amdhsa_float_denorm_mode_32 3
		.amdhsa_float_denorm_mode_16_64 3
		.amdhsa_dx10_clamp 1
		.amdhsa_ieee_mode 1
		.amdhsa_fp16_overflow 0
		.amdhsa_workgroup_processor_mode 1
		.amdhsa_memory_ordered 1
		.amdhsa_forward_progress 1
		.amdhsa_shared_vgpr_count 0
		.amdhsa_exception_fp_ieee_invalid_op 0
		.amdhsa_exception_fp_denorm_src 0
		.amdhsa_exception_fp_ieee_div_zero 0
		.amdhsa_exception_fp_ieee_overflow 0
		.amdhsa_exception_fp_ieee_underflow 0
		.amdhsa_exception_fp_ieee_inexact 0
		.amdhsa_exception_int_div_zero 0
	.end_amdhsa_kernel
	.section	.text._ZN9rocsparseL35bsr2csr_block_per_row_33_256_kernelILj1024ELj64ELj32E21rocsparse_complex_numIfEliEEv20rocsparse_direction_T4_S4_21rocsparse_index_base_PKT2_PKT3_PKS4_S4_S5_PS6_PS9_PS4_,"axG",@progbits,_ZN9rocsparseL35bsr2csr_block_per_row_33_256_kernelILj1024ELj64ELj32E21rocsparse_complex_numIfEliEEv20rocsparse_direction_T4_S4_21rocsparse_index_base_PKT2_PKT3_PKS4_S4_S5_PS6_PS9_PS4_,comdat
.Lfunc_end179:
	.size	_ZN9rocsparseL35bsr2csr_block_per_row_33_256_kernelILj1024ELj64ELj32E21rocsparse_complex_numIfEliEEv20rocsparse_direction_T4_S4_21rocsparse_index_base_PKT2_PKT3_PKS4_S4_S5_PS6_PS9_PS4_, .Lfunc_end179-_ZN9rocsparseL35bsr2csr_block_per_row_33_256_kernelILj1024ELj64ELj32E21rocsparse_complex_numIfEliEEv20rocsparse_direction_T4_S4_21rocsparse_index_base_PKT2_PKT3_PKS4_S4_S5_PS6_PS9_PS4_
                                        ; -- End function
	.set _ZN9rocsparseL35bsr2csr_block_per_row_33_256_kernelILj1024ELj64ELj32E21rocsparse_complex_numIfEliEEv20rocsparse_direction_T4_S4_21rocsparse_index_base_PKT2_PKT3_PKS4_S4_S5_PS6_PS9_PS4_.num_vgpr, 28
	.set _ZN9rocsparseL35bsr2csr_block_per_row_33_256_kernelILj1024ELj64ELj32E21rocsparse_complex_numIfEliEEv20rocsparse_direction_T4_S4_21rocsparse_index_base_PKT2_PKT3_PKS4_S4_S5_PS6_PS9_PS4_.num_agpr, 0
	.set _ZN9rocsparseL35bsr2csr_block_per_row_33_256_kernelILj1024ELj64ELj32E21rocsparse_complex_numIfEliEEv20rocsparse_direction_T4_S4_21rocsparse_index_base_PKT2_PKT3_PKS4_S4_S5_PS6_PS9_PS4_.numbered_sgpr, 36
	.set _ZN9rocsparseL35bsr2csr_block_per_row_33_256_kernelILj1024ELj64ELj32E21rocsparse_complex_numIfEliEEv20rocsparse_direction_T4_S4_21rocsparse_index_base_PKT2_PKT3_PKS4_S4_S5_PS6_PS9_PS4_.num_named_barrier, 0
	.set _ZN9rocsparseL35bsr2csr_block_per_row_33_256_kernelILj1024ELj64ELj32E21rocsparse_complex_numIfEliEEv20rocsparse_direction_T4_S4_21rocsparse_index_base_PKT2_PKT3_PKS4_S4_S5_PS6_PS9_PS4_.private_seg_size, 0
	.set _ZN9rocsparseL35bsr2csr_block_per_row_33_256_kernelILj1024ELj64ELj32E21rocsparse_complex_numIfEliEEv20rocsparse_direction_T4_S4_21rocsparse_index_base_PKT2_PKT3_PKS4_S4_S5_PS6_PS9_PS4_.uses_vcc, 1
	.set _ZN9rocsparseL35bsr2csr_block_per_row_33_256_kernelILj1024ELj64ELj32E21rocsparse_complex_numIfEliEEv20rocsparse_direction_T4_S4_21rocsparse_index_base_PKT2_PKT3_PKS4_S4_S5_PS6_PS9_PS4_.uses_flat_scratch, 0
	.set _ZN9rocsparseL35bsr2csr_block_per_row_33_256_kernelILj1024ELj64ELj32E21rocsparse_complex_numIfEliEEv20rocsparse_direction_T4_S4_21rocsparse_index_base_PKT2_PKT3_PKS4_S4_S5_PS6_PS9_PS4_.has_dyn_sized_stack, 0
	.set _ZN9rocsparseL35bsr2csr_block_per_row_33_256_kernelILj1024ELj64ELj32E21rocsparse_complex_numIfEliEEv20rocsparse_direction_T4_S4_21rocsparse_index_base_PKT2_PKT3_PKS4_S4_S5_PS6_PS9_PS4_.has_recursion, 0
	.set _ZN9rocsparseL35bsr2csr_block_per_row_33_256_kernelILj1024ELj64ELj32E21rocsparse_complex_numIfEliEEv20rocsparse_direction_T4_S4_21rocsparse_index_base_PKT2_PKT3_PKS4_S4_S5_PS6_PS9_PS4_.has_indirect_call, 0
	.section	.AMDGPU.csdata,"",@progbits
; Kernel info:
; codeLenInByte = 1768
; TotalNumSgprs: 38
; NumVgprs: 28
; ScratchSize: 0
; MemoryBound: 0
; FloatMode: 240
; IeeeMode: 1
; LDSByteSize: 0 bytes/workgroup (compile time only)
; SGPRBlocks: 0
; VGPRBlocks: 3
; NumSGPRsForWavesPerEU: 38
; NumVGPRsForWavesPerEU: 28
; Occupancy: 16
; WaveLimiterHint : 1
; COMPUTE_PGM_RSRC2:SCRATCH_EN: 0
; COMPUTE_PGM_RSRC2:USER_SGPR: 6
; COMPUTE_PGM_RSRC2:TRAP_HANDLER: 0
; COMPUTE_PGM_RSRC2:TGID_X_EN: 1
; COMPUTE_PGM_RSRC2:TGID_Y_EN: 0
; COMPUTE_PGM_RSRC2:TGID_Z_EN: 0
; COMPUTE_PGM_RSRC2:TIDIG_COMP_CNT: 0
	.section	.text._ZN9rocsparseL35bsr2csr_block_per_row_33_256_kernelILj1024ELj128ELj32E21rocsparse_complex_numIfEliEEv20rocsparse_direction_T4_S4_21rocsparse_index_base_PKT2_PKT3_PKS4_S4_S5_PS6_PS9_PS4_,"axG",@progbits,_ZN9rocsparseL35bsr2csr_block_per_row_33_256_kernelILj1024ELj128ELj32E21rocsparse_complex_numIfEliEEv20rocsparse_direction_T4_S4_21rocsparse_index_base_PKT2_PKT3_PKS4_S4_S5_PS6_PS9_PS4_,comdat
	.globl	_ZN9rocsparseL35bsr2csr_block_per_row_33_256_kernelILj1024ELj128ELj32E21rocsparse_complex_numIfEliEEv20rocsparse_direction_T4_S4_21rocsparse_index_base_PKT2_PKT3_PKS4_S4_S5_PS6_PS9_PS4_ ; -- Begin function _ZN9rocsparseL35bsr2csr_block_per_row_33_256_kernelILj1024ELj128ELj32E21rocsparse_complex_numIfEliEEv20rocsparse_direction_T4_S4_21rocsparse_index_base_PKT2_PKT3_PKS4_S4_S5_PS6_PS9_PS4_
	.p2align	8
	.type	_ZN9rocsparseL35bsr2csr_block_per_row_33_256_kernelILj1024ELj128ELj32E21rocsparse_complex_numIfEliEEv20rocsparse_direction_T4_S4_21rocsparse_index_base_PKT2_PKT3_PKS4_S4_S5_PS6_PS9_PS4_,@function
_ZN9rocsparseL35bsr2csr_block_per_row_33_256_kernelILj1024ELj128ELj32E21rocsparse_complex_numIfEliEEv20rocsparse_direction_T4_S4_21rocsparse_index_base_PKT2_PKT3_PKS4_S4_S5_PS6_PS9_PS4_: ; @_ZN9rocsparseL35bsr2csr_block_per_row_33_256_kernelILj1024ELj128ELj32E21rocsparse_complex_numIfEliEEv20rocsparse_direction_T4_S4_21rocsparse_index_base_PKT2_PKT3_PKS4_S4_S5_PS6_PS9_PS4_
; %bb.0:
	s_load_dwordx2 s[0:1], s[4:5], 0x18
	s_ashr_i32 s7, s6, 31
	s_clause 0x1
	s_load_dwordx2 s[12:13], s[4:5], 0x28
	s_load_dwordx2 s[20:21], s[4:5], 0x38
	s_lshl_b64 s[2:3], s[6:7], 3
	v_or_b32_e32 v1, s6, v0
	s_mov_b32 s15, 0
	s_waitcnt lgkmcnt(0)
	s_add_u32 s0, s0, s2
	s_addc_u32 s1, s1, s3
	s_load_dwordx4 s[8:11], s[0:1], 0x0
	s_mov_b32 s0, exec_lo
	v_cmpx_eq_u32_e32 0, v1
	s_cbranch_execz .LBB180_2
; %bb.1:
	s_mov_b32 s14, s13
	v_mov_b32_e32 v3, 0
	v_mov_b32_e32 v1, s14
	;; [unrolled: 1-line block ×3, first 2 shown]
	global_store_dwordx2 v3, v[1:2], s[20:21]
.LBB180_2:
	s_or_b32 exec_lo, exec_lo, s0
	s_load_dword s14, s[4:5], 0xc
	s_mul_i32 s24, s12, s12
	v_lshrrev_b32_e32 v1, 5, v0
	s_mul_i32 s7, s12, s6
	v_cmp_gt_i32_e64 s1, s12, v1
	s_waitcnt lgkmcnt(0)
	s_sub_u32 s16, s8, s14
	s_subb_u32 s17, s9, 0
	s_mul_hi_u32 s0, s16, s24
	s_mul_i32 s2, s17, s24
	s_sub_u32 s18, s10, s14
	s_subb_u32 s19, s11, 0
	s_add_i32 s23, s0, s2
	s_sub_u32 s49, s18, s16
	s_subb_u32 s48, s19, s17
	s_mul_hi_u32 s0, s49, s12
	s_mul_i32 s2, s48, s12
	s_mul_i32 s22, s16, s24
	s_add_i32 s0, s0, s2
	s_mul_i32 s25, s49, s12
	s_add_u32 s2, s22, s13
	s_addc_u32 s3, s23, 0
	s_add_u32 s26, s2, s25
	s_addc_u32 s27, s3, s0
	s_and_saveexec_b32 s2, s1
	s_cbranch_execz .LBB180_4
; %bb.3:
	v_add_nc_u32_e32 v4, s7, v1
	v_mad_u64_u32 v[2:3], null, s25, v1, s[26:27]
	v_ashrrev_i32_e32 v5, 31, v4
	v_mad_u64_u32 v[6:7], null, s0, v1, v[3:4]
	v_lshlrev_b64 v[4:5], 3, v[4:5]
	v_add_co_u32 v4, vcc_lo, s20, v4
	v_mov_b32_e32 v3, v6
	v_add_co_ci_u32_e64 v5, null, s21, v5, vcc_lo
	global_store_dwordx2 v[4:5], v[2:3], off offset:8
.LBB180_4:
	s_or_b32 exec_lo, exec_lo, s2
	v_or_b32_e32 v4, 32, v1
	v_cmp_gt_i32_e64 s2, s12, v4
	s_and_saveexec_b32 s3, s2
	s_cbranch_execz .LBB180_6
; %bb.5:
	v_mad_u64_u32 v[2:3], null, s25, v4, s[26:27]
	s_ashr_i32 s6, s7, 31
	v_add_co_u32 v5, s28, v1, s7
	v_add_co_ci_u32_e64 v6, null, 0, s6, s28
	v_mad_u64_u32 v[7:8], null, s0, v4, v[3:4]
	v_lshlrev_b64 v[5:6], 3, v[5:6]
	v_add_co_u32 v5, vcc_lo, s20, v5
	v_mov_b32_e32 v3, v7
	v_add_co_ci_u32_e64 v6, null, s21, v6, vcc_lo
	global_store_dwordx2 v[5:6], v[2:3], off offset:264
.LBB180_6:
	s_or_b32 exec_lo, exec_lo, s3
	v_or_b32_e32 v5, 64, v1
	v_cmp_gt_i32_e64 s3, s12, v5
	s_and_saveexec_b32 s6, s3
	s_cbranch_execz .LBB180_8
; %bb.7:
	v_mad_u64_u32 v[2:3], null, s25, v5, s[26:27]
	s_ashr_i32 s28, s7, 31
	v_add_co_u32 v6, s29, v1, s7
	v_add_co_ci_u32_e64 v7, null, 0, s28, s29
	v_mad_u64_u32 v[8:9], null, s0, v5, v[3:4]
	v_lshlrev_b64 v[6:7], 3, v[6:7]
	v_add_co_u32 v6, vcc_lo, s20, v6
	v_mov_b32_e32 v3, v8
	v_add_co_ci_u32_e64 v7, null, s21, v7, vcc_lo
	global_store_dwordx2 v[6:7], v[2:3], off offset:520
.LBB180_8:
	;; [unrolled: 17-line block ×3, first 2 shown]
	s_or_b32 exec_lo, exec_lo, s28
	v_cmp_lt_i64_e64 s0, s[8:9], s[10:11]
	s_and_b32 vcc_lo, exec_lo, s0
	s_cbranch_vccz .LBB180_45
; %bb.11:
	s_clause 0x4
	s_load_dwordx2 s[26:27], s[4:5], 0x20
	s_load_dwordx2 s[10:11], s[4:5], 0x30
	s_load_dword s0, s[4:5], 0x0
	s_load_dwordx2 s[46:47], s[4:5], 0x10
	s_load_dwordx2 s[20:21], s[4:5], 0x40
	v_and_b32_e32 v16, 31, v0
	v_mul_lo_u32 v2, v1, s12
	v_mov_b32_e32 v3, 0
	v_lshlrev_b32_e32 v15, 3, v1
	s_mov_b32 s28, s12
	v_mul_lo_u32 v7, v16, s12
	v_cmp_gt_i32_e32 vcc_lo, s12, v16
	v_mov_b32_e32 v8, v3
	v_mov_b32_e32 v10, v3
	v_mov_b32_e32 v12, v3
	v_mov_b32_e32 v14, v3
	v_mov_b32_e32 v23, v3
	v_mov_b32_e32 v25, v3
	v_mov_b32_e32 v27, v3
	v_lshlrev_b32_e32 v0, 3, v16
	v_or_b32_e32 v17, 32, v16
	v_or_b32_e32 v18, 64, v16
	s_waitcnt lgkmcnt(0)
	s_cmp_eq_u32 s0, 0
	v_or_b32_e32 v19, 0x60, v16
	s_cselect_b32 s0, -1, 0
	s_lshl_b32 s42, s12, 5
	s_and_b32 s30, s1, vcc_lo
	v_add_nc_u32_e32 v9, s42, v7
	v_add_nc_u32_e32 v22, s42, v2
	v_lshlrev_b64 v[2:3], 3, v[2:3]
	s_and_b32 s34, s2, vcc_lo
	s_and_b32 s38, s3, vcc_lo
	v_add_nc_u32_e32 v11, s42, v9
	v_add_nc_u32_e32 v24, s42, v22
	v_cmp_gt_i32_e64 s4, s12, v17
	v_cmp_gt_i32_e64 s5, s12, v18
	;; [unrolled: 1-line block ×3, first 2 shown]
	v_add_nc_u32_e32 v13, s42, v11
	v_add_nc_u32_e32 v26, s42, v24
	s_and_b32 s42, s6, vcc_lo
	v_add_co_u32 v20, vcc_lo, v2, v0
	v_add_co_ci_u32_e64 v21, null, 0, v3, vcc_lo
	v_lshlrev_b64 v[2:3], 3, v[22:23]
	v_lshlrev_b64 v[24:25], 3, v[24:25]
	s_and_b32 s35, s2, s4
	s_and_b32 s36, s2, s5
	;; [unrolled: 1-line block ×4, first 2 shown]
	v_add_co_u32 v22, vcc_lo, v2, v0
	v_add_co_ci_u32_e64 v23, null, 0, v3, vcc_lo
	v_lshlrev_b64 v[2:3], 3, v[26:27]
	v_add_co_u32 v24, vcc_lo, v24, v0
	v_add_co_ci_u32_e64 v25, null, 0, v25, vcc_lo
	s_and_b32 s40, s3, s5
	v_add_co_u32 v26, vcc_lo, v2, v0
	v_add_co_ci_u32_e64 v27, null, 0, v3, vcc_lo
	v_lshlrev_b64 v[2:3], 3, v[7:8]
	v_lshlrev_b64 v[7:8], 3, v[9:10]
	v_mad_u64_u32 v[9:10], null, v1, s49, 0
	s_and_b32 s41, s3, s7
	s_lshl_b64 s[2:3], s[22:23], 3
	v_add_co_u32 v28, vcc_lo, v15, v2
	v_add_co_ci_u32_e64 v29, null, 0, v3, vcc_lo
	v_add_co_u32 v30, vcc_lo, v15, v7
	v_add_co_ci_u32_e64 v31, null, 0, v8, vcc_lo
	v_lshlrev_b64 v[2:3], 3, v[11:12]
	v_mad_u64_u32 v[7:8], null, v9, s28, s[22:23]
	v_mov_b32_e32 v0, v10
	v_lshlrev_b64 v[9:10], 3, v[13:14]
	v_mad_u64_u32 v[12:13], null, s49, v5, 0
	v_add_co_u32 v32, vcc_lo, v15, v2
	v_mad_u64_u32 v[0:1], null, v1, s48, v[0:1]
	v_add_co_ci_u32_e64 v33, null, 0, v3, vcc_lo
	v_mov_b32_e32 v1, v8
	v_add_co_u32 v34, vcc_lo, v15, v9
	v_mad_u64_u32 v[8:9], null, s49, v6, 0
	v_add_co_ci_u32_e64 v35, null, 0, v10, vcc_lo
	v_mad_u64_u32 v[0:1], null, v0, s28, v[1:2]
	v_add_co_u32 v2, vcc_lo, v7, v16
	v_mov_b32_e32 v7, v9
	v_mad_u64_u32 v[8:9], null, v8, s28, s[22:23]
	v_mad_u64_u32 v[10:11], null, s49, v4, 0
	v_add_co_ci_u32_e64 v3, null, 0, v0, vcc_lo
	s_and_b32 s31, s1, s4
	s_and_b32 s33, s1, s5
	v_mad_u64_u32 v[6:7], null, s48, v6, v[7:8]
	v_mad_u64_u32 v[14:15], null, v10, s28, s[22:23]
	v_mov_b32_e32 v7, v9
	v_mad_u64_u32 v[9:10], null, s48, v4, v[11:12]
	v_mov_b32_e32 v4, v13
	v_mad_u64_u32 v[10:11], null, v12, s28, s[22:23]
	v_mad_u64_u32 v[6:7], null, v6, s28, v[7:8]
	;; [unrolled: 1-line block ×3, first 2 shown]
	v_mov_b32_e32 v12, v15
	v_add_co_u32 v7, vcc_lo, v8, v16
	v_mov_b32_e32 v5, v11
	v_add_co_ci_u32_e64 v8, null, 0, v6, vcc_lo
	v_mad_u64_u32 v[12:13], null, v9, s28, v[12:13]
	v_mad_u64_u32 v[4:5], null, v4, s28, v[5:6]
	v_add_co_u32 v11, vcc_lo, v14, v16
	s_and_b32 s1, s1, s7
	s_and_b32 s43, s6, s4
	v_add_co_ci_u32_e64 v12, null, 0, v12, vcc_lo
	v_add_co_u32 v14, vcc_lo, v10, v16
	v_add_co_ci_u32_e64 v15, null, 0, v4, vcc_lo
	s_and_b32 s44, s6, s5
	s_and_b32 s45, s6, s7
	s_mov_b32 s25, s15
	s_add_u32 s46, s46, s2
	s_addc_u32 s47, s47, s3
	s_lshl_b64 s[4:5], s[8:9], 2
	s_lshl_b64 s[6:7], s[14:15], 2
	;; [unrolled: 1-line block ×3, first 2 shown]
	v_lshlrev_b64 v[0:1], 2, v[2:3]
	v_lshlrev_b64 v[2:3], 3, v[2:3]
	;; [unrolled: 1-line block ×8, first 2 shown]
	s_sub_u32 s4, s4, s6
	s_mov_b32 s29, s15
	s_subb_u32 s5, s5, s7
	s_add_u32 s4, s26, s4
	s_addc_u32 s5, s27, s5
	s_lshl_b64 s[6:7], s[28:29], 2
	s_lshl_b64 s[8:9], s[28:29], 3
	s_branch .LBB180_13
.LBB180_12:                             ;   in Loop: Header=BB180_13 Depth=1
	s_or_b32 exec_lo, exec_lo, s15
	s_add_u32 s16, s16, 1
	s_addc_u32 s17, s17, 0
	s_add_u32 s46, s46, s2
	s_addc_u32 s47, s47, s3
	v_cmp_ge_i64_e64 s15, s[16:17], s[18:19]
	s_add_u32 s4, s4, 4
	s_addc_u32 s5, s5, 0
	s_add_u32 s20, s20, s6
	s_addc_u32 s21, s21, s7
	;; [unrolled: 2-line block ×3, first 2 shown]
	s_and_b32 vcc_lo, exec_lo, s15
	s_cbranch_vccnz .LBB180_45
.LBB180_13:                             ; =>This Inner Loop Header: Depth=1
	s_load_dword s15, s[4:5], 0x0
	s_waitcnt lgkmcnt(0)
	s_sub_i32 s15, s15, s14
	s_mul_i32 s15, s15, s12
	s_add_i32 s15, s15, s13
	v_add_nc_u32_e32 v39, s15, v16
	s_and_saveexec_b32 s22, s30
	s_cbranch_execnz .LBB180_29
; %bb.14:                               ;   in Loop: Header=BB180_13 Depth=1
	s_or_b32 exec_lo, exec_lo, s22
	v_add_nc_u32_e32 v38, s15, v17
	s_and_saveexec_b32 s22, s31
	s_cbranch_execnz .LBB180_30
.LBB180_15:                             ;   in Loop: Header=BB180_13 Depth=1
	s_or_b32 exec_lo, exec_lo, s22
	v_add_nc_u32_e32 v36, s15, v18
	s_and_saveexec_b32 s22, s33
	s_cbranch_execnz .LBB180_31
.LBB180_16:                             ;   in Loop: Header=BB180_13 Depth=1
	s_or_b32 exec_lo, exec_lo, s22
	v_add_nc_u32_e32 v37, s15, v19
	s_and_saveexec_b32 s15, s1
	s_cbranch_execnz .LBB180_32
.LBB180_17:                             ;   in Loop: Header=BB180_13 Depth=1
	s_or_b32 exec_lo, exec_lo, s15
	s_and_saveexec_b32 s15, s34
	s_cbranch_execnz .LBB180_33
.LBB180_18:                             ;   in Loop: Header=BB180_13 Depth=1
	s_or_b32 exec_lo, exec_lo, s15
	s_and_saveexec_b32 s15, s35
	s_cbranch_execnz .LBB180_34
.LBB180_19:                             ;   in Loop: Header=BB180_13 Depth=1
	s_or_b32 exec_lo, exec_lo, s15
	s_and_saveexec_b32 s15, s36
	s_cbranch_execnz .LBB180_35
.LBB180_20:                             ;   in Loop: Header=BB180_13 Depth=1
	s_or_b32 exec_lo, exec_lo, s15
	s_and_saveexec_b32 s15, s37
	s_cbranch_execnz .LBB180_36
.LBB180_21:                             ;   in Loop: Header=BB180_13 Depth=1
	s_or_b32 exec_lo, exec_lo, s15
	s_and_saveexec_b32 s15, s38
	s_cbranch_execnz .LBB180_37
.LBB180_22:                             ;   in Loop: Header=BB180_13 Depth=1
	s_or_b32 exec_lo, exec_lo, s15
	s_and_saveexec_b32 s15, s39
	s_cbranch_execnz .LBB180_38
.LBB180_23:                             ;   in Loop: Header=BB180_13 Depth=1
	s_or_b32 exec_lo, exec_lo, s15
	s_and_saveexec_b32 s15, s40
	s_cbranch_execnz .LBB180_39
.LBB180_24:                             ;   in Loop: Header=BB180_13 Depth=1
	s_or_b32 exec_lo, exec_lo, s15
	s_and_saveexec_b32 s15, s41
	s_cbranch_execnz .LBB180_40
.LBB180_25:                             ;   in Loop: Header=BB180_13 Depth=1
	s_or_b32 exec_lo, exec_lo, s15
	s_and_saveexec_b32 s15, s42
	s_cbranch_execnz .LBB180_41
.LBB180_26:                             ;   in Loop: Header=BB180_13 Depth=1
	s_or_b32 exec_lo, exec_lo, s15
	s_and_saveexec_b32 s15, s43
	s_cbranch_execnz .LBB180_42
.LBB180_27:                             ;   in Loop: Header=BB180_13 Depth=1
	s_or_b32 exec_lo, exec_lo, s15
	s_and_saveexec_b32 s15, s44
	s_cbranch_execnz .LBB180_43
.LBB180_28:                             ;   in Loop: Header=BB180_13 Depth=1
	s_or_b32 exec_lo, exec_lo, s15
	s_and_saveexec_b32 s15, s45
	s_cbranch_execz .LBB180_12
	s_branch .LBB180_44
.LBB180_29:                             ;   in Loop: Header=BB180_13 Depth=1
	v_add_co_u32 v36, vcc_lo, s46, v20
	v_add_co_ci_u32_e64 v37, null, s47, v21, vcc_lo
	v_add_co_u32 v38, vcc_lo, s46, v28
	v_add_co_ci_u32_e64 v40, null, s47, v29, vcc_lo
	v_cndmask_b32_e64 v36, v38, v36, s0
	v_cndmask_b32_e64 v37, v40, v37, s0
	v_add_co_u32 v40, vcc_lo, s20, v0
	v_add_co_ci_u32_e64 v41, null, s21, v1, vcc_lo
	global_load_dwordx2 v[36:37], v[36:37], off
	v_add_co_u32 v42, vcc_lo, s10, v2
	v_add_co_ci_u32_e64 v43, null, s11, v3, vcc_lo
	global_store_dword v[40:41], v39, off
	s_waitcnt vmcnt(0)
	global_store_dwordx2 v[42:43], v[36:37], off
	s_or_b32 exec_lo, exec_lo, s22
	v_add_nc_u32_e32 v38, s15, v17
	s_and_saveexec_b32 s22, s31
	s_cbranch_execz .LBB180_15
.LBB180_30:                             ;   in Loop: Header=BB180_13 Depth=1
	v_add_co_u32 v36, vcc_lo, s46, v20
	v_add_co_ci_u32_e64 v37, null, s47, v21, vcc_lo
	v_add_co_u32 v36, vcc_lo, 0x100, v36
	v_add_co_ci_u32_e64 v37, null, 0, v37, vcc_lo
	;; [unrolled: 2-line block ×3, first 2 shown]
	v_cndmask_b32_e64 v36, v40, v36, s0
	v_add_co_u32 v40, vcc_lo, s20, v0
	v_cndmask_b32_e64 v37, v41, v37, s0
	v_add_co_ci_u32_e64 v41, null, s21, v1, vcc_lo
	v_add_co_u32 v42, vcc_lo, s10, v2
	global_load_dwordx2 v[36:37], v[36:37], off
	v_add_co_ci_u32_e64 v43, null, s11, v3, vcc_lo
	global_store_dword v[40:41], v38, off offset:128
	s_waitcnt vmcnt(0)
	global_store_dwordx2 v[42:43], v[36:37], off offset:256
	s_or_b32 exec_lo, exec_lo, s22
	v_add_nc_u32_e32 v36, s15, v18
	s_and_saveexec_b32 s22, s33
	s_cbranch_execz .LBB180_16
.LBB180_31:                             ;   in Loop: Header=BB180_13 Depth=1
	v_add_co_u32 v37, vcc_lo, s46, v20
	v_add_co_ci_u32_e64 v40, null, s47, v21, vcc_lo
	v_add_co_u32 v37, vcc_lo, 0x200, v37
	v_add_co_ci_u32_e64 v40, null, 0, v40, vcc_lo
	;; [unrolled: 2-line block ×3, first 2 shown]
	v_cndmask_b32_e64 v41, v41, v40, s0
	v_cndmask_b32_e64 v40, v42, v37, s0
	v_add_co_u32 v42, vcc_lo, s20, v0
	v_add_co_ci_u32_e64 v43, null, s21, v1, vcc_lo
	global_load_dwordx2 v[40:41], v[40:41], off
	v_add_co_u32 v44, vcc_lo, s10, v2
	v_add_co_ci_u32_e64 v45, null, s11, v3, vcc_lo
	global_store_dword v[42:43], v36, off offset:256
	s_waitcnt vmcnt(0)
	global_store_dwordx2 v[44:45], v[40:41], off offset:512
	s_or_b32 exec_lo, exec_lo, s22
	v_add_nc_u32_e32 v37, s15, v19
	s_and_saveexec_b32 s15, s1
	s_cbranch_execz .LBB180_17
.LBB180_32:                             ;   in Loop: Header=BB180_13 Depth=1
	v_add_co_u32 v40, vcc_lo, s46, v20
	v_add_co_ci_u32_e64 v41, null, s47, v21, vcc_lo
	v_add_co_u32 v40, vcc_lo, 0x300, v40
	v_add_co_ci_u32_e64 v41, null, 0, v41, vcc_lo
	;; [unrolled: 2-line block ×3, first 2 shown]
	v_cndmask_b32_e64 v40, v42, v40, s0
	v_add_co_u32 v42, vcc_lo, s20, v0
	v_cndmask_b32_e64 v41, v43, v41, s0
	v_add_co_ci_u32_e64 v43, null, s21, v1, vcc_lo
	v_add_co_u32 v44, vcc_lo, s10, v2
	global_load_dwordx2 v[40:41], v[40:41], off
	v_add_co_ci_u32_e64 v45, null, s11, v3, vcc_lo
	global_store_dword v[42:43], v37, off offset:384
	s_waitcnt vmcnt(0)
	global_store_dwordx2 v[44:45], v[40:41], off offset:768
	s_or_b32 exec_lo, exec_lo, s15
	s_and_saveexec_b32 s15, s34
	s_cbranch_execz .LBB180_18
.LBB180_33:                             ;   in Loop: Header=BB180_13 Depth=1
	v_add_co_u32 v40, vcc_lo, s46, v28
	v_add_co_ci_u32_e64 v41, null, s47, v29, vcc_lo
	v_add_co_u32 v42, vcc_lo, s46, v22
	v_add_co_ci_u32_e64 v43, null, s47, v23, vcc_lo
	;; [unrolled: 2-line block ×3, first 2 shown]
	v_cndmask_b32_e64 v40, v40, v42, s0
	v_add_co_u32 v42, vcc_lo, s20, v8
	v_cndmask_b32_e64 v41, v41, v43, s0
	v_add_co_ci_u32_e64 v43, null, s21, v9, vcc_lo
	v_add_co_u32 v44, vcc_lo, s10, v10
	global_load_dwordx2 v[40:41], v[40:41], off
	v_add_co_ci_u32_e64 v45, null, s11, v11, vcc_lo
	global_store_dword v[42:43], v39, off
	s_waitcnt vmcnt(0)
	global_store_dwordx2 v[44:45], v[40:41], off
	s_or_b32 exec_lo, exec_lo, s15
	s_and_saveexec_b32 s15, s35
	s_cbranch_execz .LBB180_19
.LBB180_34:                             ;   in Loop: Header=BB180_13 Depth=1
	v_add_co_u32 v40, vcc_lo, s46, v22
	v_add_co_ci_u32_e64 v41, null, s47, v23, vcc_lo
	v_add_co_u32 v42, vcc_lo, s46, v30
	v_add_co_ci_u32_e64 v43, null, s47, v31, vcc_lo
	v_cndmask_b32_e64 v40, v42, v40, s0
	v_add_co_u32 v42, vcc_lo, s20, v8
	v_cndmask_b32_e64 v41, v43, v41, s0
	v_add_co_ci_u32_e64 v43, null, s21, v9, vcc_lo
	v_add_co_u32 v44, vcc_lo, s10, v10
	global_load_dwordx2 v[40:41], v[40:41], off offset:256
	v_add_co_ci_u32_e64 v45, null, s11, v11, vcc_lo
	global_store_dword v[42:43], v38, off offset:128
	s_waitcnt vmcnt(0)
	global_store_dwordx2 v[44:45], v[40:41], off offset:256
	s_or_b32 exec_lo, exec_lo, s15
	s_and_saveexec_b32 s15, s36
	s_cbranch_execz .LBB180_20
.LBB180_35:                             ;   in Loop: Header=BB180_13 Depth=1
	v_add_co_u32 v40, vcc_lo, s46, v22
	v_add_co_ci_u32_e64 v41, null, s47, v23, vcc_lo
	v_add_co_u32 v42, vcc_lo, s46, v32
	v_add_co_ci_u32_e64 v43, null, s47, v33, vcc_lo
	;; [unrolled: 2-line block ×4, first 2 shown]
	v_cndmask_b32_e64 v40, v42, v40, s0
	v_add_co_u32 v42, vcc_lo, s20, v8
	v_cndmask_b32_e64 v41, v43, v41, s0
	v_add_co_ci_u32_e64 v43, null, s21, v9, vcc_lo
	v_add_co_u32 v44, vcc_lo, s10, v10
	global_load_dwordx2 v[40:41], v[40:41], off
	v_add_co_ci_u32_e64 v45, null, s11, v11, vcc_lo
	global_store_dword v[42:43], v36, off offset:256
	s_waitcnt vmcnt(0)
	global_store_dwordx2 v[44:45], v[40:41], off offset:512
	s_or_b32 exec_lo, exec_lo, s15
	s_and_saveexec_b32 s15, s37
	s_cbranch_execz .LBB180_21
.LBB180_36:                             ;   in Loop: Header=BB180_13 Depth=1
	v_add_co_u32 v40, vcc_lo, s46, v22
	v_add_co_ci_u32_e64 v41, null, s47, v23, vcc_lo
	v_add_co_u32 v42, vcc_lo, s46, v34
	v_add_co_ci_u32_e64 v43, null, s47, v35, vcc_lo
	v_add_co_u32 v40, vcc_lo, 0x300, v40
	v_add_co_ci_u32_e64 v41, null, 0, v41, vcc_lo
	v_add_co_u32 v42, vcc_lo, 0x100, v42
	v_add_co_ci_u32_e64 v43, null, 0, v43, vcc_lo
	v_cndmask_b32_e64 v40, v42, v40, s0
	v_add_co_u32 v42, vcc_lo, s20, v8
	v_cndmask_b32_e64 v41, v43, v41, s0
	v_add_co_ci_u32_e64 v43, null, s21, v9, vcc_lo
	v_add_co_u32 v44, vcc_lo, s10, v10
	global_load_dwordx2 v[40:41], v[40:41], off
	v_add_co_ci_u32_e64 v45, null, s11, v11, vcc_lo
	global_store_dword v[42:43], v37, off offset:384
	s_waitcnt vmcnt(0)
	global_store_dwordx2 v[44:45], v[40:41], off offset:768
	s_or_b32 exec_lo, exec_lo, s15
	s_and_saveexec_b32 s15, s38
	s_cbranch_execz .LBB180_22
.LBB180_37:                             ;   in Loop: Header=BB180_13 Depth=1
	v_add_co_u32 v40, vcc_lo, s46, v28
	v_add_co_ci_u32_e64 v41, null, s47, v29, vcc_lo
	v_add_co_u32 v42, vcc_lo, s46, v24
	v_add_co_ci_u32_e64 v43, null, s47, v25, vcc_lo
	;; [unrolled: 2-line block ×3, first 2 shown]
	v_cndmask_b32_e64 v40, v40, v42, s0
	v_add_co_u32 v42, vcc_lo, s20, v14
	v_cndmask_b32_e64 v41, v41, v43, s0
	v_add_co_ci_u32_e64 v43, null, s21, v15, vcc_lo
	v_add_co_u32 v44, vcc_lo, s10, v12
	global_load_dwordx2 v[40:41], v[40:41], off
	v_add_co_ci_u32_e64 v45, null, s11, v13, vcc_lo
	global_store_dword v[42:43], v39, off
	s_waitcnt vmcnt(0)
	global_store_dwordx2 v[44:45], v[40:41], off
	s_or_b32 exec_lo, exec_lo, s15
	s_and_saveexec_b32 s15, s39
	s_cbranch_execz .LBB180_23
.LBB180_38:                             ;   in Loop: Header=BB180_13 Depth=1
	v_add_co_u32 v40, vcc_lo, s46, v24
	v_add_co_ci_u32_e64 v41, null, s47, v25, vcc_lo
	v_add_co_u32 v42, vcc_lo, s46, v30
	v_add_co_ci_u32_e64 v43, null, s47, v31, vcc_lo
	;; [unrolled: 2-line block ×4, first 2 shown]
	v_cndmask_b32_e64 v40, v42, v40, s0
	v_add_co_u32 v42, vcc_lo, s20, v14
	v_cndmask_b32_e64 v41, v43, v41, s0
	v_add_co_ci_u32_e64 v43, null, s21, v15, vcc_lo
	v_add_co_u32 v44, vcc_lo, s10, v12
	global_load_dwordx2 v[40:41], v[40:41], off
	v_add_co_ci_u32_e64 v45, null, s11, v13, vcc_lo
	global_store_dword v[42:43], v38, off offset:128
	s_waitcnt vmcnt(0)
	global_store_dwordx2 v[44:45], v[40:41], off offset:256
	s_or_b32 exec_lo, exec_lo, s15
	s_and_saveexec_b32 s15, s40
	s_cbranch_execz .LBB180_24
.LBB180_39:                             ;   in Loop: Header=BB180_13 Depth=1
	v_add_co_u32 v40, vcc_lo, s46, v24
	v_add_co_ci_u32_e64 v41, null, s47, v25, vcc_lo
	v_add_co_u32 v42, vcc_lo, s46, v32
	v_add_co_ci_u32_e64 v43, null, s47, v33, vcc_lo
	v_cndmask_b32_e64 v40, v42, v40, s0
	v_add_co_u32 v42, vcc_lo, s20, v14
	v_cndmask_b32_e64 v41, v43, v41, s0
	v_add_co_ci_u32_e64 v43, null, s21, v15, vcc_lo
	v_add_co_u32 v44, vcc_lo, s10, v12
	global_load_dwordx2 v[40:41], v[40:41], off offset:512
	v_add_co_ci_u32_e64 v45, null, s11, v13, vcc_lo
	global_store_dword v[42:43], v36, off offset:256
	s_waitcnt vmcnt(0)
	global_store_dwordx2 v[44:45], v[40:41], off offset:512
	s_or_b32 exec_lo, exec_lo, s15
	s_and_saveexec_b32 s15, s41
	s_cbranch_execz .LBB180_25
.LBB180_40:                             ;   in Loop: Header=BB180_13 Depth=1
	v_add_co_u32 v40, vcc_lo, s46, v24
	v_add_co_ci_u32_e64 v41, null, s47, v25, vcc_lo
	v_add_co_u32 v42, vcc_lo, s46, v34
	v_add_co_ci_u32_e64 v43, null, s47, v35, vcc_lo
	;; [unrolled: 2-line block ×4, first 2 shown]
	v_cndmask_b32_e64 v40, v42, v40, s0
	v_add_co_u32 v42, vcc_lo, s20, v14
	v_cndmask_b32_e64 v41, v43, v41, s0
	v_add_co_ci_u32_e64 v43, null, s21, v15, vcc_lo
	v_add_co_u32 v44, vcc_lo, s10, v12
	global_load_dwordx2 v[40:41], v[40:41], off
	v_add_co_ci_u32_e64 v45, null, s11, v13, vcc_lo
	global_store_dword v[42:43], v37, off offset:384
	s_waitcnt vmcnt(0)
	global_store_dwordx2 v[44:45], v[40:41], off offset:768
	s_or_b32 exec_lo, exec_lo, s15
	s_and_saveexec_b32 s15, s42
	s_cbranch_execz .LBB180_26
.LBB180_41:                             ;   in Loop: Header=BB180_13 Depth=1
	v_add_co_u32 v40, vcc_lo, s46, v28
	v_add_co_ci_u32_e64 v41, null, s47, v29, vcc_lo
	v_add_co_u32 v42, vcc_lo, s46, v26
	v_add_co_ci_u32_e64 v43, null, s47, v27, vcc_lo
	;; [unrolled: 2-line block ×3, first 2 shown]
	v_cndmask_b32_e64 v40, v40, v42, s0
	v_add_co_u32 v42, vcc_lo, s20, v6
	v_cndmask_b32_e64 v41, v41, v43, s0
	v_add_co_ci_u32_e64 v43, null, s21, v7, vcc_lo
	v_add_co_u32 v44, vcc_lo, s10, v4
	global_load_dwordx2 v[40:41], v[40:41], off
	v_add_co_ci_u32_e64 v45, null, s11, v5, vcc_lo
	global_store_dword v[42:43], v39, off
	s_waitcnt vmcnt(0)
	global_store_dwordx2 v[44:45], v[40:41], off
	s_or_b32 exec_lo, exec_lo, s15
	s_and_saveexec_b32 s15, s43
	s_cbranch_execz .LBB180_27
.LBB180_42:                             ;   in Loop: Header=BB180_13 Depth=1
	v_add_co_u32 v39, vcc_lo, s46, v26
	v_add_co_ci_u32_e64 v40, null, s47, v27, vcc_lo
	v_add_co_u32 v41, vcc_lo, s46, v30
	v_add_co_ci_u32_e64 v42, null, s47, v31, vcc_lo
	;; [unrolled: 2-line block ×4, first 2 shown]
	v_cndmask_b32_e64 v39, v41, v39, s0
	v_add_co_u32 v41, vcc_lo, s20, v6
	v_cndmask_b32_e64 v40, v42, v40, s0
	v_add_co_ci_u32_e64 v42, null, s21, v7, vcc_lo
	v_add_co_u32 v43, vcc_lo, s10, v4
	global_load_dwordx2 v[39:40], v[39:40], off
	v_add_co_ci_u32_e64 v44, null, s11, v5, vcc_lo
	global_store_dword v[41:42], v38, off offset:128
	s_waitcnt vmcnt(0)
	global_store_dwordx2 v[43:44], v[39:40], off offset:256
	s_or_b32 exec_lo, exec_lo, s15
	s_and_saveexec_b32 s15, s44
	s_cbranch_execz .LBB180_28
.LBB180_43:                             ;   in Loop: Header=BB180_13 Depth=1
	v_add_co_u32 v38, vcc_lo, s46, v26
	v_add_co_ci_u32_e64 v39, null, s47, v27, vcc_lo
	v_add_co_u32 v40, vcc_lo, s46, v32
	v_add_co_ci_u32_e64 v41, null, s47, v33, vcc_lo
	;; [unrolled: 2-line block ×4, first 2 shown]
	v_cndmask_b32_e64 v38, v40, v38, s0
	v_add_co_u32 v40, vcc_lo, s20, v6
	v_cndmask_b32_e64 v39, v41, v39, s0
	v_add_co_ci_u32_e64 v41, null, s21, v7, vcc_lo
	v_add_co_u32 v42, vcc_lo, s10, v4
	global_load_dwordx2 v[38:39], v[38:39], off
	v_add_co_ci_u32_e64 v43, null, s11, v5, vcc_lo
	global_store_dword v[40:41], v36, off offset:256
	s_waitcnt vmcnt(0)
	global_store_dwordx2 v[42:43], v[38:39], off offset:512
	s_or_b32 exec_lo, exec_lo, s15
	s_and_saveexec_b32 s15, s45
	s_cbranch_execz .LBB180_12
.LBB180_44:                             ;   in Loop: Header=BB180_13 Depth=1
	v_add_co_u32 v36, vcc_lo, s46, v26
	v_add_co_ci_u32_e64 v38, null, s47, v27, vcc_lo
	v_add_co_u32 v40, vcc_lo, s46, v34
	v_add_co_ci_u32_e64 v39, null, s47, v35, vcc_lo
	v_cndmask_b32_e64 v39, v39, v38, s0
	v_cndmask_b32_e64 v38, v40, v36, s0
	v_add_co_u32 v40, vcc_lo, s20, v6
	v_add_co_ci_u32_e64 v41, null, s21, v7, vcc_lo
	global_load_dwordx2 v[38:39], v[38:39], off offset:768
	v_add_co_u32 v42, vcc_lo, s10, v4
	v_add_co_ci_u32_e64 v43, null, s11, v5, vcc_lo
	global_store_dword v[40:41], v37, off offset:384
	s_waitcnt vmcnt(0)
	global_store_dwordx2 v[42:43], v[38:39], off offset:768
	s_branch .LBB180_12
.LBB180_45:
	s_endpgm
	.section	.rodata,"a",@progbits
	.p2align	6, 0x0
	.amdhsa_kernel _ZN9rocsparseL35bsr2csr_block_per_row_33_256_kernelILj1024ELj128ELj32E21rocsparse_complex_numIfEliEEv20rocsparse_direction_T4_S4_21rocsparse_index_base_PKT2_PKT3_PKS4_S4_S5_PS6_PS9_PS4_
		.amdhsa_group_segment_fixed_size 0
		.amdhsa_private_segment_fixed_size 0
		.amdhsa_kernarg_size 72
		.amdhsa_user_sgpr_count 6
		.amdhsa_user_sgpr_private_segment_buffer 1
		.amdhsa_user_sgpr_dispatch_ptr 0
		.amdhsa_user_sgpr_queue_ptr 0
		.amdhsa_user_sgpr_kernarg_segment_ptr 1
		.amdhsa_user_sgpr_dispatch_id 0
		.amdhsa_user_sgpr_flat_scratch_init 0
		.amdhsa_user_sgpr_private_segment_size 0
		.amdhsa_wavefront_size32 1
		.amdhsa_uses_dynamic_stack 0
		.amdhsa_system_sgpr_private_segment_wavefront_offset 0
		.amdhsa_system_sgpr_workgroup_id_x 1
		.amdhsa_system_sgpr_workgroup_id_y 0
		.amdhsa_system_sgpr_workgroup_id_z 0
		.amdhsa_system_sgpr_workgroup_info 0
		.amdhsa_system_vgpr_workitem_id 0
		.amdhsa_next_free_vgpr 46
		.amdhsa_next_free_sgpr 50
		.amdhsa_reserve_vcc 1
		.amdhsa_reserve_flat_scratch 0
		.amdhsa_float_round_mode_32 0
		.amdhsa_float_round_mode_16_64 0
		.amdhsa_float_denorm_mode_32 3
		.amdhsa_float_denorm_mode_16_64 3
		.amdhsa_dx10_clamp 1
		.amdhsa_ieee_mode 1
		.amdhsa_fp16_overflow 0
		.amdhsa_workgroup_processor_mode 1
		.amdhsa_memory_ordered 1
		.amdhsa_forward_progress 1
		.amdhsa_shared_vgpr_count 0
		.amdhsa_exception_fp_ieee_invalid_op 0
		.amdhsa_exception_fp_denorm_src 0
		.amdhsa_exception_fp_ieee_div_zero 0
		.amdhsa_exception_fp_ieee_overflow 0
		.amdhsa_exception_fp_ieee_underflow 0
		.amdhsa_exception_fp_ieee_inexact 0
		.amdhsa_exception_int_div_zero 0
	.end_amdhsa_kernel
	.section	.text._ZN9rocsparseL35bsr2csr_block_per_row_33_256_kernelILj1024ELj128ELj32E21rocsparse_complex_numIfEliEEv20rocsparse_direction_T4_S4_21rocsparse_index_base_PKT2_PKT3_PKS4_S4_S5_PS6_PS9_PS4_,"axG",@progbits,_ZN9rocsparseL35bsr2csr_block_per_row_33_256_kernelILj1024ELj128ELj32E21rocsparse_complex_numIfEliEEv20rocsparse_direction_T4_S4_21rocsparse_index_base_PKT2_PKT3_PKS4_S4_S5_PS6_PS9_PS4_,comdat
.Lfunc_end180:
	.size	_ZN9rocsparseL35bsr2csr_block_per_row_33_256_kernelILj1024ELj128ELj32E21rocsparse_complex_numIfEliEEv20rocsparse_direction_T4_S4_21rocsparse_index_base_PKT2_PKT3_PKS4_S4_S5_PS6_PS9_PS4_, .Lfunc_end180-_ZN9rocsparseL35bsr2csr_block_per_row_33_256_kernelILj1024ELj128ELj32E21rocsparse_complex_numIfEliEEv20rocsparse_direction_T4_S4_21rocsparse_index_base_PKT2_PKT3_PKS4_S4_S5_PS6_PS9_PS4_
                                        ; -- End function
	.set _ZN9rocsparseL35bsr2csr_block_per_row_33_256_kernelILj1024ELj128ELj32E21rocsparse_complex_numIfEliEEv20rocsparse_direction_T4_S4_21rocsparse_index_base_PKT2_PKT3_PKS4_S4_S5_PS6_PS9_PS4_.num_vgpr, 46
	.set _ZN9rocsparseL35bsr2csr_block_per_row_33_256_kernelILj1024ELj128ELj32E21rocsparse_complex_numIfEliEEv20rocsparse_direction_T4_S4_21rocsparse_index_base_PKT2_PKT3_PKS4_S4_S5_PS6_PS9_PS4_.num_agpr, 0
	.set _ZN9rocsparseL35bsr2csr_block_per_row_33_256_kernelILj1024ELj128ELj32E21rocsparse_complex_numIfEliEEv20rocsparse_direction_T4_S4_21rocsparse_index_base_PKT2_PKT3_PKS4_S4_S5_PS6_PS9_PS4_.numbered_sgpr, 50
	.set _ZN9rocsparseL35bsr2csr_block_per_row_33_256_kernelILj1024ELj128ELj32E21rocsparse_complex_numIfEliEEv20rocsparse_direction_T4_S4_21rocsparse_index_base_PKT2_PKT3_PKS4_S4_S5_PS6_PS9_PS4_.num_named_barrier, 0
	.set _ZN9rocsparseL35bsr2csr_block_per_row_33_256_kernelILj1024ELj128ELj32E21rocsparse_complex_numIfEliEEv20rocsparse_direction_T4_S4_21rocsparse_index_base_PKT2_PKT3_PKS4_S4_S5_PS6_PS9_PS4_.private_seg_size, 0
	.set _ZN9rocsparseL35bsr2csr_block_per_row_33_256_kernelILj1024ELj128ELj32E21rocsparse_complex_numIfEliEEv20rocsparse_direction_T4_S4_21rocsparse_index_base_PKT2_PKT3_PKS4_S4_S5_PS6_PS9_PS4_.uses_vcc, 1
	.set _ZN9rocsparseL35bsr2csr_block_per_row_33_256_kernelILj1024ELj128ELj32E21rocsparse_complex_numIfEliEEv20rocsparse_direction_T4_S4_21rocsparse_index_base_PKT2_PKT3_PKS4_S4_S5_PS6_PS9_PS4_.uses_flat_scratch, 0
	.set _ZN9rocsparseL35bsr2csr_block_per_row_33_256_kernelILj1024ELj128ELj32E21rocsparse_complex_numIfEliEEv20rocsparse_direction_T4_S4_21rocsparse_index_base_PKT2_PKT3_PKS4_S4_S5_PS6_PS9_PS4_.has_dyn_sized_stack, 0
	.set _ZN9rocsparseL35bsr2csr_block_per_row_33_256_kernelILj1024ELj128ELj32E21rocsparse_complex_numIfEliEEv20rocsparse_direction_T4_S4_21rocsparse_index_base_PKT2_PKT3_PKS4_S4_S5_PS6_PS9_PS4_.has_recursion, 0
	.set _ZN9rocsparseL35bsr2csr_block_per_row_33_256_kernelILj1024ELj128ELj32E21rocsparse_complex_numIfEliEEv20rocsparse_direction_T4_S4_21rocsparse_index_base_PKT2_PKT3_PKS4_S4_S5_PS6_PS9_PS4_.has_indirect_call, 0
	.section	.AMDGPU.csdata,"",@progbits
; Kernel info:
; codeLenInByte = 3960
; TotalNumSgprs: 52
; NumVgprs: 46
; ScratchSize: 0
; MemoryBound: 0
; FloatMode: 240
; IeeeMode: 1
; LDSByteSize: 0 bytes/workgroup (compile time only)
; SGPRBlocks: 0
; VGPRBlocks: 5
; NumSGPRsForWavesPerEU: 52
; NumVGPRsForWavesPerEU: 46
; Occupancy: 16
; WaveLimiterHint : 1
; COMPUTE_PGM_RSRC2:SCRATCH_EN: 0
; COMPUTE_PGM_RSRC2:USER_SGPR: 6
; COMPUTE_PGM_RSRC2:TRAP_HANDLER: 0
; COMPUTE_PGM_RSRC2:TGID_X_EN: 1
; COMPUTE_PGM_RSRC2:TGID_Y_EN: 0
; COMPUTE_PGM_RSRC2:TGID_Z_EN: 0
; COMPUTE_PGM_RSRC2:TIDIG_COMP_CNT: 0
	.section	.text._ZN9rocsparseL35bsr2csr_block_per_row_33_256_kernelILj1024ELj256ELj32E21rocsparse_complex_numIfEliEEv20rocsparse_direction_T4_S4_21rocsparse_index_base_PKT2_PKT3_PKS4_S4_S5_PS6_PS9_PS4_,"axG",@progbits,_ZN9rocsparseL35bsr2csr_block_per_row_33_256_kernelILj1024ELj256ELj32E21rocsparse_complex_numIfEliEEv20rocsparse_direction_T4_S4_21rocsparse_index_base_PKT2_PKT3_PKS4_S4_S5_PS6_PS9_PS4_,comdat
	.globl	_ZN9rocsparseL35bsr2csr_block_per_row_33_256_kernelILj1024ELj256ELj32E21rocsparse_complex_numIfEliEEv20rocsparse_direction_T4_S4_21rocsparse_index_base_PKT2_PKT3_PKS4_S4_S5_PS6_PS9_PS4_ ; -- Begin function _ZN9rocsparseL35bsr2csr_block_per_row_33_256_kernelILj1024ELj256ELj32E21rocsparse_complex_numIfEliEEv20rocsparse_direction_T4_S4_21rocsparse_index_base_PKT2_PKT3_PKS4_S4_S5_PS6_PS9_PS4_
	.p2align	8
	.type	_ZN9rocsparseL35bsr2csr_block_per_row_33_256_kernelILj1024ELj256ELj32E21rocsparse_complex_numIfEliEEv20rocsparse_direction_T4_S4_21rocsparse_index_base_PKT2_PKT3_PKS4_S4_S5_PS6_PS9_PS4_,@function
_ZN9rocsparseL35bsr2csr_block_per_row_33_256_kernelILj1024ELj256ELj32E21rocsparse_complex_numIfEliEEv20rocsparse_direction_T4_S4_21rocsparse_index_base_PKT2_PKT3_PKS4_S4_S5_PS6_PS9_PS4_: ; @_ZN9rocsparseL35bsr2csr_block_per_row_33_256_kernelILj1024ELj256ELj32E21rocsparse_complex_numIfEliEEv20rocsparse_direction_T4_S4_21rocsparse_index_base_PKT2_PKT3_PKS4_S4_S5_PS6_PS9_PS4_
; %bb.0:
	s_load_dwordx2 s[0:1], s[4:5], 0x18
	s_ashr_i32 s7, s6, 31
	s_clause 0x1
	s_load_dwordx2 s[16:17], s[4:5], 0x28
	s_load_dwordx2 s[24:25], s[4:5], 0x38
	s_lshl_b64 s[2:3], s[6:7], 3
	v_or_b32_e32 v1, s6, v0
	s_waitcnt lgkmcnt(0)
	s_add_u32 s0, s0, s2
	s_addc_u32 s1, s1, s3
	s_mov_b32 s2, exec_lo
	s_load_dwordx4 s[12:15], s[0:1], 0x0
	s_mov_b32 s1, 0
	v_cmpx_eq_u32_e32 0, v1
	s_cbranch_execz .LBB181_2
; %bb.1:
	s_mov_b32 s0, s17
	v_mov_b32_e32 v2, s1
	v_mov_b32_e32 v3, 0
	;; [unrolled: 1-line block ×3, first 2 shown]
	global_store_dwordx2 v3, v[1:2], s[24:25]
.LBB181_2:
	s_or_b32 exec_lo, exec_lo, s2
	s_load_dword s33, s[4:5], 0xc
	s_mul_i32 s34, s16, s16
	v_lshrrev_b32_e32 v43, 5, v0
	s_mul_i32 s11, s16, s6
	v_cmp_gt_i32_e64 s2, s16, v43
	s_waitcnt lgkmcnt(0)
	s_sub_u32 s18, s12, s33
	s_subb_u32 s19, s13, 0
	s_mul_hi_u32 s0, s18, s34
	s_mul_i32 s1, s19, s34
	s_sub_u32 s20, s14, s33
	s_subb_u32 s21, s15, 0
	s_add_i32 s23, s0, s1
	s_sub_u32 s58, s20, s18
	s_subb_u32 s64, s21, s19
	s_mul_hi_u32 s0, s58, s16
	s_mul_i32 s1, s64, s16
	s_mul_i32 s22, s18, s34
	s_add_i32 s0, s0, s1
	s_mul_i32 s28, s58, s16
	s_add_u32 s1, s22, s17
	s_addc_u32 s3, s23, 0
	s_add_u32 s26, s1, s28
	s_addc_u32 s27, s3, s0
	s_and_saveexec_b32 s1, s2
	s_cbranch_execz .LBB181_4
; %bb.3:
	v_add_nc_u32_e32 v3, s11, v43
	v_mad_u64_u32 v[1:2], null, s28, v43, s[26:27]
	v_ashrrev_i32_e32 v4, 31, v3
	v_mad_u64_u32 v[5:6], null, s0, v43, v[2:3]
	v_lshlrev_b64 v[3:4], 3, v[3:4]
	v_add_co_u32 v3, vcc_lo, s24, v3
	v_mov_b32_e32 v2, v5
	v_add_co_ci_u32_e64 v4, null, s25, v4, vcc_lo
	global_store_dwordx2 v[3:4], v[1:2], off offset:8
.LBB181_4:
	s_or_b32 exec_lo, exec_lo, s1
	v_or_b32_e32 v4, 32, v43
	v_cmp_gt_i32_e64 s8, s16, v4
	s_and_saveexec_b32 s1, s8
	s_cbranch_execz .LBB181_6
; %bb.5:
	s_ashr_i32 s3, s11, 31
	v_add_co_u32 v5, s6, v43, s11
	v_add_co_ci_u32_e64 v6, null, 0, s3, s6
	v_mad_u64_u32 v[1:2], null, s28, v4, s[26:27]
	v_lshlrev_b64 v[5:6], 3, v[5:6]
	v_mad_u64_u32 v[2:3], null, s0, v4, v[2:3]
	v_add_co_u32 v5, vcc_lo, s24, v5
	v_add_co_ci_u32_e64 v6, null, s25, v6, vcc_lo
	global_store_dwordx2 v[5:6], v[1:2], off offset:264
.LBB181_6:
	s_or_b32 exec_lo, exec_lo, s1
	v_or_b32_e32 v5, 64, v43
	v_cmp_gt_i32_e64 s6, s16, v5
	s_and_saveexec_b32 s1, s6
	s_cbranch_execz .LBB181_8
; %bb.7:
	s_ashr_i32 s3, s11, 31
	v_add_co_u32 v6, s7, v43, s11
	v_add_co_ci_u32_e64 v7, null, 0, s3, s7
	v_mad_u64_u32 v[1:2], null, s28, v5, s[26:27]
	v_lshlrev_b64 v[6:7], 3, v[6:7]
	v_mad_u64_u32 v[2:3], null, s0, v5, v[2:3]
	v_add_co_u32 v6, vcc_lo, s24, v6
	v_add_co_ci_u32_e64 v7, null, s25, v7, vcc_lo
	global_store_dwordx2 v[6:7], v[1:2], off offset:520
.LBB181_8:
	;; [unrolled: 16-line block ×6, first 2 shown]
	s_or_b32 exec_lo, exec_lo, s9
	v_or_b32_e32 v14, 0xe0, v43
	v_cmp_gt_i32_e64 s9, s16, v14
	s_and_saveexec_b32 s29, s9
	s_cbranch_execz .LBB181_18
; %bb.17:
	v_mad_u64_u32 v[1:2], null, s28, v14, s[26:27]
	s_ashr_i32 s26, s11, 31
	v_add_co_u32 v7, s11, v43, s11
	v_add_co_ci_u32_e64 v8, null, 0, s26, s11
	v_mad_u64_u32 v[2:3], null, s0, v14, v[2:3]
	v_lshlrev_b64 v[7:8], 3, v[7:8]
	v_add_co_u32 v7, vcc_lo, s24, v7
	v_add_co_ci_u32_e64 v8, null, s25, v8, vcc_lo
	global_store_dwordx2 v[7:8], v[1:2], off offset:1800
.LBB181_18:
	s_or_b32 exec_lo, exec_lo, s29
	v_cmp_lt_i64_e64 s0, s[12:13], s[14:15]
	s_and_b32 vcc_lo, exec_lo, s0
	s_cbranch_vccz .LBB181_149
; %bb.19:
	v_and_b32_e32 v46, 31, v0
	v_mad_u64_u32 v[0:1], null, s58, v43, 0
	v_mad_u64_u32 v[2:3], null, s58, v4, 0
	s_clause 0x4
	s_load_dword s0, s[4:5], 0x0
	s_load_dwordx2 s[24:25], s[4:5], 0x20
	s_load_dwordx2 s[26:27], s[4:5], 0x30
	;; [unrolled: 1-line block ×4, first 2 shown]
	v_mul_lo_u32 v15, v43, s16
	v_mul_lo_u32 v27, v46, s16
	v_mad_u64_u32 v[9:10], null, s58, v13, 0
	v_mov_b32_e32 v28, 0
	v_mad_u64_u32 v[7:8], null, s64, v43, v[1:2]
	v_or_b32_e32 v47, 32, v46
	v_or_b32_e32 v48, 64, v46
	;; [unrolled: 1-line block ×6, first 2 shown]
	v_mov_b32_e32 v1, v7
	v_mad_u64_u32 v[7:8], null, s64, v4, v[3:4]
	v_mad_u64_u32 v[3:4], null, s58, v5, 0
	s_waitcnt lgkmcnt(0)
	s_cmp_eq_u32 s0, 0
	v_or_b32_e32 v53, 0xe0, v46
	s_cselect_b32 s0, -1, 0
	s_lshl_b32 s86, s16, 5
	v_mov_b32_e32 v54, v7
	v_add_nc_u32_e32 v29, s86, v27
	v_mad_u64_u32 v[7:8], null, s64, v5, v[4:5]
	v_mad_u64_u32 v[4:5], null, s58, v6, 0
	v_add_nc_u32_e32 v17, s86, v15
	v_add_nc_u32_e32 v31, s86, v29
	v_mov_b32_e32 v30, v28
	v_mov_b32_e32 v32, v28
	;; [unrolled: 1-line block ×3, first 2 shown]
	v_mad_u64_u32 v[7:8], null, s58, v12, 0
	v_mad_u64_u32 v[21:22], null, s64, v6, v[5:6]
	;; [unrolled: 1-line block ×3, first 2 shown]
	v_add_nc_u32_e32 v19, s86, v17
	v_add_nc_u32_e32 v33, s86, v31
	v_mov_b32_e32 v34, v28
	v_mov_b32_e32 v36, v28
	;; [unrolled: 1-line block ×3, first 2 shown]
	v_add_nc_u32_e32 v21, s86, v19
	v_mad_u64_u32 v[23:24], null, s64, v11, v[6:7]
	v_mov_b32_e32 v6, v10
	v_add_nc_u32_e32 v35, s86, v33
	v_mad_u64_u32 v[24:25], null, s64, v12, v[8:9]
	v_mad_u64_u32 v[10:11], null, s58, v14, 0
	;; [unrolled: 1-line block ×3, first 2 shown]
	v_mov_b32_e32 v6, v23
	v_add_nc_u32_e32 v23, s86, v21
	v_add_nc_u32_e32 v37, s86, v35
	v_mov_b32_e32 v38, v28
	v_mov_b32_e32 v40, v28
	;; [unrolled: 1-line block ×3, first 2 shown]
	v_add_nc_u32_e32 v25, s86, v23
	v_add_nc_u32_e32 v39, s86, v37
	v_mov_b32_e32 v57, v12
	v_mad_u64_u32 v[11:12], null, s64, v14, v[11:12]
	v_add_nc_u32_e32 v44, s86, v25
	v_mov_b32_e32 v16, v28
	v_add_nc_u32_e32 v41, s86, v39
	v_mov_b32_e32 v18, v28
	v_mov_b32_e32 v20, v28
	;; [unrolled: 1-line block ×7, first 2 shown]
	v_add_nc_u32_e32 v59, s86, v44
	v_mov_b32_e32 v60, v28
	v_cmp_gt_i32_e32 vcc_lo, s16, v46
	v_cmp_gt_i32_e64 s11, s16, v47
	v_cmp_gt_i32_e64 s12, s16, v48
	v_cmp_gt_i32_e64 s13, s16, v49
	v_cmp_gt_i32_e64 s14, s16, v50
	v_cmp_gt_i32_e64 s15, s16, v51
	v_cmp_gt_i32_e64 s4, s16, v52
	v_cmp_gt_i32_e64 s5, s16, v53
	v_mov_b32_e32 v58, v11
	v_lshlrev_b64 v[11:12], 3, v[15:16]
	v_lshlrev_b64 v[13:14], 3, v[17:18]
	;; [unrolled: 1-line block ×16, first 2 shown]
	v_lshlrev_b32_e32 v59, 3, v43
	s_and_b32 s35, s2, vcc_lo
	s_and_b32 s36, s2, s11
	s_and_b32 s37, s2, s12
	s_and_b32 s38, s2, s13
	s_and_b32 s39, s2, s14
	s_and_b32 s40, s2, s15
	s_and_b32 s41, s2, s4
	s_and_b32 s42, s2, s5
	s_and_b32 s43, s8, vcc_lo
	s_and_b32 s44, s8, s11
	s_and_b32 s45, s8, s12
	s_and_b32 s46, s8, s13
	s_and_b32 s47, s8, s14
	s_and_b32 s48, s8, s15
	s_and_b32 s49, s8, s4
	s_and_b32 s8, s8, s5
	;; [unrolled: 8-line block ×8, first 2 shown]
	s_mov_b64 s[2:3], s[18:19]
	s_branch .LBB181_21
.LBB181_20:                             ;   in Loop: Header=BB181_21 Depth=1
	s_or_b32 exec_lo, exec_lo, s9
	s_add_u32 s2, s2, 1
	s_addc_u32 s3, s3, 0
	v_cmp_ge_i64_e64 s9, s[2:3], s[20:21]
	s_and_b32 vcc_lo, exec_lo, s9
	s_cbranch_vccnz .LBB181_149
.LBB181_21:                             ; =>This Inner Loop Header: Depth=1
	s_lshl_b64 s[88:89], s[2:3], 2
	s_mul_hi_u32 s90, s2, s34
	s_add_u32 s88, s24, s88
	s_addc_u32 s89, s25, s89
	v_lshlrev_b32_e32 v62, 3, v46
	s_load_dword s9, s[88:89], 0x0
	s_mul_i32 s89, s3, s34
	s_mul_i32 s88, s2, s34
	s_waitcnt lgkmcnt(0)
	s_sub_i32 s91, s9, s33
	s_sub_u32 s9, s2, s18
	s_subb_u32 s87, s3, s19
	v_add_co_u32 v43, vcc_lo, v0, s9
	s_add_i32 s89, s90, s89
	v_add_co_ci_u32_e64 v45, null, s87, v1, vcc_lo
	v_mad_u64_u32 v[43:44], null, v43, s16, s[22:23]
	s_mul_i32 s90, s91, s16
	s_lshl_b64 s[88:89], s[88:89], 3
	s_add_i32 s90, s90, s17
	s_add_u32 s88, s28, s88
	s_addc_u32 s89, s29, s89
	v_add_co_u32 v60, s91, s88, v59
	v_mad_u64_u32 v[44:45], null, v45, s16, v[44:45]
	v_add_co_u32 v45, vcc_lo, s88, v11
	v_add_nc_u32_e32 v68, s90, v46
	v_add_co_ci_u32_e64 v61, null, s89, 0, s91
	v_add_co_ci_u32_e64 v71, null, s89, v12, vcc_lo
	s_and_saveexec_b32 s91, s35
	s_cbranch_execnz .LBB181_92
; %bb.22:                               ;   in Loop: Header=BB181_21 Depth=1
	s_or_b32 exec_lo, exec_lo, s91
	v_add_nc_u32_e32 v70, s90, v47
	s_and_saveexec_b32 s91, s36
	s_cbranch_execnz .LBB181_93
.LBB181_23:                             ;   in Loop: Header=BB181_21 Depth=1
	s_or_b32 exec_lo, exec_lo, s91
	v_add_nc_u32_e32 v69, s90, v48
	s_and_saveexec_b32 s91, s37
	s_cbranch_execnz .LBB181_94
.LBB181_24:                             ;   in Loop: Header=BB181_21 Depth=1
	s_or_b32 exec_lo, exec_lo, s91
	v_add_nc_u32_e32 v67, s90, v49
	s_and_saveexec_b32 s91, s38
	s_cbranch_execnz .LBB181_95
.LBB181_25:                             ;   in Loop: Header=BB181_21 Depth=1
	s_or_b32 exec_lo, exec_lo, s91
	v_add_nc_u32_e32 v66, s90, v50
	s_and_saveexec_b32 s91, s39
	s_cbranch_execnz .LBB181_96
.LBB181_26:                             ;   in Loop: Header=BB181_21 Depth=1
	s_or_b32 exec_lo, exec_lo, s91
	v_add_nc_u32_e32 v64, s90, v51
	s_and_saveexec_b32 s91, s40
	s_cbranch_execnz .LBB181_97
.LBB181_27:                             ;   in Loop: Header=BB181_21 Depth=1
	s_or_b32 exec_lo, exec_lo, s91
	v_add_nc_u32_e32 v63, s90, v52
	s_and_saveexec_b32 s91, s41
	s_cbranch_execnz .LBB181_98
.LBB181_28:                             ;   in Loop: Header=BB181_21 Depth=1
	s_or_b32 exec_lo, exec_lo, s91
	v_add_nc_u32_e32 v65, s90, v53
	s_and_saveexec_b32 s90, s42
	s_cbranch_execz .LBB181_30
.LBB181_29:                             ;   in Loop: Header=BB181_21 Depth=1
	v_add_co_u32 v45, vcc_lo, v45, v62
	v_add_co_ci_u32_e64 v71, null, 0, v71, vcc_lo
	v_add_co_u32 v45, vcc_lo, 0x700, v45
	v_add_co_ci_u32_e64 v71, null, 0, v71, vcc_lo
	;; [unrolled: 2-line block ×4, first 2 shown]
	v_cndmask_b32_e64 v72, v72, v71, s0
	v_cndmask_b32_e64 v71, v73, v45, s0
	v_lshlrev_b64 v[73:74], 2, v[43:44]
	v_lshlrev_b64 v[43:44], 3, v[43:44]
	global_load_dwordx2 v[71:72], v[71:72], off
	v_add_co_u32 v73, vcc_lo, s30, v73
	v_add_co_ci_u32_e64 v74, null, s31, v74, vcc_lo
	v_add_co_u32 v43, vcc_lo, s26, v43
	v_add_co_ci_u32_e64 v44, null, s27, v44, vcc_lo
	global_store_dword v[73:74], v65, off offset:896
	s_waitcnt vmcnt(0)
	global_store_dwordx2 v[43:44], v[71:72], off offset:1792
.LBB181_30:                             ;   in Loop: Header=BB181_21 Depth=1
	s_or_b32 exec_lo, exec_lo, s90
	v_add_co_u32 v43, vcc_lo, v2, s9
	v_add_co_ci_u32_e64 v45, null, s87, v54, vcc_lo
	v_mad_u64_u32 v[43:44], null, v43, s16, s[22:23]
	v_mad_u64_u32 v[44:45], null, v45, s16, v[44:45]
	v_add_co_u32 v45, vcc_lo, s88, v13
	v_add_co_ci_u32_e64 v71, null, s89, v14, vcc_lo
	s_and_saveexec_b32 s90, s43
	s_cbranch_execnz .LBB181_99
; %bb.31:                               ;   in Loop: Header=BB181_21 Depth=1
	s_or_b32 exec_lo, exec_lo, s90
	s_and_saveexec_b32 s90, s44
	s_cbranch_execnz .LBB181_100
.LBB181_32:                             ;   in Loop: Header=BB181_21 Depth=1
	s_or_b32 exec_lo, exec_lo, s90
	s_and_saveexec_b32 s90, s45
	s_cbranch_execnz .LBB181_101
.LBB181_33:                             ;   in Loop: Header=BB181_21 Depth=1
	s_or_b32 exec_lo, exec_lo, s90
	s_and_saveexec_b32 s90, s46
	s_cbranch_execnz .LBB181_102
.LBB181_34:                             ;   in Loop: Header=BB181_21 Depth=1
	s_or_b32 exec_lo, exec_lo, s90
	s_and_saveexec_b32 s90, s47
	s_cbranch_execnz .LBB181_103
.LBB181_35:                             ;   in Loop: Header=BB181_21 Depth=1
	s_or_b32 exec_lo, exec_lo, s90
	s_and_saveexec_b32 s90, s48
	s_cbranch_execnz .LBB181_104
.LBB181_36:                             ;   in Loop: Header=BB181_21 Depth=1
	s_or_b32 exec_lo, exec_lo, s90
	s_and_saveexec_b32 s90, s49
	s_cbranch_execnz .LBB181_105
.LBB181_37:                             ;   in Loop: Header=BB181_21 Depth=1
	s_or_b32 exec_lo, exec_lo, s90
	s_and_saveexec_b32 s90, s8
	s_cbranch_execz .LBB181_39
.LBB181_38:                             ;   in Loop: Header=BB181_21 Depth=1
	v_add_co_u32 v45, vcc_lo, v45, v62
	v_add_co_ci_u32_e64 v71, null, 0, v71, vcc_lo
	v_add_co_u32 v72, vcc_lo, v60, v41
	v_add_co_ci_u32_e64 v73, null, v61, v42, vcc_lo
	;; [unrolled: 2-line block ×5, first 2 shown]
	v_cndmask_b32_e64 v72, v72, v71, s0
	v_cndmask_b32_e64 v71, v74, v45, s0
	v_lshlrev_b64 v[73:74], 2, v[43:44]
	v_lshlrev_b64 v[43:44], 3, v[43:44]
	global_load_dwordx2 v[71:72], v[71:72], off
	v_add_co_u32 v73, vcc_lo, s30, v73
	v_add_co_ci_u32_e64 v74, null, s31, v74, vcc_lo
	v_add_co_u32 v43, vcc_lo, s26, v43
	v_add_co_ci_u32_e64 v44, null, s27, v44, vcc_lo
	global_store_dword v[73:74], v65, off offset:896
	s_waitcnt vmcnt(0)
	global_store_dwordx2 v[43:44], v[71:72], off offset:1792
.LBB181_39:                             ;   in Loop: Header=BB181_21 Depth=1
	s_or_b32 exec_lo, exec_lo, s90
	v_add_co_u32 v43, vcc_lo, v3, s9
	v_add_co_ci_u32_e64 v45, null, s87, v55, vcc_lo
	v_mad_u64_u32 v[43:44], null, v43, s16, s[22:23]
	v_mad_u64_u32 v[44:45], null, v45, s16, v[44:45]
	v_add_co_u32 v45, vcc_lo, s88, v15
	v_add_co_ci_u32_e64 v71, null, s89, v16, vcc_lo
	s_and_saveexec_b32 s90, s50
	s_cbranch_execnz .LBB181_106
; %bb.40:                               ;   in Loop: Header=BB181_21 Depth=1
	s_or_b32 exec_lo, exec_lo, s90
	s_and_saveexec_b32 s90, s51
	s_cbranch_execnz .LBB181_107
.LBB181_41:                             ;   in Loop: Header=BB181_21 Depth=1
	s_or_b32 exec_lo, exec_lo, s90
	s_and_saveexec_b32 s90, s52
	s_cbranch_execnz .LBB181_108
.LBB181_42:                             ;   in Loop: Header=BB181_21 Depth=1
	s_or_b32 exec_lo, exec_lo, s90
	s_and_saveexec_b32 s90, s53
	s_cbranch_execnz .LBB181_109
.LBB181_43:                             ;   in Loop: Header=BB181_21 Depth=1
	s_or_b32 exec_lo, exec_lo, s90
	s_and_saveexec_b32 s90, s54
	s_cbranch_execnz .LBB181_110
.LBB181_44:                             ;   in Loop: Header=BB181_21 Depth=1
	s_or_b32 exec_lo, exec_lo, s90
	s_and_saveexec_b32 s90, s55
	s_cbranch_execnz .LBB181_111
.LBB181_45:                             ;   in Loop: Header=BB181_21 Depth=1
	s_or_b32 exec_lo, exec_lo, s90
	s_and_saveexec_b32 s90, s56
	s_cbranch_execnz .LBB181_112
.LBB181_46:                             ;   in Loop: Header=BB181_21 Depth=1
	s_or_b32 exec_lo, exec_lo, s90
	s_and_saveexec_b32 s90, s6
	s_cbranch_execz .LBB181_48
.LBB181_47:                             ;   in Loop: Header=BB181_21 Depth=1
	v_add_co_u32 v45, vcc_lo, v45, v62
	v_add_co_ci_u32_e64 v71, null, 0, v71, vcc_lo
	v_add_co_u32 v72, vcc_lo, v60, v41
	v_add_co_ci_u32_e64 v73, null, v61, v42, vcc_lo
	;; [unrolled: 2-line block ×5, first 2 shown]
	v_cndmask_b32_e64 v72, v72, v71, s0
	v_cndmask_b32_e64 v71, v74, v45, s0
	v_lshlrev_b64 v[73:74], 2, v[43:44]
	v_lshlrev_b64 v[43:44], 3, v[43:44]
	global_load_dwordx2 v[71:72], v[71:72], off
	v_add_co_u32 v73, vcc_lo, s30, v73
	v_add_co_ci_u32_e64 v74, null, s31, v74, vcc_lo
	v_add_co_u32 v43, vcc_lo, s26, v43
	v_add_co_ci_u32_e64 v44, null, s27, v44, vcc_lo
	global_store_dword v[73:74], v65, off offset:896
	s_waitcnt vmcnt(0)
	global_store_dwordx2 v[43:44], v[71:72], off offset:1792
.LBB181_48:                             ;   in Loop: Header=BB181_21 Depth=1
	s_or_b32 exec_lo, exec_lo, s90
	v_add_co_u32 v43, vcc_lo, v4, s9
	v_add_co_ci_u32_e64 v45, null, s87, v56, vcc_lo
	v_mad_u64_u32 v[43:44], null, v43, s16, s[22:23]
	v_mad_u64_u32 v[44:45], null, v45, s16, v[44:45]
	v_add_co_u32 v45, vcc_lo, s88, v17
	v_add_co_ci_u32_e64 v71, null, s89, v18, vcc_lo
	s_and_saveexec_b32 s90, s57
	s_cbranch_execnz .LBB181_113
; %bb.49:                               ;   in Loop: Header=BB181_21 Depth=1
	s_or_b32 exec_lo, exec_lo, s90
	s_and_saveexec_b32 s90, s58
	s_cbranch_execnz .LBB181_114
.LBB181_50:                             ;   in Loop: Header=BB181_21 Depth=1
	s_or_b32 exec_lo, exec_lo, s90
	s_and_saveexec_b32 s90, s59
	s_cbranch_execnz .LBB181_115
.LBB181_51:                             ;   in Loop: Header=BB181_21 Depth=1
	s_or_b32 exec_lo, exec_lo, s90
	s_and_saveexec_b32 s90, s60
	s_cbranch_execnz .LBB181_116
.LBB181_52:                             ;   in Loop: Header=BB181_21 Depth=1
	s_or_b32 exec_lo, exec_lo, s90
	s_and_saveexec_b32 s90, s61
	s_cbranch_execnz .LBB181_117
.LBB181_53:                             ;   in Loop: Header=BB181_21 Depth=1
	s_or_b32 exec_lo, exec_lo, s90
	s_and_saveexec_b32 s90, s62
	s_cbranch_execnz .LBB181_118
.LBB181_54:                             ;   in Loop: Header=BB181_21 Depth=1
	s_or_b32 exec_lo, exec_lo, s90
	s_and_saveexec_b32 s90, s63
	s_cbranch_execnz .LBB181_119
.LBB181_55:                             ;   in Loop: Header=BB181_21 Depth=1
	s_or_b32 exec_lo, exec_lo, s90
	s_and_saveexec_b32 s90, s1
	s_cbranch_execz .LBB181_57
.LBB181_56:                             ;   in Loop: Header=BB181_21 Depth=1
	v_add_co_u32 v45, vcc_lo, v45, v62
	v_add_co_ci_u32_e64 v71, null, 0, v71, vcc_lo
	v_add_co_u32 v72, vcc_lo, v60, v41
	v_add_co_ci_u32_e64 v73, null, v61, v42, vcc_lo
	;; [unrolled: 2-line block ×5, first 2 shown]
	v_cndmask_b32_e64 v72, v72, v71, s0
	v_cndmask_b32_e64 v71, v74, v45, s0
	v_lshlrev_b64 v[73:74], 2, v[43:44]
	v_lshlrev_b64 v[43:44], 3, v[43:44]
	global_load_dwordx2 v[71:72], v[71:72], off
	v_add_co_u32 v73, vcc_lo, s30, v73
	v_add_co_ci_u32_e64 v74, null, s31, v74, vcc_lo
	v_add_co_u32 v43, vcc_lo, s26, v43
	v_add_co_ci_u32_e64 v44, null, s27, v44, vcc_lo
	global_store_dword v[73:74], v65, off offset:896
	s_waitcnt vmcnt(0)
	global_store_dwordx2 v[43:44], v[71:72], off offset:1792
.LBB181_57:                             ;   in Loop: Header=BB181_21 Depth=1
	s_or_b32 exec_lo, exec_lo, s90
	v_add_co_u32 v43, vcc_lo, v5, s9
	v_add_co_ci_u32_e64 v45, null, s87, v6, vcc_lo
	v_mad_u64_u32 v[43:44], null, v43, s16, s[22:23]
	v_mad_u64_u32 v[44:45], null, v45, s16, v[44:45]
	v_add_co_u32 v45, vcc_lo, s88, v19
	v_add_co_ci_u32_e64 v71, null, s89, v20, vcc_lo
	s_and_saveexec_b32 s90, s64
	s_cbranch_execnz .LBB181_120
; %bb.58:                               ;   in Loop: Header=BB181_21 Depth=1
	s_or_b32 exec_lo, exec_lo, s90
	s_and_saveexec_b32 s90, s65
	s_cbranch_execnz .LBB181_121
.LBB181_59:                             ;   in Loop: Header=BB181_21 Depth=1
	s_or_b32 exec_lo, exec_lo, s90
	s_and_saveexec_b32 s90, s66
	s_cbranch_execnz .LBB181_122
.LBB181_60:                             ;   in Loop: Header=BB181_21 Depth=1
	s_or_b32 exec_lo, exec_lo, s90
	s_and_saveexec_b32 s90, s67
	s_cbranch_execnz .LBB181_123
.LBB181_61:                             ;   in Loop: Header=BB181_21 Depth=1
	s_or_b32 exec_lo, exec_lo, s90
	s_and_saveexec_b32 s90, s68
	s_cbranch_execnz .LBB181_124
.LBB181_62:                             ;   in Loop: Header=BB181_21 Depth=1
	s_or_b32 exec_lo, exec_lo, s90
	s_and_saveexec_b32 s90, s69
	s_cbranch_execnz .LBB181_125
.LBB181_63:                             ;   in Loop: Header=BB181_21 Depth=1
	s_or_b32 exec_lo, exec_lo, s90
	s_and_saveexec_b32 s90, s70
	s_cbranch_execnz .LBB181_126
.LBB181_64:                             ;   in Loop: Header=BB181_21 Depth=1
	s_or_b32 exec_lo, exec_lo, s90
	s_and_saveexec_b32 s90, s71
	s_cbranch_execz .LBB181_66
.LBB181_65:                             ;   in Loop: Header=BB181_21 Depth=1
	v_add_co_u32 v45, vcc_lo, v45, v62
	v_add_co_ci_u32_e64 v71, null, 0, v71, vcc_lo
	v_add_co_u32 v72, vcc_lo, v60, v41
	v_add_co_ci_u32_e64 v73, null, v61, v42, vcc_lo
	;; [unrolled: 2-line block ×5, first 2 shown]
	v_cndmask_b32_e64 v72, v72, v71, s0
	v_cndmask_b32_e64 v71, v74, v45, s0
	v_lshlrev_b64 v[73:74], 2, v[43:44]
	v_lshlrev_b64 v[43:44], 3, v[43:44]
	global_load_dwordx2 v[71:72], v[71:72], off
	v_add_co_u32 v73, vcc_lo, s30, v73
	v_add_co_ci_u32_e64 v74, null, s31, v74, vcc_lo
	v_add_co_u32 v43, vcc_lo, s26, v43
	v_add_co_ci_u32_e64 v44, null, s27, v44, vcc_lo
	global_store_dword v[73:74], v65, off offset:896
	s_waitcnt vmcnt(0)
	global_store_dwordx2 v[43:44], v[71:72], off offset:1792
.LBB181_66:                             ;   in Loop: Header=BB181_21 Depth=1
	s_or_b32 exec_lo, exec_lo, s90
	v_add_co_u32 v43, vcc_lo, v7, s9
	v_add_co_ci_u32_e64 v45, null, s87, v8, vcc_lo
	v_mad_u64_u32 v[43:44], null, v43, s16, s[22:23]
	v_mad_u64_u32 v[44:45], null, v45, s16, v[44:45]
	v_add_co_u32 v45, vcc_lo, s88, v21
	v_add_co_ci_u32_e64 v71, null, s89, v22, vcc_lo
	s_and_saveexec_b32 s90, s72
	s_cbranch_execnz .LBB181_127
; %bb.67:                               ;   in Loop: Header=BB181_21 Depth=1
	s_or_b32 exec_lo, exec_lo, s90
	s_and_saveexec_b32 s90, s73
	s_cbranch_execnz .LBB181_128
.LBB181_68:                             ;   in Loop: Header=BB181_21 Depth=1
	s_or_b32 exec_lo, exec_lo, s90
	s_and_saveexec_b32 s90, s74
	s_cbranch_execnz .LBB181_129
.LBB181_69:                             ;   in Loop: Header=BB181_21 Depth=1
	s_or_b32 exec_lo, exec_lo, s90
	s_and_saveexec_b32 s90, s75
	s_cbranch_execnz .LBB181_130
.LBB181_70:                             ;   in Loop: Header=BB181_21 Depth=1
	s_or_b32 exec_lo, exec_lo, s90
	s_and_saveexec_b32 s90, s76
	s_cbranch_execnz .LBB181_131
.LBB181_71:                             ;   in Loop: Header=BB181_21 Depth=1
	s_or_b32 exec_lo, exec_lo, s90
	s_and_saveexec_b32 s90, s77
	s_cbranch_execnz .LBB181_132
.LBB181_72:                             ;   in Loop: Header=BB181_21 Depth=1
	s_or_b32 exec_lo, exec_lo, s90
	s_and_saveexec_b32 s90, s78
	s_cbranch_execnz .LBB181_133
.LBB181_73:                             ;   in Loop: Header=BB181_21 Depth=1
	s_or_b32 exec_lo, exec_lo, s90
	s_and_saveexec_b32 s90, s7
	s_cbranch_execz .LBB181_75
.LBB181_74:                             ;   in Loop: Header=BB181_21 Depth=1
	v_add_co_u32 v45, vcc_lo, v45, v62
	v_add_co_ci_u32_e64 v71, null, 0, v71, vcc_lo
	v_add_co_u32 v72, vcc_lo, v60, v41
	v_add_co_ci_u32_e64 v73, null, v61, v42, vcc_lo
	;; [unrolled: 2-line block ×5, first 2 shown]
	v_cndmask_b32_e64 v72, v72, v71, s0
	v_cndmask_b32_e64 v71, v74, v45, s0
	v_lshlrev_b64 v[73:74], 2, v[43:44]
	v_lshlrev_b64 v[43:44], 3, v[43:44]
	global_load_dwordx2 v[71:72], v[71:72], off
	v_add_co_u32 v73, vcc_lo, s30, v73
	v_add_co_ci_u32_e64 v74, null, s31, v74, vcc_lo
	v_add_co_u32 v43, vcc_lo, s26, v43
	v_add_co_ci_u32_e64 v44, null, s27, v44, vcc_lo
	global_store_dword v[73:74], v65, off offset:896
	s_waitcnt vmcnt(0)
	global_store_dwordx2 v[43:44], v[71:72], off offset:1792
.LBB181_75:                             ;   in Loop: Header=BB181_21 Depth=1
	s_or_b32 exec_lo, exec_lo, s90
	v_add_co_u32 v43, vcc_lo, v9, s9
	v_add_co_ci_u32_e64 v45, null, s87, v57, vcc_lo
	v_mad_u64_u32 v[43:44], null, v43, s16, s[22:23]
	v_mad_u64_u32 v[44:45], null, v45, s16, v[44:45]
	v_add_co_u32 v45, vcc_lo, s88, v23
	v_add_co_ci_u32_e64 v71, null, s89, v24, vcc_lo
	s_and_saveexec_b32 s90, s79
	s_cbranch_execnz .LBB181_134
; %bb.76:                               ;   in Loop: Header=BB181_21 Depth=1
	s_or_b32 exec_lo, exec_lo, s90
	s_and_saveexec_b32 s90, s80
	s_cbranch_execnz .LBB181_135
.LBB181_77:                             ;   in Loop: Header=BB181_21 Depth=1
	s_or_b32 exec_lo, exec_lo, s90
	s_and_saveexec_b32 s90, s81
	s_cbranch_execnz .LBB181_136
.LBB181_78:                             ;   in Loop: Header=BB181_21 Depth=1
	s_or_b32 exec_lo, exec_lo, s90
	s_and_saveexec_b32 s90, s82
	s_cbranch_execnz .LBB181_137
.LBB181_79:                             ;   in Loop: Header=BB181_21 Depth=1
	s_or_b32 exec_lo, exec_lo, s90
	s_and_saveexec_b32 s90, s83
	s_cbranch_execnz .LBB181_138
.LBB181_80:                             ;   in Loop: Header=BB181_21 Depth=1
	s_or_b32 exec_lo, exec_lo, s90
	s_and_saveexec_b32 s90, s84
	s_cbranch_execnz .LBB181_139
.LBB181_81:                             ;   in Loop: Header=BB181_21 Depth=1
	s_or_b32 exec_lo, exec_lo, s90
	s_and_saveexec_b32 s90, s85
	s_cbranch_execnz .LBB181_140
.LBB181_82:                             ;   in Loop: Header=BB181_21 Depth=1
	s_or_b32 exec_lo, exec_lo, s90
	s_and_saveexec_b32 s90, s10
	s_cbranch_execz .LBB181_84
.LBB181_83:                             ;   in Loop: Header=BB181_21 Depth=1
	v_add_co_u32 v45, vcc_lo, v45, v62
	v_add_co_ci_u32_e64 v71, null, 0, v71, vcc_lo
	v_add_co_u32 v72, vcc_lo, v60, v41
	v_add_co_ci_u32_e64 v73, null, v61, v42, vcc_lo
	;; [unrolled: 2-line block ×5, first 2 shown]
	v_cndmask_b32_e64 v72, v72, v71, s0
	v_cndmask_b32_e64 v71, v74, v45, s0
	v_lshlrev_b64 v[73:74], 2, v[43:44]
	v_lshlrev_b64 v[43:44], 3, v[43:44]
	global_load_dwordx2 v[71:72], v[71:72], off
	v_add_co_u32 v73, vcc_lo, s30, v73
	v_add_co_ci_u32_e64 v74, null, s31, v74, vcc_lo
	v_add_co_u32 v43, vcc_lo, s26, v43
	v_add_co_ci_u32_e64 v44, null, s27, v44, vcc_lo
	global_store_dword v[73:74], v65, off offset:896
	s_waitcnt vmcnt(0)
	global_store_dwordx2 v[43:44], v[71:72], off offset:1792
.LBB181_84:                             ;   in Loop: Header=BB181_21 Depth=1
	s_or_b32 exec_lo, exec_lo, s90
	v_add_co_u32 v43, vcc_lo, v10, s9
	v_add_co_ci_u32_e64 v45, null, s87, v58, vcc_lo
	v_mad_u64_u32 v[43:44], null, v43, s16, s[22:23]
	v_mad_u64_u32 v[44:45], null, v45, s16, v[44:45]
	v_add_co_u32 v45, vcc_lo, s88, v25
	v_add_co_ci_u32_e64 v71, null, s89, v26, vcc_lo
	s_and_saveexec_b32 s9, s86
	s_cbranch_execnz .LBB181_141
; %bb.85:                               ;   in Loop: Header=BB181_21 Depth=1
	s_or_b32 exec_lo, exec_lo, s9
	s_and_saveexec_b32 s9, s11
	s_cbranch_execnz .LBB181_142
.LBB181_86:                             ;   in Loop: Header=BB181_21 Depth=1
	s_or_b32 exec_lo, exec_lo, s9
	s_and_saveexec_b32 s9, s12
	s_cbranch_execnz .LBB181_143
.LBB181_87:                             ;   in Loop: Header=BB181_21 Depth=1
	s_or_b32 exec_lo, exec_lo, s9
	s_and_saveexec_b32 s9, s13
	s_cbranch_execnz .LBB181_144
.LBB181_88:                             ;   in Loop: Header=BB181_21 Depth=1
	s_or_b32 exec_lo, exec_lo, s9
	s_and_saveexec_b32 s9, s14
	s_cbranch_execnz .LBB181_145
.LBB181_89:                             ;   in Loop: Header=BB181_21 Depth=1
	s_or_b32 exec_lo, exec_lo, s9
	s_and_saveexec_b32 s9, s15
	s_cbranch_execnz .LBB181_146
.LBB181_90:                             ;   in Loop: Header=BB181_21 Depth=1
	s_or_b32 exec_lo, exec_lo, s9
	s_and_saveexec_b32 s9, s4
	s_cbranch_execnz .LBB181_147
.LBB181_91:                             ;   in Loop: Header=BB181_21 Depth=1
	s_or_b32 exec_lo, exec_lo, s9
	s_and_saveexec_b32 s9, s5
	s_cbranch_execz .LBB181_20
	s_branch .LBB181_148
.LBB181_92:                             ;   in Loop: Header=BB181_21 Depth=1
	v_add_co_u32 v63, vcc_lo, v45, v62
	v_add_co_ci_u32_e64 v64, null, 0, v71, vcc_lo
	v_add_co_u32 v65, vcc_lo, v60, v27
	v_add_co_ci_u32_e64 v66, null, v61, v28, vcc_lo
	v_cndmask_b32_e64 v63, v65, v63, s0
	v_add_co_u32 v65, vcc_lo, v43, v46
	v_cndmask_b32_e64 v64, v66, v64, s0
	v_add_co_ci_u32_e64 v66, null, 0, v44, vcc_lo
	global_load_dwordx2 v[63:64], v[63:64], off
	v_lshlrev_b64 v[69:70], 2, v[65:66]
	v_lshlrev_b64 v[65:66], 3, v[65:66]
	v_add_co_u32 v69, vcc_lo, s30, v69
	v_add_co_ci_u32_e64 v70, null, s31, v70, vcc_lo
	v_add_co_u32 v65, vcc_lo, s26, v65
	v_add_co_ci_u32_e64 v66, null, s27, v66, vcc_lo
	global_store_dword v[69:70], v68, off
	s_waitcnt vmcnt(0)
	global_store_dwordx2 v[65:66], v[63:64], off
	s_or_b32 exec_lo, exec_lo, s91
	v_add_nc_u32_e32 v70, s90, v47
	s_and_saveexec_b32 s91, s36
	s_cbranch_execz .LBB181_23
.LBB181_93:                             ;   in Loop: Header=BB181_21 Depth=1
	v_add_co_u32 v63, vcc_lo, v45, v62
	v_add_co_ci_u32_e64 v64, null, 0, v71, vcc_lo
	v_add_co_u32 v63, vcc_lo, 0x100, v63
	v_add_co_ci_u32_e64 v64, null, 0, v64, vcc_lo
	;; [unrolled: 2-line block ×3, first 2 shown]
	v_cndmask_b32_e64 v63, v65, v63, s0
	v_add_co_u32 v65, vcc_lo, v43, v46
	v_cndmask_b32_e64 v64, v66, v64, s0
	v_add_co_ci_u32_e64 v66, null, 0, v44, vcc_lo
	global_load_dwordx2 v[63:64], v[63:64], off
	v_lshlrev_b64 v[72:73], 2, v[65:66]
	v_lshlrev_b64 v[65:66], 3, v[65:66]
	v_add_co_u32 v72, vcc_lo, s30, v72
	v_add_co_ci_u32_e64 v73, null, s31, v73, vcc_lo
	v_add_co_u32 v65, vcc_lo, s26, v65
	v_add_co_ci_u32_e64 v66, null, s27, v66, vcc_lo
	global_store_dword v[72:73], v70, off offset:128
	s_waitcnt vmcnt(0)
	global_store_dwordx2 v[65:66], v[63:64], off offset:256
	s_or_b32 exec_lo, exec_lo, s91
	v_add_nc_u32_e32 v69, s90, v48
	s_and_saveexec_b32 s91, s37
	s_cbranch_execz .LBB181_24
.LBB181_94:                             ;   in Loop: Header=BB181_21 Depth=1
	v_add_co_u32 v63, vcc_lo, v45, v62
	v_add_co_ci_u32_e64 v64, null, 0, v71, vcc_lo
	v_add_co_u32 v63, vcc_lo, 0x200, v63
	v_add_co_ci_u32_e64 v64, null, 0, v64, vcc_lo
	;; [unrolled: 2-line block ×3, first 2 shown]
	v_cndmask_b32_e64 v63, v65, v63, s0
	v_add_co_u32 v65, vcc_lo, v43, v46
	v_cndmask_b32_e64 v64, v66, v64, s0
	v_add_co_ci_u32_e64 v66, null, 0, v44, vcc_lo
	global_load_dwordx2 v[63:64], v[63:64], off
	v_lshlrev_b64 v[72:73], 2, v[65:66]
	v_lshlrev_b64 v[65:66], 3, v[65:66]
	v_add_co_u32 v72, vcc_lo, s30, v72
	v_add_co_ci_u32_e64 v73, null, s31, v73, vcc_lo
	v_add_co_u32 v65, vcc_lo, s26, v65
	v_add_co_ci_u32_e64 v66, null, s27, v66, vcc_lo
	global_store_dword v[72:73], v69, off offset:256
	s_waitcnt vmcnt(0)
	global_store_dwordx2 v[65:66], v[63:64], off offset:512
	s_or_b32 exec_lo, exec_lo, s91
	v_add_nc_u32_e32 v67, s90, v49
	s_and_saveexec_b32 s91, s38
	s_cbranch_execz .LBB181_25
.LBB181_95:                             ;   in Loop: Header=BB181_21 Depth=1
	v_add_co_u32 v63, vcc_lo, v45, v62
	v_add_co_ci_u32_e64 v64, null, 0, v71, vcc_lo
	v_add_co_u32 v63, vcc_lo, 0x300, v63
	v_add_co_ci_u32_e64 v64, null, 0, v64, vcc_lo
	;; [unrolled: 2-line block ×3, first 2 shown]
	v_cndmask_b32_e64 v63, v65, v63, s0
	v_add_co_u32 v65, vcc_lo, v43, v46
	v_cndmask_b32_e64 v64, v66, v64, s0
	v_add_co_ci_u32_e64 v66, null, 0, v44, vcc_lo
	global_load_dwordx2 v[63:64], v[63:64], off
	v_lshlrev_b64 v[72:73], 2, v[65:66]
	v_lshlrev_b64 v[65:66], 3, v[65:66]
	v_add_co_u32 v72, vcc_lo, s30, v72
	v_add_co_ci_u32_e64 v73, null, s31, v73, vcc_lo
	v_add_co_u32 v65, vcc_lo, s26, v65
	v_add_co_ci_u32_e64 v66, null, s27, v66, vcc_lo
	global_store_dword v[72:73], v67, off offset:384
	s_waitcnt vmcnt(0)
	global_store_dwordx2 v[65:66], v[63:64], off offset:768
	s_or_b32 exec_lo, exec_lo, s91
	v_add_nc_u32_e32 v66, s90, v50
	s_and_saveexec_b32 s91, s39
	s_cbranch_execz .LBB181_26
.LBB181_96:                             ;   in Loop: Header=BB181_21 Depth=1
	v_add_co_u32 v63, vcc_lo, v45, v62
	v_add_co_ci_u32_e64 v64, null, 0, v71, vcc_lo
	v_add_co_u32 v63, vcc_lo, 0x400, v63
	v_add_co_ci_u32_e64 v64, null, 0, v64, vcc_lo
	v_add_co_u32 v65, vcc_lo, v60, v35
	v_add_co_ci_u32_e64 v72, null, v61, v36, vcc_lo
	v_cndmask_b32_e64 v63, v65, v63, s0
	v_cndmask_b32_e64 v64, v72, v64, s0
	v_add_co_u32 v72, vcc_lo, v43, v46
	v_add_co_ci_u32_e64 v73, null, 0, v44, vcc_lo
	global_load_dwordx2 v[63:64], v[63:64], off
	v_lshlrev_b64 v[74:75], 2, v[72:73]
	v_lshlrev_b64 v[72:73], 3, v[72:73]
	v_add_co_u32 v74, vcc_lo, s30, v74
	v_add_co_ci_u32_e64 v75, null, s31, v75, vcc_lo
	v_add_co_u32 v72, vcc_lo, s26, v72
	v_add_co_ci_u32_e64 v73, null, s27, v73, vcc_lo
	global_store_dword v[74:75], v66, off offset:512
	s_waitcnt vmcnt(0)
	global_store_dwordx2 v[72:73], v[63:64], off offset:1024
	s_or_b32 exec_lo, exec_lo, s91
	v_add_nc_u32_e32 v64, s90, v51
	s_and_saveexec_b32 s91, s40
	s_cbranch_execz .LBB181_27
.LBB181_97:                             ;   in Loop: Header=BB181_21 Depth=1
	v_add_co_u32 v63, vcc_lo, v45, v62
	v_add_co_ci_u32_e64 v65, null, 0, v71, vcc_lo
	v_add_co_u32 v63, vcc_lo, 0x500, v63
	v_add_co_ci_u32_e64 v65, null, 0, v65, vcc_lo
	;; [unrolled: 2-line block ×3, first 2 shown]
	v_add_co_u32 v74, vcc_lo, v43, v46
	v_cndmask_b32_e64 v72, v72, v63, s0
	v_cndmask_b32_e64 v73, v73, v65, s0
	v_add_co_ci_u32_e64 v75, null, 0, v44, vcc_lo
	global_load_dwordx2 v[72:73], v[72:73], off
	v_lshlrev_b64 v[76:77], 2, v[74:75]
	v_lshlrev_b64 v[74:75], 3, v[74:75]
	v_add_co_u32 v76, vcc_lo, s30, v76
	v_add_co_ci_u32_e64 v77, null, s31, v77, vcc_lo
	v_add_co_u32 v74, vcc_lo, s26, v74
	v_add_co_ci_u32_e64 v75, null, s27, v75, vcc_lo
	global_store_dword v[76:77], v64, off offset:640
	s_waitcnt vmcnt(0)
	global_store_dwordx2 v[74:75], v[72:73], off offset:1280
	s_or_b32 exec_lo, exec_lo, s91
	v_add_nc_u32_e32 v63, s90, v52
	s_and_saveexec_b32 s91, s41
	s_cbranch_execz .LBB181_28
.LBB181_98:                             ;   in Loop: Header=BB181_21 Depth=1
	v_add_co_u32 v65, vcc_lo, v45, v62
	v_add_co_ci_u32_e64 v72, null, 0, v71, vcc_lo
	v_add_co_u32 v65, vcc_lo, 0x600, v65
	v_add_co_ci_u32_e64 v72, null, 0, v72, vcc_lo
	;; [unrolled: 2-line block ×3, first 2 shown]
	v_cndmask_b32_e64 v73, v73, v72, s0
	v_cndmask_b32_e64 v72, v74, v65, s0
	v_add_co_u32 v74, vcc_lo, v43, v46
	v_add_co_ci_u32_e64 v75, null, 0, v44, vcc_lo
	global_load_dwordx2 v[72:73], v[72:73], off
	v_lshlrev_b64 v[76:77], 2, v[74:75]
	v_lshlrev_b64 v[74:75], 3, v[74:75]
	v_add_co_u32 v76, vcc_lo, s30, v76
	v_add_co_ci_u32_e64 v77, null, s31, v77, vcc_lo
	v_add_co_u32 v74, vcc_lo, s26, v74
	v_add_co_ci_u32_e64 v75, null, s27, v75, vcc_lo
	global_store_dword v[76:77], v63, off offset:768
	s_waitcnt vmcnt(0)
	global_store_dwordx2 v[74:75], v[72:73], off offset:1536
	s_or_b32 exec_lo, exec_lo, s91
	v_add_nc_u32_e32 v65, s90, v53
	s_and_saveexec_b32 s90, s42
	s_cbranch_execnz .LBB181_29
	s_branch .LBB181_30
.LBB181_99:                             ;   in Loop: Header=BB181_21 Depth=1
	v_add_co_u32 v72, vcc_lo, v60, v27
	v_add_co_ci_u32_e64 v73, null, v61, v28, vcc_lo
	v_add_co_u32 v74, vcc_lo, v45, v62
	v_add_co_ci_u32_e64 v75, null, 0, v71, vcc_lo
	;; [unrolled: 2-line block ×3, first 2 shown]
	v_cndmask_b32_e64 v72, v72, v74, s0
	v_add_co_u32 v74, vcc_lo, v43, v46
	v_cndmask_b32_e64 v73, v73, v75, s0
	v_add_co_ci_u32_e64 v75, null, 0, v44, vcc_lo
	global_load_dwordx2 v[72:73], v[72:73], off
	v_lshlrev_b64 v[76:77], 2, v[74:75]
	v_lshlrev_b64 v[74:75], 3, v[74:75]
	v_add_co_u32 v76, vcc_lo, s30, v76
	v_add_co_ci_u32_e64 v77, null, s31, v77, vcc_lo
	v_add_co_u32 v74, vcc_lo, s26, v74
	v_add_co_ci_u32_e64 v75, null, s27, v75, vcc_lo
	global_store_dword v[76:77], v68, off
	s_waitcnt vmcnt(0)
	global_store_dwordx2 v[74:75], v[72:73], off
	s_or_b32 exec_lo, exec_lo, s90
	s_and_saveexec_b32 s90, s44
	s_cbranch_execz .LBB181_32
.LBB181_100:                            ;   in Loop: Header=BB181_21 Depth=1
	v_add_co_u32 v72, vcc_lo, v45, v62
	v_add_co_ci_u32_e64 v73, null, 0, v71, vcc_lo
	v_add_co_u32 v74, vcc_lo, v60, v29
	v_add_co_ci_u32_e64 v75, null, v61, v30, vcc_lo
	v_cndmask_b32_e64 v72, v74, v72, s0
	v_add_co_u32 v74, vcc_lo, v43, v46
	v_cndmask_b32_e64 v73, v75, v73, s0
	v_add_co_ci_u32_e64 v75, null, 0, v44, vcc_lo
	global_load_dwordx2 v[72:73], v[72:73], off offset:256
	v_lshlrev_b64 v[76:77], 2, v[74:75]
	v_lshlrev_b64 v[74:75], 3, v[74:75]
	v_add_co_u32 v76, vcc_lo, s30, v76
	v_add_co_ci_u32_e64 v77, null, s31, v77, vcc_lo
	v_add_co_u32 v74, vcc_lo, s26, v74
	v_add_co_ci_u32_e64 v75, null, s27, v75, vcc_lo
	global_store_dword v[76:77], v70, off offset:128
	s_waitcnt vmcnt(0)
	global_store_dwordx2 v[74:75], v[72:73], off offset:256
	s_or_b32 exec_lo, exec_lo, s90
	s_and_saveexec_b32 s90, s45
	s_cbranch_execz .LBB181_33
.LBB181_101:                            ;   in Loop: Header=BB181_21 Depth=1
	v_add_co_u32 v72, vcc_lo, v45, v62
	v_add_co_ci_u32_e64 v73, null, 0, v71, vcc_lo
	v_add_co_u32 v74, vcc_lo, v60, v31
	v_add_co_ci_u32_e64 v75, null, v61, v32, vcc_lo
	;; [unrolled: 2-line block ×4, first 2 shown]
	v_cndmask_b32_e64 v72, v74, v72, s0
	v_add_co_u32 v74, vcc_lo, v43, v46
	v_cndmask_b32_e64 v73, v75, v73, s0
	v_add_co_ci_u32_e64 v75, null, 0, v44, vcc_lo
	global_load_dwordx2 v[72:73], v[72:73], off
	v_lshlrev_b64 v[76:77], 2, v[74:75]
	v_lshlrev_b64 v[74:75], 3, v[74:75]
	v_add_co_u32 v76, vcc_lo, s30, v76
	v_add_co_ci_u32_e64 v77, null, s31, v77, vcc_lo
	v_add_co_u32 v74, vcc_lo, s26, v74
	v_add_co_ci_u32_e64 v75, null, s27, v75, vcc_lo
	global_store_dword v[76:77], v69, off offset:256
	s_waitcnt vmcnt(0)
	global_store_dwordx2 v[74:75], v[72:73], off offset:512
	s_or_b32 exec_lo, exec_lo, s90
	s_and_saveexec_b32 s90, s46
	s_cbranch_execz .LBB181_34
.LBB181_102:                            ;   in Loop: Header=BB181_21 Depth=1
	v_add_co_u32 v72, vcc_lo, v45, v62
	v_add_co_ci_u32_e64 v73, null, 0, v71, vcc_lo
	v_add_co_u32 v74, vcc_lo, v60, v33
	v_add_co_ci_u32_e64 v75, null, v61, v34, vcc_lo
	;; [unrolled: 2-line block ×4, first 2 shown]
	v_cndmask_b32_e64 v72, v74, v72, s0
	v_add_co_u32 v74, vcc_lo, v43, v46
	v_cndmask_b32_e64 v73, v75, v73, s0
	v_add_co_ci_u32_e64 v75, null, 0, v44, vcc_lo
	global_load_dwordx2 v[72:73], v[72:73], off
	v_lshlrev_b64 v[76:77], 2, v[74:75]
	v_lshlrev_b64 v[74:75], 3, v[74:75]
	v_add_co_u32 v76, vcc_lo, s30, v76
	v_add_co_ci_u32_e64 v77, null, s31, v77, vcc_lo
	v_add_co_u32 v74, vcc_lo, s26, v74
	v_add_co_ci_u32_e64 v75, null, s27, v75, vcc_lo
	global_store_dword v[76:77], v67, off offset:384
	s_waitcnt vmcnt(0)
	global_store_dwordx2 v[74:75], v[72:73], off offset:768
	s_or_b32 exec_lo, exec_lo, s90
	s_and_saveexec_b32 s90, s47
	s_cbranch_execz .LBB181_35
.LBB181_103:                            ;   in Loop: Header=BB181_21 Depth=1
	v_add_co_u32 v72, vcc_lo, v45, v62
	v_add_co_ci_u32_e64 v73, null, 0, v71, vcc_lo
	v_add_co_u32 v74, vcc_lo, v60, v35
	v_add_co_ci_u32_e64 v75, null, v61, v36, vcc_lo
	;; [unrolled: 2-line block ×4, first 2 shown]
	v_cndmask_b32_e64 v72, v74, v72, s0
	v_add_co_u32 v74, vcc_lo, v43, v46
	v_cndmask_b32_e64 v73, v75, v73, s0
	v_add_co_ci_u32_e64 v75, null, 0, v44, vcc_lo
	global_load_dwordx2 v[72:73], v[72:73], off
	v_lshlrev_b64 v[76:77], 2, v[74:75]
	v_lshlrev_b64 v[74:75], 3, v[74:75]
	v_add_co_u32 v76, vcc_lo, s30, v76
	v_add_co_ci_u32_e64 v77, null, s31, v77, vcc_lo
	v_add_co_u32 v74, vcc_lo, s26, v74
	v_add_co_ci_u32_e64 v75, null, s27, v75, vcc_lo
	global_store_dword v[76:77], v66, off offset:512
	s_waitcnt vmcnt(0)
	global_store_dwordx2 v[74:75], v[72:73], off offset:1024
	s_or_b32 exec_lo, exec_lo, s90
	s_and_saveexec_b32 s90, s48
	s_cbranch_execz .LBB181_36
.LBB181_104:                            ;   in Loop: Header=BB181_21 Depth=1
	v_add_co_u32 v72, vcc_lo, v45, v62
	v_add_co_ci_u32_e64 v73, null, 0, v71, vcc_lo
	v_add_co_u32 v74, vcc_lo, v60, v37
	v_add_co_ci_u32_e64 v75, null, v61, v38, vcc_lo
	;; [unrolled: 2-line block ×4, first 2 shown]
	v_cndmask_b32_e64 v72, v74, v72, s0
	v_add_co_u32 v74, vcc_lo, v43, v46
	v_cndmask_b32_e64 v73, v75, v73, s0
	v_add_co_ci_u32_e64 v75, null, 0, v44, vcc_lo
	global_load_dwordx2 v[72:73], v[72:73], off
	v_lshlrev_b64 v[76:77], 2, v[74:75]
	v_lshlrev_b64 v[74:75], 3, v[74:75]
	v_add_co_u32 v76, vcc_lo, s30, v76
	v_add_co_ci_u32_e64 v77, null, s31, v77, vcc_lo
	v_add_co_u32 v74, vcc_lo, s26, v74
	v_add_co_ci_u32_e64 v75, null, s27, v75, vcc_lo
	global_store_dword v[76:77], v64, off offset:640
	s_waitcnt vmcnt(0)
	global_store_dwordx2 v[74:75], v[72:73], off offset:1280
	s_or_b32 exec_lo, exec_lo, s90
	s_and_saveexec_b32 s90, s49
	s_cbranch_execz .LBB181_37
.LBB181_105:                            ;   in Loop: Header=BB181_21 Depth=1
	v_add_co_u32 v72, vcc_lo, v45, v62
	v_add_co_ci_u32_e64 v73, null, 0, v71, vcc_lo
	v_add_co_u32 v74, vcc_lo, v60, v39
	v_add_co_ci_u32_e64 v75, null, v61, v40, vcc_lo
	;; [unrolled: 2-line block ×4, first 2 shown]
	v_cndmask_b32_e64 v72, v74, v72, s0
	v_add_co_u32 v74, vcc_lo, v43, v46
	v_cndmask_b32_e64 v73, v75, v73, s0
	v_add_co_ci_u32_e64 v75, null, 0, v44, vcc_lo
	global_load_dwordx2 v[72:73], v[72:73], off
	v_lshlrev_b64 v[76:77], 2, v[74:75]
	v_lshlrev_b64 v[74:75], 3, v[74:75]
	v_add_co_u32 v76, vcc_lo, s30, v76
	v_add_co_ci_u32_e64 v77, null, s31, v77, vcc_lo
	v_add_co_u32 v74, vcc_lo, s26, v74
	v_add_co_ci_u32_e64 v75, null, s27, v75, vcc_lo
	global_store_dword v[76:77], v63, off offset:768
	s_waitcnt vmcnt(0)
	global_store_dwordx2 v[74:75], v[72:73], off offset:1536
	s_or_b32 exec_lo, exec_lo, s90
	s_and_saveexec_b32 s90, s8
	s_cbranch_execnz .LBB181_38
	s_branch .LBB181_39
.LBB181_106:                            ;   in Loop: Header=BB181_21 Depth=1
	v_add_co_u32 v72, vcc_lo, v60, v27
	v_add_co_ci_u32_e64 v73, null, v61, v28, vcc_lo
	v_add_co_u32 v74, vcc_lo, v45, v62
	v_add_co_ci_u32_e64 v75, null, 0, v71, vcc_lo
	;; [unrolled: 2-line block ×3, first 2 shown]
	v_cndmask_b32_e64 v72, v72, v74, s0
	v_add_co_u32 v74, vcc_lo, v43, v46
	v_cndmask_b32_e64 v73, v73, v75, s0
	v_add_co_ci_u32_e64 v75, null, 0, v44, vcc_lo
	global_load_dwordx2 v[72:73], v[72:73], off
	v_lshlrev_b64 v[76:77], 2, v[74:75]
	v_lshlrev_b64 v[74:75], 3, v[74:75]
	v_add_co_u32 v76, vcc_lo, s30, v76
	v_add_co_ci_u32_e64 v77, null, s31, v77, vcc_lo
	v_add_co_u32 v74, vcc_lo, s26, v74
	v_add_co_ci_u32_e64 v75, null, s27, v75, vcc_lo
	global_store_dword v[76:77], v68, off
	s_waitcnt vmcnt(0)
	global_store_dwordx2 v[74:75], v[72:73], off
	s_or_b32 exec_lo, exec_lo, s90
	s_and_saveexec_b32 s90, s51
	s_cbranch_execz .LBB181_41
.LBB181_107:                            ;   in Loop: Header=BB181_21 Depth=1
	v_add_co_u32 v72, vcc_lo, v45, v62
	v_add_co_ci_u32_e64 v73, null, 0, v71, vcc_lo
	v_add_co_u32 v74, vcc_lo, v60, v29
	v_add_co_ci_u32_e64 v75, null, v61, v30, vcc_lo
	;; [unrolled: 2-line block ×4, first 2 shown]
	v_cndmask_b32_e64 v72, v74, v72, s0
	v_add_co_u32 v74, vcc_lo, v43, v46
	v_cndmask_b32_e64 v73, v75, v73, s0
	v_add_co_ci_u32_e64 v75, null, 0, v44, vcc_lo
	global_load_dwordx2 v[72:73], v[72:73], off
	v_lshlrev_b64 v[76:77], 2, v[74:75]
	v_lshlrev_b64 v[74:75], 3, v[74:75]
	v_add_co_u32 v76, vcc_lo, s30, v76
	v_add_co_ci_u32_e64 v77, null, s31, v77, vcc_lo
	v_add_co_u32 v74, vcc_lo, s26, v74
	v_add_co_ci_u32_e64 v75, null, s27, v75, vcc_lo
	global_store_dword v[76:77], v70, off offset:128
	s_waitcnt vmcnt(0)
	global_store_dwordx2 v[74:75], v[72:73], off offset:256
	s_or_b32 exec_lo, exec_lo, s90
	s_and_saveexec_b32 s90, s52
	s_cbranch_execz .LBB181_42
.LBB181_108:                            ;   in Loop: Header=BB181_21 Depth=1
	v_add_co_u32 v72, vcc_lo, v45, v62
	v_add_co_ci_u32_e64 v73, null, 0, v71, vcc_lo
	v_add_co_u32 v74, vcc_lo, v60, v31
	v_add_co_ci_u32_e64 v75, null, v61, v32, vcc_lo
	v_cndmask_b32_e64 v72, v74, v72, s0
	v_add_co_u32 v74, vcc_lo, v43, v46
	v_cndmask_b32_e64 v73, v75, v73, s0
	v_add_co_ci_u32_e64 v75, null, 0, v44, vcc_lo
	global_load_dwordx2 v[72:73], v[72:73], off offset:512
	v_lshlrev_b64 v[76:77], 2, v[74:75]
	v_lshlrev_b64 v[74:75], 3, v[74:75]
	v_add_co_u32 v76, vcc_lo, s30, v76
	v_add_co_ci_u32_e64 v77, null, s31, v77, vcc_lo
	v_add_co_u32 v74, vcc_lo, s26, v74
	v_add_co_ci_u32_e64 v75, null, s27, v75, vcc_lo
	global_store_dword v[76:77], v69, off offset:256
	s_waitcnt vmcnt(0)
	global_store_dwordx2 v[74:75], v[72:73], off offset:512
	s_or_b32 exec_lo, exec_lo, s90
	s_and_saveexec_b32 s90, s53
	s_cbranch_execz .LBB181_43
.LBB181_109:                            ;   in Loop: Header=BB181_21 Depth=1
	v_add_co_u32 v72, vcc_lo, v45, v62
	v_add_co_ci_u32_e64 v73, null, 0, v71, vcc_lo
	v_add_co_u32 v74, vcc_lo, v60, v33
	v_add_co_ci_u32_e64 v75, null, v61, v34, vcc_lo
	;; [unrolled: 2-line block ×4, first 2 shown]
	v_cndmask_b32_e64 v72, v74, v72, s0
	v_add_co_u32 v74, vcc_lo, v43, v46
	v_cndmask_b32_e64 v73, v75, v73, s0
	v_add_co_ci_u32_e64 v75, null, 0, v44, vcc_lo
	global_load_dwordx2 v[72:73], v[72:73], off
	v_lshlrev_b64 v[76:77], 2, v[74:75]
	v_lshlrev_b64 v[74:75], 3, v[74:75]
	v_add_co_u32 v76, vcc_lo, s30, v76
	v_add_co_ci_u32_e64 v77, null, s31, v77, vcc_lo
	v_add_co_u32 v74, vcc_lo, s26, v74
	v_add_co_ci_u32_e64 v75, null, s27, v75, vcc_lo
	global_store_dword v[76:77], v67, off offset:384
	s_waitcnt vmcnt(0)
	global_store_dwordx2 v[74:75], v[72:73], off offset:768
	s_or_b32 exec_lo, exec_lo, s90
	s_and_saveexec_b32 s90, s54
	s_cbranch_execz .LBB181_44
.LBB181_110:                            ;   in Loop: Header=BB181_21 Depth=1
	v_add_co_u32 v72, vcc_lo, v45, v62
	v_add_co_ci_u32_e64 v73, null, 0, v71, vcc_lo
	v_add_co_u32 v74, vcc_lo, v60, v35
	v_add_co_ci_u32_e64 v75, null, v61, v36, vcc_lo
	;; [unrolled: 2-line block ×4, first 2 shown]
	v_cndmask_b32_e64 v72, v74, v72, s0
	v_add_co_u32 v74, vcc_lo, v43, v46
	v_cndmask_b32_e64 v73, v75, v73, s0
	v_add_co_ci_u32_e64 v75, null, 0, v44, vcc_lo
	global_load_dwordx2 v[72:73], v[72:73], off
	v_lshlrev_b64 v[76:77], 2, v[74:75]
	v_lshlrev_b64 v[74:75], 3, v[74:75]
	v_add_co_u32 v76, vcc_lo, s30, v76
	v_add_co_ci_u32_e64 v77, null, s31, v77, vcc_lo
	v_add_co_u32 v74, vcc_lo, s26, v74
	v_add_co_ci_u32_e64 v75, null, s27, v75, vcc_lo
	global_store_dword v[76:77], v66, off offset:512
	s_waitcnt vmcnt(0)
	global_store_dwordx2 v[74:75], v[72:73], off offset:1024
	s_or_b32 exec_lo, exec_lo, s90
	s_and_saveexec_b32 s90, s55
	s_cbranch_execz .LBB181_45
.LBB181_111:                            ;   in Loop: Header=BB181_21 Depth=1
	v_add_co_u32 v72, vcc_lo, v45, v62
	v_add_co_ci_u32_e64 v73, null, 0, v71, vcc_lo
	v_add_co_u32 v74, vcc_lo, v60, v37
	v_add_co_ci_u32_e64 v75, null, v61, v38, vcc_lo
	;; [unrolled: 2-line block ×4, first 2 shown]
	v_cndmask_b32_e64 v72, v74, v72, s0
	v_add_co_u32 v74, vcc_lo, v43, v46
	v_cndmask_b32_e64 v73, v75, v73, s0
	v_add_co_ci_u32_e64 v75, null, 0, v44, vcc_lo
	global_load_dwordx2 v[72:73], v[72:73], off
	v_lshlrev_b64 v[76:77], 2, v[74:75]
	v_lshlrev_b64 v[74:75], 3, v[74:75]
	v_add_co_u32 v76, vcc_lo, s30, v76
	v_add_co_ci_u32_e64 v77, null, s31, v77, vcc_lo
	v_add_co_u32 v74, vcc_lo, s26, v74
	v_add_co_ci_u32_e64 v75, null, s27, v75, vcc_lo
	global_store_dword v[76:77], v64, off offset:640
	s_waitcnt vmcnt(0)
	global_store_dwordx2 v[74:75], v[72:73], off offset:1280
	s_or_b32 exec_lo, exec_lo, s90
	s_and_saveexec_b32 s90, s56
	s_cbranch_execz .LBB181_46
.LBB181_112:                            ;   in Loop: Header=BB181_21 Depth=1
	v_add_co_u32 v72, vcc_lo, v45, v62
	v_add_co_ci_u32_e64 v73, null, 0, v71, vcc_lo
	v_add_co_u32 v74, vcc_lo, v60, v39
	v_add_co_ci_u32_e64 v75, null, v61, v40, vcc_lo
	v_add_co_u32 v72, vcc_lo, 0x600, v72
	v_add_co_ci_u32_e64 v73, null, 0, v73, vcc_lo
	v_add_co_u32 v74, vcc_lo, 0x200, v74
	v_add_co_ci_u32_e64 v75, null, 0, v75, vcc_lo
	v_cndmask_b32_e64 v72, v74, v72, s0
	v_add_co_u32 v74, vcc_lo, v43, v46
	v_cndmask_b32_e64 v73, v75, v73, s0
	v_add_co_ci_u32_e64 v75, null, 0, v44, vcc_lo
	global_load_dwordx2 v[72:73], v[72:73], off
	v_lshlrev_b64 v[76:77], 2, v[74:75]
	v_lshlrev_b64 v[74:75], 3, v[74:75]
	v_add_co_u32 v76, vcc_lo, s30, v76
	v_add_co_ci_u32_e64 v77, null, s31, v77, vcc_lo
	v_add_co_u32 v74, vcc_lo, s26, v74
	v_add_co_ci_u32_e64 v75, null, s27, v75, vcc_lo
	global_store_dword v[76:77], v63, off offset:768
	s_waitcnt vmcnt(0)
	global_store_dwordx2 v[74:75], v[72:73], off offset:1536
	s_or_b32 exec_lo, exec_lo, s90
	s_and_saveexec_b32 s90, s6
	s_cbranch_execnz .LBB181_47
	s_branch .LBB181_48
.LBB181_113:                            ;   in Loop: Header=BB181_21 Depth=1
	v_add_co_u32 v72, vcc_lo, v60, v27
	v_add_co_ci_u32_e64 v73, null, v61, v28, vcc_lo
	v_add_co_u32 v74, vcc_lo, v45, v62
	v_add_co_ci_u32_e64 v75, null, 0, v71, vcc_lo
	v_add_co_u32 v72, vcc_lo, 0x300, v72
	v_add_co_ci_u32_e64 v73, null, 0, v73, vcc_lo
	v_cndmask_b32_e64 v72, v72, v74, s0
	v_add_co_u32 v74, vcc_lo, v43, v46
	v_cndmask_b32_e64 v73, v73, v75, s0
	v_add_co_ci_u32_e64 v75, null, 0, v44, vcc_lo
	global_load_dwordx2 v[72:73], v[72:73], off
	v_lshlrev_b64 v[76:77], 2, v[74:75]
	v_lshlrev_b64 v[74:75], 3, v[74:75]
	v_add_co_u32 v76, vcc_lo, s30, v76
	v_add_co_ci_u32_e64 v77, null, s31, v77, vcc_lo
	v_add_co_u32 v74, vcc_lo, s26, v74
	v_add_co_ci_u32_e64 v75, null, s27, v75, vcc_lo
	global_store_dword v[76:77], v68, off
	s_waitcnt vmcnt(0)
	global_store_dwordx2 v[74:75], v[72:73], off
	s_or_b32 exec_lo, exec_lo, s90
	s_and_saveexec_b32 s90, s58
	s_cbranch_execz .LBB181_50
.LBB181_114:                            ;   in Loop: Header=BB181_21 Depth=1
	v_add_co_u32 v72, vcc_lo, v45, v62
	v_add_co_ci_u32_e64 v73, null, 0, v71, vcc_lo
	v_add_co_u32 v74, vcc_lo, v60, v29
	v_add_co_ci_u32_e64 v75, null, v61, v30, vcc_lo
	;; [unrolled: 2-line block ×4, first 2 shown]
	v_cndmask_b32_e64 v72, v74, v72, s0
	v_add_co_u32 v74, vcc_lo, v43, v46
	v_cndmask_b32_e64 v73, v75, v73, s0
	v_add_co_ci_u32_e64 v75, null, 0, v44, vcc_lo
	global_load_dwordx2 v[72:73], v[72:73], off
	v_lshlrev_b64 v[76:77], 2, v[74:75]
	v_lshlrev_b64 v[74:75], 3, v[74:75]
	v_add_co_u32 v76, vcc_lo, s30, v76
	v_add_co_ci_u32_e64 v77, null, s31, v77, vcc_lo
	v_add_co_u32 v74, vcc_lo, s26, v74
	v_add_co_ci_u32_e64 v75, null, s27, v75, vcc_lo
	global_store_dword v[76:77], v70, off offset:128
	s_waitcnt vmcnt(0)
	global_store_dwordx2 v[74:75], v[72:73], off offset:256
	s_or_b32 exec_lo, exec_lo, s90
	s_and_saveexec_b32 s90, s59
	s_cbranch_execz .LBB181_51
.LBB181_115:                            ;   in Loop: Header=BB181_21 Depth=1
	v_add_co_u32 v72, vcc_lo, v45, v62
	v_add_co_ci_u32_e64 v73, null, 0, v71, vcc_lo
	v_add_co_u32 v74, vcc_lo, v60, v31
	v_add_co_ci_u32_e64 v75, null, v61, v32, vcc_lo
	;; [unrolled: 2-line block ×4, first 2 shown]
	v_cndmask_b32_e64 v72, v74, v72, s0
	v_add_co_u32 v74, vcc_lo, v43, v46
	v_cndmask_b32_e64 v73, v75, v73, s0
	v_add_co_ci_u32_e64 v75, null, 0, v44, vcc_lo
	global_load_dwordx2 v[72:73], v[72:73], off
	v_lshlrev_b64 v[76:77], 2, v[74:75]
	v_lshlrev_b64 v[74:75], 3, v[74:75]
	v_add_co_u32 v76, vcc_lo, s30, v76
	v_add_co_ci_u32_e64 v77, null, s31, v77, vcc_lo
	v_add_co_u32 v74, vcc_lo, s26, v74
	v_add_co_ci_u32_e64 v75, null, s27, v75, vcc_lo
	global_store_dword v[76:77], v69, off offset:256
	s_waitcnt vmcnt(0)
	global_store_dwordx2 v[74:75], v[72:73], off offset:512
	s_or_b32 exec_lo, exec_lo, s90
	s_and_saveexec_b32 s90, s60
	s_cbranch_execz .LBB181_52
.LBB181_116:                            ;   in Loop: Header=BB181_21 Depth=1
	v_add_co_u32 v72, vcc_lo, v45, v62
	v_add_co_ci_u32_e64 v73, null, 0, v71, vcc_lo
	v_add_co_u32 v74, vcc_lo, v60, v33
	v_add_co_ci_u32_e64 v75, null, v61, v34, vcc_lo
	v_cndmask_b32_e64 v72, v74, v72, s0
	v_add_co_u32 v74, vcc_lo, v43, v46
	v_cndmask_b32_e64 v73, v75, v73, s0
	v_add_co_ci_u32_e64 v75, null, 0, v44, vcc_lo
	global_load_dwordx2 v[72:73], v[72:73], off offset:768
	v_lshlrev_b64 v[76:77], 2, v[74:75]
	v_lshlrev_b64 v[74:75], 3, v[74:75]
	v_add_co_u32 v76, vcc_lo, s30, v76
	v_add_co_ci_u32_e64 v77, null, s31, v77, vcc_lo
	v_add_co_u32 v74, vcc_lo, s26, v74
	v_add_co_ci_u32_e64 v75, null, s27, v75, vcc_lo
	global_store_dword v[76:77], v67, off offset:384
	s_waitcnt vmcnt(0)
	global_store_dwordx2 v[74:75], v[72:73], off offset:768
	s_or_b32 exec_lo, exec_lo, s90
	s_and_saveexec_b32 s90, s61
	s_cbranch_execz .LBB181_53
.LBB181_117:                            ;   in Loop: Header=BB181_21 Depth=1
	v_add_co_u32 v72, vcc_lo, v45, v62
	v_add_co_ci_u32_e64 v73, null, 0, v71, vcc_lo
	v_add_co_u32 v74, vcc_lo, v60, v35
	v_add_co_ci_u32_e64 v75, null, v61, v36, vcc_lo
	;; [unrolled: 2-line block ×4, first 2 shown]
	v_cndmask_b32_e64 v72, v74, v72, s0
	v_add_co_u32 v74, vcc_lo, v43, v46
	v_cndmask_b32_e64 v73, v75, v73, s0
	v_add_co_ci_u32_e64 v75, null, 0, v44, vcc_lo
	global_load_dwordx2 v[72:73], v[72:73], off
	v_lshlrev_b64 v[76:77], 2, v[74:75]
	v_lshlrev_b64 v[74:75], 3, v[74:75]
	v_add_co_u32 v76, vcc_lo, s30, v76
	v_add_co_ci_u32_e64 v77, null, s31, v77, vcc_lo
	v_add_co_u32 v74, vcc_lo, s26, v74
	v_add_co_ci_u32_e64 v75, null, s27, v75, vcc_lo
	global_store_dword v[76:77], v66, off offset:512
	s_waitcnt vmcnt(0)
	global_store_dwordx2 v[74:75], v[72:73], off offset:1024
	s_or_b32 exec_lo, exec_lo, s90
	s_and_saveexec_b32 s90, s62
	s_cbranch_execz .LBB181_54
.LBB181_118:                            ;   in Loop: Header=BB181_21 Depth=1
	v_add_co_u32 v72, vcc_lo, v45, v62
	v_add_co_ci_u32_e64 v73, null, 0, v71, vcc_lo
	v_add_co_u32 v74, vcc_lo, v60, v37
	v_add_co_ci_u32_e64 v75, null, v61, v38, vcc_lo
	;; [unrolled: 2-line block ×4, first 2 shown]
	v_cndmask_b32_e64 v72, v74, v72, s0
	v_add_co_u32 v74, vcc_lo, v43, v46
	v_cndmask_b32_e64 v73, v75, v73, s0
	v_add_co_ci_u32_e64 v75, null, 0, v44, vcc_lo
	global_load_dwordx2 v[72:73], v[72:73], off
	v_lshlrev_b64 v[76:77], 2, v[74:75]
	v_lshlrev_b64 v[74:75], 3, v[74:75]
	v_add_co_u32 v76, vcc_lo, s30, v76
	v_add_co_ci_u32_e64 v77, null, s31, v77, vcc_lo
	v_add_co_u32 v74, vcc_lo, s26, v74
	v_add_co_ci_u32_e64 v75, null, s27, v75, vcc_lo
	global_store_dword v[76:77], v64, off offset:640
	s_waitcnt vmcnt(0)
	global_store_dwordx2 v[74:75], v[72:73], off offset:1280
	s_or_b32 exec_lo, exec_lo, s90
	s_and_saveexec_b32 s90, s63
	s_cbranch_execz .LBB181_55
.LBB181_119:                            ;   in Loop: Header=BB181_21 Depth=1
	v_add_co_u32 v72, vcc_lo, v45, v62
	v_add_co_ci_u32_e64 v73, null, 0, v71, vcc_lo
	v_add_co_u32 v74, vcc_lo, v60, v39
	v_add_co_ci_u32_e64 v75, null, v61, v40, vcc_lo
	v_add_co_u32 v72, vcc_lo, 0x600, v72
	v_add_co_ci_u32_e64 v73, null, 0, v73, vcc_lo
	v_add_co_u32 v74, vcc_lo, 0x300, v74
	v_add_co_ci_u32_e64 v75, null, 0, v75, vcc_lo
	v_cndmask_b32_e64 v72, v74, v72, s0
	v_add_co_u32 v74, vcc_lo, v43, v46
	v_cndmask_b32_e64 v73, v75, v73, s0
	v_add_co_ci_u32_e64 v75, null, 0, v44, vcc_lo
	global_load_dwordx2 v[72:73], v[72:73], off
	v_lshlrev_b64 v[76:77], 2, v[74:75]
	v_lshlrev_b64 v[74:75], 3, v[74:75]
	v_add_co_u32 v76, vcc_lo, s30, v76
	v_add_co_ci_u32_e64 v77, null, s31, v77, vcc_lo
	v_add_co_u32 v74, vcc_lo, s26, v74
	v_add_co_ci_u32_e64 v75, null, s27, v75, vcc_lo
	global_store_dword v[76:77], v63, off offset:768
	s_waitcnt vmcnt(0)
	global_store_dwordx2 v[74:75], v[72:73], off offset:1536
	s_or_b32 exec_lo, exec_lo, s90
	s_and_saveexec_b32 s90, s1
	s_cbranch_execnz .LBB181_56
	s_branch .LBB181_57
.LBB181_120:                            ;   in Loop: Header=BB181_21 Depth=1
	v_add_co_u32 v72, vcc_lo, v60, v27
	v_add_co_ci_u32_e64 v73, null, v61, v28, vcc_lo
	v_add_co_u32 v74, vcc_lo, v45, v62
	v_add_co_ci_u32_e64 v75, null, 0, v71, vcc_lo
	;; [unrolled: 2-line block ×3, first 2 shown]
	v_cndmask_b32_e64 v72, v72, v74, s0
	v_add_co_u32 v74, vcc_lo, v43, v46
	v_cndmask_b32_e64 v73, v73, v75, s0
	v_add_co_ci_u32_e64 v75, null, 0, v44, vcc_lo
	global_load_dwordx2 v[72:73], v[72:73], off
	v_lshlrev_b64 v[76:77], 2, v[74:75]
	v_lshlrev_b64 v[74:75], 3, v[74:75]
	v_add_co_u32 v76, vcc_lo, s30, v76
	v_add_co_ci_u32_e64 v77, null, s31, v77, vcc_lo
	v_add_co_u32 v74, vcc_lo, s26, v74
	v_add_co_ci_u32_e64 v75, null, s27, v75, vcc_lo
	global_store_dword v[76:77], v68, off
	s_waitcnt vmcnt(0)
	global_store_dwordx2 v[74:75], v[72:73], off
	s_or_b32 exec_lo, exec_lo, s90
	s_and_saveexec_b32 s90, s65
	s_cbranch_execz .LBB181_59
.LBB181_121:                            ;   in Loop: Header=BB181_21 Depth=1
	v_add_co_u32 v72, vcc_lo, v45, v62
	v_add_co_ci_u32_e64 v73, null, 0, v71, vcc_lo
	v_add_co_u32 v74, vcc_lo, v60, v29
	v_add_co_ci_u32_e64 v75, null, v61, v30, vcc_lo
	v_add_co_u32 v72, vcc_lo, 0x100, v72
	v_add_co_ci_u32_e64 v73, null, 0, v73, vcc_lo
	v_add_co_u32 v74, vcc_lo, 0x400, v74
	v_add_co_ci_u32_e64 v75, null, 0, v75, vcc_lo
	v_cndmask_b32_e64 v72, v74, v72, s0
	v_add_co_u32 v74, vcc_lo, v43, v46
	v_cndmask_b32_e64 v73, v75, v73, s0
	v_add_co_ci_u32_e64 v75, null, 0, v44, vcc_lo
	global_load_dwordx2 v[72:73], v[72:73], off
	v_lshlrev_b64 v[76:77], 2, v[74:75]
	v_lshlrev_b64 v[74:75], 3, v[74:75]
	v_add_co_u32 v76, vcc_lo, s30, v76
	v_add_co_ci_u32_e64 v77, null, s31, v77, vcc_lo
	v_add_co_u32 v74, vcc_lo, s26, v74
	v_add_co_ci_u32_e64 v75, null, s27, v75, vcc_lo
	global_store_dword v[76:77], v70, off offset:128
	s_waitcnt vmcnt(0)
	global_store_dwordx2 v[74:75], v[72:73], off offset:256
	s_or_b32 exec_lo, exec_lo, s90
	s_and_saveexec_b32 s90, s66
	s_cbranch_execz .LBB181_60
.LBB181_122:                            ;   in Loop: Header=BB181_21 Depth=1
	v_add_co_u32 v72, vcc_lo, v45, v62
	v_add_co_ci_u32_e64 v73, null, 0, v71, vcc_lo
	v_add_co_u32 v74, vcc_lo, v60, v31
	v_add_co_ci_u32_e64 v75, null, v61, v32, vcc_lo
	;; [unrolled: 2-line block ×4, first 2 shown]
	v_cndmask_b32_e64 v72, v74, v72, s0
	v_add_co_u32 v74, vcc_lo, v43, v46
	v_cndmask_b32_e64 v73, v75, v73, s0
	v_add_co_ci_u32_e64 v75, null, 0, v44, vcc_lo
	global_load_dwordx2 v[72:73], v[72:73], off
	v_lshlrev_b64 v[76:77], 2, v[74:75]
	v_lshlrev_b64 v[74:75], 3, v[74:75]
	v_add_co_u32 v76, vcc_lo, s30, v76
	v_add_co_ci_u32_e64 v77, null, s31, v77, vcc_lo
	v_add_co_u32 v74, vcc_lo, s26, v74
	v_add_co_ci_u32_e64 v75, null, s27, v75, vcc_lo
	global_store_dword v[76:77], v69, off offset:256
	s_waitcnt vmcnt(0)
	global_store_dwordx2 v[74:75], v[72:73], off offset:512
	s_or_b32 exec_lo, exec_lo, s90
	s_and_saveexec_b32 s90, s67
	s_cbranch_execz .LBB181_61
.LBB181_123:                            ;   in Loop: Header=BB181_21 Depth=1
	v_add_co_u32 v72, vcc_lo, v45, v62
	v_add_co_ci_u32_e64 v73, null, 0, v71, vcc_lo
	v_add_co_u32 v74, vcc_lo, v60, v33
	v_add_co_ci_u32_e64 v75, null, v61, v34, vcc_lo
	;; [unrolled: 2-line block ×4, first 2 shown]
	v_cndmask_b32_e64 v72, v74, v72, s0
	v_add_co_u32 v74, vcc_lo, v43, v46
	v_cndmask_b32_e64 v73, v75, v73, s0
	v_add_co_ci_u32_e64 v75, null, 0, v44, vcc_lo
	global_load_dwordx2 v[72:73], v[72:73], off
	v_lshlrev_b64 v[76:77], 2, v[74:75]
	v_lshlrev_b64 v[74:75], 3, v[74:75]
	v_add_co_u32 v76, vcc_lo, s30, v76
	v_add_co_ci_u32_e64 v77, null, s31, v77, vcc_lo
	v_add_co_u32 v74, vcc_lo, s26, v74
	v_add_co_ci_u32_e64 v75, null, s27, v75, vcc_lo
	global_store_dword v[76:77], v67, off offset:384
	s_waitcnt vmcnt(0)
	global_store_dwordx2 v[74:75], v[72:73], off offset:768
	s_or_b32 exec_lo, exec_lo, s90
	s_and_saveexec_b32 s90, s68
	s_cbranch_execz .LBB181_62
.LBB181_124:                            ;   in Loop: Header=BB181_21 Depth=1
	v_add_co_u32 v72, vcc_lo, v45, v62
	v_add_co_ci_u32_e64 v73, null, 0, v71, vcc_lo
	v_add_co_u32 v74, vcc_lo, v60, v35
	v_add_co_ci_u32_e64 v75, null, v61, v36, vcc_lo
	v_cndmask_b32_e64 v72, v74, v72, s0
	v_add_co_u32 v74, vcc_lo, v43, v46
	v_cndmask_b32_e64 v73, v75, v73, s0
	v_add_co_ci_u32_e64 v75, null, 0, v44, vcc_lo
	global_load_dwordx2 v[72:73], v[72:73], off offset:1024
	v_lshlrev_b64 v[76:77], 2, v[74:75]
	v_lshlrev_b64 v[74:75], 3, v[74:75]
	v_add_co_u32 v76, vcc_lo, s30, v76
	v_add_co_ci_u32_e64 v77, null, s31, v77, vcc_lo
	v_add_co_u32 v74, vcc_lo, s26, v74
	v_add_co_ci_u32_e64 v75, null, s27, v75, vcc_lo
	global_store_dword v[76:77], v66, off offset:512
	s_waitcnt vmcnt(0)
	global_store_dwordx2 v[74:75], v[72:73], off offset:1024
	s_or_b32 exec_lo, exec_lo, s90
	s_and_saveexec_b32 s90, s69
	s_cbranch_execz .LBB181_63
.LBB181_125:                            ;   in Loop: Header=BB181_21 Depth=1
	v_add_co_u32 v72, vcc_lo, v45, v62
	v_add_co_ci_u32_e64 v73, null, 0, v71, vcc_lo
	v_add_co_u32 v74, vcc_lo, v60, v37
	v_add_co_ci_u32_e64 v75, null, v61, v38, vcc_lo
	;; [unrolled: 2-line block ×4, first 2 shown]
	v_cndmask_b32_e64 v72, v74, v72, s0
	v_add_co_u32 v74, vcc_lo, v43, v46
	v_cndmask_b32_e64 v73, v75, v73, s0
	v_add_co_ci_u32_e64 v75, null, 0, v44, vcc_lo
	global_load_dwordx2 v[72:73], v[72:73], off
	v_lshlrev_b64 v[76:77], 2, v[74:75]
	v_lshlrev_b64 v[74:75], 3, v[74:75]
	v_add_co_u32 v76, vcc_lo, s30, v76
	v_add_co_ci_u32_e64 v77, null, s31, v77, vcc_lo
	v_add_co_u32 v74, vcc_lo, s26, v74
	v_add_co_ci_u32_e64 v75, null, s27, v75, vcc_lo
	global_store_dword v[76:77], v64, off offset:640
	s_waitcnt vmcnt(0)
	global_store_dwordx2 v[74:75], v[72:73], off offset:1280
	s_or_b32 exec_lo, exec_lo, s90
	s_and_saveexec_b32 s90, s70
	s_cbranch_execz .LBB181_64
.LBB181_126:                            ;   in Loop: Header=BB181_21 Depth=1
	v_add_co_u32 v72, vcc_lo, v45, v62
	v_add_co_ci_u32_e64 v73, null, 0, v71, vcc_lo
	v_add_co_u32 v74, vcc_lo, v60, v39
	v_add_co_ci_u32_e64 v75, null, v61, v40, vcc_lo
	;; [unrolled: 2-line block ×4, first 2 shown]
	v_cndmask_b32_e64 v72, v74, v72, s0
	v_add_co_u32 v74, vcc_lo, v43, v46
	v_cndmask_b32_e64 v73, v75, v73, s0
	v_add_co_ci_u32_e64 v75, null, 0, v44, vcc_lo
	global_load_dwordx2 v[72:73], v[72:73], off
	v_lshlrev_b64 v[76:77], 2, v[74:75]
	v_lshlrev_b64 v[74:75], 3, v[74:75]
	v_add_co_u32 v76, vcc_lo, s30, v76
	v_add_co_ci_u32_e64 v77, null, s31, v77, vcc_lo
	v_add_co_u32 v74, vcc_lo, s26, v74
	v_add_co_ci_u32_e64 v75, null, s27, v75, vcc_lo
	global_store_dword v[76:77], v63, off offset:768
	s_waitcnt vmcnt(0)
	global_store_dwordx2 v[74:75], v[72:73], off offset:1536
	s_or_b32 exec_lo, exec_lo, s90
	s_and_saveexec_b32 s90, s71
	s_cbranch_execnz .LBB181_65
	s_branch .LBB181_66
.LBB181_127:                            ;   in Loop: Header=BB181_21 Depth=1
	v_add_co_u32 v72, vcc_lo, v60, v27
	v_add_co_ci_u32_e64 v73, null, v61, v28, vcc_lo
	v_add_co_u32 v74, vcc_lo, v45, v62
	v_add_co_ci_u32_e64 v75, null, 0, v71, vcc_lo
	;; [unrolled: 2-line block ×3, first 2 shown]
	v_cndmask_b32_e64 v72, v72, v74, s0
	v_add_co_u32 v74, vcc_lo, v43, v46
	v_cndmask_b32_e64 v73, v73, v75, s0
	v_add_co_ci_u32_e64 v75, null, 0, v44, vcc_lo
	global_load_dwordx2 v[72:73], v[72:73], off
	v_lshlrev_b64 v[76:77], 2, v[74:75]
	v_lshlrev_b64 v[74:75], 3, v[74:75]
	v_add_co_u32 v76, vcc_lo, s30, v76
	v_add_co_ci_u32_e64 v77, null, s31, v77, vcc_lo
	v_add_co_u32 v74, vcc_lo, s26, v74
	v_add_co_ci_u32_e64 v75, null, s27, v75, vcc_lo
	global_store_dword v[76:77], v68, off
	s_waitcnt vmcnt(0)
	global_store_dwordx2 v[74:75], v[72:73], off
	s_or_b32 exec_lo, exec_lo, s90
	s_and_saveexec_b32 s90, s73
	s_cbranch_execz .LBB181_68
.LBB181_128:                            ;   in Loop: Header=BB181_21 Depth=1
	v_add_co_u32 v72, vcc_lo, v45, v62
	v_add_co_ci_u32_e64 v73, null, 0, v71, vcc_lo
	v_add_co_u32 v74, vcc_lo, v60, v29
	v_add_co_ci_u32_e64 v75, null, v61, v30, vcc_lo
	;; [unrolled: 2-line block ×4, first 2 shown]
	v_cndmask_b32_e64 v72, v74, v72, s0
	v_add_co_u32 v74, vcc_lo, v43, v46
	v_cndmask_b32_e64 v73, v75, v73, s0
	v_add_co_ci_u32_e64 v75, null, 0, v44, vcc_lo
	global_load_dwordx2 v[72:73], v[72:73], off
	v_lshlrev_b64 v[76:77], 2, v[74:75]
	v_lshlrev_b64 v[74:75], 3, v[74:75]
	v_add_co_u32 v76, vcc_lo, s30, v76
	v_add_co_ci_u32_e64 v77, null, s31, v77, vcc_lo
	v_add_co_u32 v74, vcc_lo, s26, v74
	v_add_co_ci_u32_e64 v75, null, s27, v75, vcc_lo
	global_store_dword v[76:77], v70, off offset:128
	s_waitcnt vmcnt(0)
	global_store_dwordx2 v[74:75], v[72:73], off offset:256
	s_or_b32 exec_lo, exec_lo, s90
	s_and_saveexec_b32 s90, s74
	s_cbranch_execz .LBB181_69
.LBB181_129:                            ;   in Loop: Header=BB181_21 Depth=1
	v_add_co_u32 v72, vcc_lo, v45, v62
	v_add_co_ci_u32_e64 v73, null, 0, v71, vcc_lo
	v_add_co_u32 v74, vcc_lo, v60, v31
	v_add_co_ci_u32_e64 v75, null, v61, v32, vcc_lo
	;; [unrolled: 2-line block ×4, first 2 shown]
	v_cndmask_b32_e64 v72, v74, v72, s0
	v_add_co_u32 v74, vcc_lo, v43, v46
	v_cndmask_b32_e64 v73, v75, v73, s0
	v_add_co_ci_u32_e64 v75, null, 0, v44, vcc_lo
	global_load_dwordx2 v[72:73], v[72:73], off
	v_lshlrev_b64 v[76:77], 2, v[74:75]
	v_lshlrev_b64 v[74:75], 3, v[74:75]
	v_add_co_u32 v76, vcc_lo, s30, v76
	v_add_co_ci_u32_e64 v77, null, s31, v77, vcc_lo
	v_add_co_u32 v74, vcc_lo, s26, v74
	v_add_co_ci_u32_e64 v75, null, s27, v75, vcc_lo
	global_store_dword v[76:77], v69, off offset:256
	s_waitcnt vmcnt(0)
	global_store_dwordx2 v[74:75], v[72:73], off offset:512
	s_or_b32 exec_lo, exec_lo, s90
	s_and_saveexec_b32 s90, s75
	s_cbranch_execz .LBB181_70
.LBB181_130:                            ;   in Loop: Header=BB181_21 Depth=1
	v_add_co_u32 v72, vcc_lo, v45, v62
	v_add_co_ci_u32_e64 v73, null, 0, v71, vcc_lo
	v_add_co_u32 v74, vcc_lo, v60, v33
	v_add_co_ci_u32_e64 v75, null, v61, v34, vcc_lo
	;; [unrolled: 2-line block ×4, first 2 shown]
	v_cndmask_b32_e64 v72, v74, v72, s0
	v_add_co_u32 v74, vcc_lo, v43, v46
	v_cndmask_b32_e64 v73, v75, v73, s0
	v_add_co_ci_u32_e64 v75, null, 0, v44, vcc_lo
	global_load_dwordx2 v[72:73], v[72:73], off
	v_lshlrev_b64 v[76:77], 2, v[74:75]
	v_lshlrev_b64 v[74:75], 3, v[74:75]
	v_add_co_u32 v76, vcc_lo, s30, v76
	v_add_co_ci_u32_e64 v77, null, s31, v77, vcc_lo
	v_add_co_u32 v74, vcc_lo, s26, v74
	v_add_co_ci_u32_e64 v75, null, s27, v75, vcc_lo
	global_store_dword v[76:77], v67, off offset:384
	s_waitcnt vmcnt(0)
	global_store_dwordx2 v[74:75], v[72:73], off offset:768
	s_or_b32 exec_lo, exec_lo, s90
	s_and_saveexec_b32 s90, s76
	s_cbranch_execz .LBB181_71
.LBB181_131:                            ;   in Loop: Header=BB181_21 Depth=1
	v_add_co_u32 v72, vcc_lo, v45, v62
	v_add_co_ci_u32_e64 v73, null, 0, v71, vcc_lo
	v_add_co_u32 v74, vcc_lo, v60, v35
	v_add_co_ci_u32_e64 v75, null, v61, v36, vcc_lo
	;; [unrolled: 2-line block ×4, first 2 shown]
	v_cndmask_b32_e64 v72, v74, v72, s0
	v_add_co_u32 v74, vcc_lo, v43, v46
	v_cndmask_b32_e64 v73, v75, v73, s0
	v_add_co_ci_u32_e64 v75, null, 0, v44, vcc_lo
	global_load_dwordx2 v[72:73], v[72:73], off
	v_lshlrev_b64 v[76:77], 2, v[74:75]
	v_lshlrev_b64 v[74:75], 3, v[74:75]
	v_add_co_u32 v76, vcc_lo, s30, v76
	v_add_co_ci_u32_e64 v77, null, s31, v77, vcc_lo
	v_add_co_u32 v74, vcc_lo, s26, v74
	v_add_co_ci_u32_e64 v75, null, s27, v75, vcc_lo
	global_store_dword v[76:77], v66, off offset:512
	s_waitcnt vmcnt(0)
	global_store_dwordx2 v[74:75], v[72:73], off offset:1024
	s_or_b32 exec_lo, exec_lo, s90
	s_and_saveexec_b32 s90, s77
	s_cbranch_execz .LBB181_72
.LBB181_132:                            ;   in Loop: Header=BB181_21 Depth=1
	v_add_co_u32 v72, vcc_lo, v45, v62
	v_add_co_ci_u32_e64 v73, null, 0, v71, vcc_lo
	v_add_co_u32 v74, vcc_lo, v60, v37
	v_add_co_ci_u32_e64 v75, null, v61, v38, vcc_lo
	v_cndmask_b32_e64 v72, v74, v72, s0
	v_add_co_u32 v74, vcc_lo, v43, v46
	v_cndmask_b32_e64 v73, v75, v73, s0
	v_add_co_ci_u32_e64 v75, null, 0, v44, vcc_lo
	global_load_dwordx2 v[72:73], v[72:73], off offset:1280
	v_lshlrev_b64 v[76:77], 2, v[74:75]
	v_lshlrev_b64 v[74:75], 3, v[74:75]
	v_add_co_u32 v76, vcc_lo, s30, v76
	v_add_co_ci_u32_e64 v77, null, s31, v77, vcc_lo
	v_add_co_u32 v74, vcc_lo, s26, v74
	v_add_co_ci_u32_e64 v75, null, s27, v75, vcc_lo
	global_store_dword v[76:77], v64, off offset:640
	s_waitcnt vmcnt(0)
	global_store_dwordx2 v[74:75], v[72:73], off offset:1280
	s_or_b32 exec_lo, exec_lo, s90
	s_and_saveexec_b32 s90, s78
	s_cbranch_execz .LBB181_73
.LBB181_133:                            ;   in Loop: Header=BB181_21 Depth=1
	v_add_co_u32 v72, vcc_lo, v45, v62
	v_add_co_ci_u32_e64 v73, null, 0, v71, vcc_lo
	v_add_co_u32 v74, vcc_lo, v60, v39
	v_add_co_ci_u32_e64 v75, null, v61, v40, vcc_lo
	;; [unrolled: 2-line block ×4, first 2 shown]
	v_cndmask_b32_e64 v72, v74, v72, s0
	v_add_co_u32 v74, vcc_lo, v43, v46
	v_cndmask_b32_e64 v73, v75, v73, s0
	v_add_co_ci_u32_e64 v75, null, 0, v44, vcc_lo
	global_load_dwordx2 v[72:73], v[72:73], off
	v_lshlrev_b64 v[76:77], 2, v[74:75]
	v_lshlrev_b64 v[74:75], 3, v[74:75]
	v_add_co_u32 v76, vcc_lo, s30, v76
	v_add_co_ci_u32_e64 v77, null, s31, v77, vcc_lo
	v_add_co_u32 v74, vcc_lo, s26, v74
	v_add_co_ci_u32_e64 v75, null, s27, v75, vcc_lo
	global_store_dword v[76:77], v63, off offset:768
	s_waitcnt vmcnt(0)
	global_store_dwordx2 v[74:75], v[72:73], off offset:1536
	s_or_b32 exec_lo, exec_lo, s90
	s_and_saveexec_b32 s90, s7
	s_cbranch_execnz .LBB181_74
	s_branch .LBB181_75
.LBB181_134:                            ;   in Loop: Header=BB181_21 Depth=1
	v_add_co_u32 v72, vcc_lo, v60, v27
	v_add_co_ci_u32_e64 v73, null, v61, v28, vcc_lo
	v_add_co_u32 v74, vcc_lo, v45, v62
	v_add_co_ci_u32_e64 v75, null, 0, v71, vcc_lo
	;; [unrolled: 2-line block ×3, first 2 shown]
	v_cndmask_b32_e64 v72, v72, v74, s0
	v_add_co_u32 v74, vcc_lo, v43, v46
	v_cndmask_b32_e64 v73, v73, v75, s0
	v_add_co_ci_u32_e64 v75, null, 0, v44, vcc_lo
	global_load_dwordx2 v[72:73], v[72:73], off
	v_lshlrev_b64 v[76:77], 2, v[74:75]
	v_lshlrev_b64 v[74:75], 3, v[74:75]
	v_add_co_u32 v76, vcc_lo, s30, v76
	v_add_co_ci_u32_e64 v77, null, s31, v77, vcc_lo
	v_add_co_u32 v74, vcc_lo, s26, v74
	v_add_co_ci_u32_e64 v75, null, s27, v75, vcc_lo
	global_store_dword v[76:77], v68, off
	s_waitcnt vmcnt(0)
	global_store_dwordx2 v[74:75], v[72:73], off
	s_or_b32 exec_lo, exec_lo, s90
	s_and_saveexec_b32 s90, s80
	s_cbranch_execz .LBB181_77
.LBB181_135:                            ;   in Loop: Header=BB181_21 Depth=1
	v_add_co_u32 v72, vcc_lo, v45, v62
	v_add_co_ci_u32_e64 v73, null, 0, v71, vcc_lo
	v_add_co_u32 v74, vcc_lo, v60, v29
	v_add_co_ci_u32_e64 v75, null, v61, v30, vcc_lo
	;; [unrolled: 2-line block ×4, first 2 shown]
	v_cndmask_b32_e64 v72, v74, v72, s0
	v_add_co_u32 v74, vcc_lo, v43, v46
	v_cndmask_b32_e64 v73, v75, v73, s0
	v_add_co_ci_u32_e64 v75, null, 0, v44, vcc_lo
	global_load_dwordx2 v[72:73], v[72:73], off
	v_lshlrev_b64 v[76:77], 2, v[74:75]
	v_lshlrev_b64 v[74:75], 3, v[74:75]
	v_add_co_u32 v76, vcc_lo, s30, v76
	v_add_co_ci_u32_e64 v77, null, s31, v77, vcc_lo
	v_add_co_u32 v74, vcc_lo, s26, v74
	v_add_co_ci_u32_e64 v75, null, s27, v75, vcc_lo
	global_store_dword v[76:77], v70, off offset:128
	s_waitcnt vmcnt(0)
	global_store_dwordx2 v[74:75], v[72:73], off offset:256
	s_or_b32 exec_lo, exec_lo, s90
	s_and_saveexec_b32 s90, s81
	s_cbranch_execz .LBB181_78
.LBB181_136:                            ;   in Loop: Header=BB181_21 Depth=1
	v_add_co_u32 v72, vcc_lo, v45, v62
	v_add_co_ci_u32_e64 v73, null, 0, v71, vcc_lo
	v_add_co_u32 v74, vcc_lo, v60, v31
	v_add_co_ci_u32_e64 v75, null, v61, v32, vcc_lo
	;; [unrolled: 2-line block ×4, first 2 shown]
	v_cndmask_b32_e64 v72, v74, v72, s0
	v_add_co_u32 v74, vcc_lo, v43, v46
	v_cndmask_b32_e64 v73, v75, v73, s0
	v_add_co_ci_u32_e64 v75, null, 0, v44, vcc_lo
	global_load_dwordx2 v[72:73], v[72:73], off
	v_lshlrev_b64 v[76:77], 2, v[74:75]
	v_lshlrev_b64 v[74:75], 3, v[74:75]
	v_add_co_u32 v76, vcc_lo, s30, v76
	v_add_co_ci_u32_e64 v77, null, s31, v77, vcc_lo
	v_add_co_u32 v74, vcc_lo, s26, v74
	v_add_co_ci_u32_e64 v75, null, s27, v75, vcc_lo
	global_store_dword v[76:77], v69, off offset:256
	s_waitcnt vmcnt(0)
	global_store_dwordx2 v[74:75], v[72:73], off offset:512
	s_or_b32 exec_lo, exec_lo, s90
	s_and_saveexec_b32 s90, s82
	s_cbranch_execz .LBB181_79
.LBB181_137:                            ;   in Loop: Header=BB181_21 Depth=1
	v_add_co_u32 v72, vcc_lo, v45, v62
	v_add_co_ci_u32_e64 v73, null, 0, v71, vcc_lo
	v_add_co_u32 v74, vcc_lo, v60, v33
	v_add_co_ci_u32_e64 v75, null, v61, v34, vcc_lo
	;; [unrolled: 2-line block ×4, first 2 shown]
	v_cndmask_b32_e64 v72, v74, v72, s0
	v_add_co_u32 v74, vcc_lo, v43, v46
	v_cndmask_b32_e64 v73, v75, v73, s0
	v_add_co_ci_u32_e64 v75, null, 0, v44, vcc_lo
	global_load_dwordx2 v[72:73], v[72:73], off
	v_lshlrev_b64 v[76:77], 2, v[74:75]
	v_lshlrev_b64 v[74:75], 3, v[74:75]
	v_add_co_u32 v76, vcc_lo, s30, v76
	v_add_co_ci_u32_e64 v77, null, s31, v77, vcc_lo
	v_add_co_u32 v74, vcc_lo, s26, v74
	v_add_co_ci_u32_e64 v75, null, s27, v75, vcc_lo
	global_store_dword v[76:77], v67, off offset:384
	s_waitcnt vmcnt(0)
	global_store_dwordx2 v[74:75], v[72:73], off offset:768
	s_or_b32 exec_lo, exec_lo, s90
	s_and_saveexec_b32 s90, s83
	s_cbranch_execz .LBB181_80
.LBB181_138:                            ;   in Loop: Header=BB181_21 Depth=1
	v_add_co_u32 v72, vcc_lo, v45, v62
	v_add_co_ci_u32_e64 v73, null, 0, v71, vcc_lo
	v_add_co_u32 v74, vcc_lo, v60, v35
	v_add_co_ci_u32_e64 v75, null, v61, v36, vcc_lo
	;; [unrolled: 2-line block ×4, first 2 shown]
	v_cndmask_b32_e64 v72, v74, v72, s0
	v_add_co_u32 v74, vcc_lo, v43, v46
	v_cndmask_b32_e64 v73, v75, v73, s0
	v_add_co_ci_u32_e64 v75, null, 0, v44, vcc_lo
	global_load_dwordx2 v[72:73], v[72:73], off
	v_lshlrev_b64 v[76:77], 2, v[74:75]
	v_lshlrev_b64 v[74:75], 3, v[74:75]
	v_add_co_u32 v76, vcc_lo, s30, v76
	v_add_co_ci_u32_e64 v77, null, s31, v77, vcc_lo
	v_add_co_u32 v74, vcc_lo, s26, v74
	v_add_co_ci_u32_e64 v75, null, s27, v75, vcc_lo
	global_store_dword v[76:77], v66, off offset:512
	s_waitcnt vmcnt(0)
	global_store_dwordx2 v[74:75], v[72:73], off offset:1024
	s_or_b32 exec_lo, exec_lo, s90
	s_and_saveexec_b32 s90, s84
	s_cbranch_execz .LBB181_81
.LBB181_139:                            ;   in Loop: Header=BB181_21 Depth=1
	v_add_co_u32 v72, vcc_lo, v45, v62
	v_add_co_ci_u32_e64 v73, null, 0, v71, vcc_lo
	v_add_co_u32 v74, vcc_lo, v60, v37
	v_add_co_ci_u32_e64 v75, null, v61, v38, vcc_lo
	;; [unrolled: 2-line block ×4, first 2 shown]
	v_cndmask_b32_e64 v72, v74, v72, s0
	v_add_co_u32 v74, vcc_lo, v43, v46
	v_cndmask_b32_e64 v73, v75, v73, s0
	v_add_co_ci_u32_e64 v75, null, 0, v44, vcc_lo
	global_load_dwordx2 v[72:73], v[72:73], off
	v_lshlrev_b64 v[76:77], 2, v[74:75]
	v_lshlrev_b64 v[74:75], 3, v[74:75]
	v_add_co_u32 v76, vcc_lo, s30, v76
	v_add_co_ci_u32_e64 v77, null, s31, v77, vcc_lo
	v_add_co_u32 v74, vcc_lo, s26, v74
	v_add_co_ci_u32_e64 v75, null, s27, v75, vcc_lo
	global_store_dword v[76:77], v64, off offset:640
	s_waitcnt vmcnt(0)
	global_store_dwordx2 v[74:75], v[72:73], off offset:1280
	s_or_b32 exec_lo, exec_lo, s90
	s_and_saveexec_b32 s90, s85
	s_cbranch_execz .LBB181_82
.LBB181_140:                            ;   in Loop: Header=BB181_21 Depth=1
	v_add_co_u32 v72, vcc_lo, v45, v62
	v_add_co_ci_u32_e64 v73, null, 0, v71, vcc_lo
	v_add_co_u32 v74, vcc_lo, v60, v39
	v_add_co_ci_u32_e64 v75, null, v61, v40, vcc_lo
	v_cndmask_b32_e64 v72, v74, v72, s0
	v_add_co_u32 v74, vcc_lo, v43, v46
	v_cndmask_b32_e64 v73, v75, v73, s0
	v_add_co_ci_u32_e64 v75, null, 0, v44, vcc_lo
	global_load_dwordx2 v[72:73], v[72:73], off offset:1536
	v_lshlrev_b64 v[76:77], 2, v[74:75]
	v_lshlrev_b64 v[74:75], 3, v[74:75]
	v_add_co_u32 v76, vcc_lo, s30, v76
	v_add_co_ci_u32_e64 v77, null, s31, v77, vcc_lo
	v_add_co_u32 v74, vcc_lo, s26, v74
	v_add_co_ci_u32_e64 v75, null, s27, v75, vcc_lo
	global_store_dword v[76:77], v63, off offset:768
	s_waitcnt vmcnt(0)
	global_store_dwordx2 v[74:75], v[72:73], off offset:1536
	s_or_b32 exec_lo, exec_lo, s90
	s_and_saveexec_b32 s90, s10
	s_cbranch_execnz .LBB181_83
	s_branch .LBB181_84
.LBB181_141:                            ;   in Loop: Header=BB181_21 Depth=1
	v_add_co_u32 v72, vcc_lo, v60, v27
	v_add_co_ci_u32_e64 v73, null, v61, v28, vcc_lo
	v_add_co_u32 v74, vcc_lo, v45, v62
	v_add_co_ci_u32_e64 v75, null, 0, v71, vcc_lo
	;; [unrolled: 2-line block ×3, first 2 shown]
	v_cndmask_b32_e64 v72, v72, v74, s0
	v_add_co_u32 v74, vcc_lo, v43, v46
	v_cndmask_b32_e64 v73, v73, v75, s0
	v_add_co_ci_u32_e64 v75, null, 0, v44, vcc_lo
	global_load_dwordx2 v[72:73], v[72:73], off
	v_lshlrev_b64 v[76:77], 2, v[74:75]
	v_lshlrev_b64 v[74:75], 3, v[74:75]
	v_add_co_u32 v76, vcc_lo, s30, v76
	v_add_co_ci_u32_e64 v77, null, s31, v77, vcc_lo
	v_add_co_u32 v74, vcc_lo, s26, v74
	v_add_co_ci_u32_e64 v75, null, s27, v75, vcc_lo
	global_store_dword v[76:77], v68, off
	s_waitcnt vmcnt(0)
	global_store_dwordx2 v[74:75], v[72:73], off
	s_or_b32 exec_lo, exec_lo, s9
	s_and_saveexec_b32 s9, s11
	s_cbranch_execz .LBB181_86
.LBB181_142:                            ;   in Loop: Header=BB181_21 Depth=1
	v_add_co_u32 v68, vcc_lo, v45, v62
	v_add_co_ci_u32_e64 v72, null, 0, v71, vcc_lo
	v_add_co_u32 v73, vcc_lo, v60, v29
	v_add_co_ci_u32_e64 v74, null, v61, v30, vcc_lo
	;; [unrolled: 2-line block ×4, first 2 shown]
	v_add_co_u32 v74, vcc_lo, v43, v46
	v_cndmask_b32_e64 v73, v73, v72, s0
	v_cndmask_b32_e64 v72, v75, v68, s0
	v_add_co_ci_u32_e64 v75, null, 0, v44, vcc_lo
	global_load_dwordx2 v[72:73], v[72:73], off
	v_lshlrev_b64 v[76:77], 2, v[74:75]
	v_lshlrev_b64 v[74:75], 3, v[74:75]
	v_add_co_u32 v76, vcc_lo, s30, v76
	v_add_co_ci_u32_e64 v77, null, s31, v77, vcc_lo
	v_add_co_u32 v74, vcc_lo, s26, v74
	v_add_co_ci_u32_e64 v75, null, s27, v75, vcc_lo
	global_store_dword v[76:77], v70, off offset:128
	s_waitcnt vmcnt(0)
	global_store_dwordx2 v[74:75], v[72:73], off offset:256
	s_or_b32 exec_lo, exec_lo, s9
	s_and_saveexec_b32 s9, s12
	s_cbranch_execz .LBB181_87
.LBB181_143:                            ;   in Loop: Header=BB181_21 Depth=1
	v_add_co_u32 v68, vcc_lo, v45, v62
	v_add_co_ci_u32_e64 v70, null, 0, v71, vcc_lo
	v_add_co_u32 v72, vcc_lo, v60, v31
	v_add_co_ci_u32_e64 v73, null, v61, v32, vcc_lo
	;; [unrolled: 2-line block ×4, first 2 shown]
	v_add_co_u32 v74, vcc_lo, v43, v46
	v_cndmask_b32_e64 v72, v72, v68, s0
	v_cndmask_b32_e64 v73, v73, v70, s0
	v_add_co_ci_u32_e64 v75, null, 0, v44, vcc_lo
	global_load_dwordx2 v[72:73], v[72:73], off
	v_lshlrev_b64 v[76:77], 2, v[74:75]
	v_lshlrev_b64 v[74:75], 3, v[74:75]
	v_add_co_u32 v76, vcc_lo, s30, v76
	v_add_co_ci_u32_e64 v77, null, s31, v77, vcc_lo
	v_add_co_u32 v74, vcc_lo, s26, v74
	v_add_co_ci_u32_e64 v75, null, s27, v75, vcc_lo
	global_store_dword v[76:77], v69, off offset:256
	s_waitcnt vmcnt(0)
	global_store_dwordx2 v[74:75], v[72:73], off offset:512
	s_or_b32 exec_lo, exec_lo, s9
	s_and_saveexec_b32 s9, s13
	s_cbranch_execz .LBB181_88
.LBB181_144:                            ;   in Loop: Header=BB181_21 Depth=1
	v_add_co_u32 v68, vcc_lo, v45, v62
	v_add_co_ci_u32_e64 v69, null, 0, v71, vcc_lo
	v_add_co_u32 v70, vcc_lo, v60, v33
	v_add_co_ci_u32_e64 v72, null, v61, v34, vcc_lo
	;; [unrolled: 2-line block ×4, first 2 shown]
	v_cndmask_b32_e64 v68, v70, v68, s0
	v_cndmask_b32_e64 v69, v72, v69, s0
	v_add_co_u32 v72, vcc_lo, v43, v46
	v_add_co_ci_u32_e64 v73, null, 0, v44, vcc_lo
	global_load_dwordx2 v[68:69], v[68:69], off
	v_lshlrev_b64 v[74:75], 2, v[72:73]
	v_lshlrev_b64 v[72:73], 3, v[72:73]
	v_add_co_u32 v74, vcc_lo, s30, v74
	v_add_co_ci_u32_e64 v75, null, s31, v75, vcc_lo
	v_add_co_u32 v72, vcc_lo, s26, v72
	v_add_co_ci_u32_e64 v73, null, s27, v73, vcc_lo
	global_store_dword v[74:75], v67, off offset:384
	s_waitcnt vmcnt(0)
	global_store_dwordx2 v[72:73], v[68:69], off offset:768
	s_or_b32 exec_lo, exec_lo, s9
	s_and_saveexec_b32 s9, s14
	s_cbranch_execz .LBB181_89
.LBB181_145:                            ;   in Loop: Header=BB181_21 Depth=1
	v_add_co_u32 v67, vcc_lo, v45, v62
	v_add_co_ci_u32_e64 v68, null, 0, v71, vcc_lo
	v_add_co_u32 v69, vcc_lo, v60, v35
	v_add_co_ci_u32_e64 v70, null, v61, v36, vcc_lo
	;; [unrolled: 2-line block ×4, first 2 shown]
	v_cndmask_b32_e64 v67, v69, v67, s0
	v_add_co_u32 v69, vcc_lo, v43, v46
	v_cndmask_b32_e64 v68, v70, v68, s0
	v_add_co_ci_u32_e64 v70, null, 0, v44, vcc_lo
	global_load_dwordx2 v[67:68], v[67:68], off
	v_lshlrev_b64 v[72:73], 2, v[69:70]
	v_lshlrev_b64 v[69:70], 3, v[69:70]
	v_add_co_u32 v72, vcc_lo, s30, v72
	v_add_co_ci_u32_e64 v73, null, s31, v73, vcc_lo
	v_add_co_u32 v69, vcc_lo, s26, v69
	v_add_co_ci_u32_e64 v70, null, s27, v70, vcc_lo
	global_store_dword v[72:73], v66, off offset:512
	s_waitcnt vmcnt(0)
	global_store_dwordx2 v[69:70], v[67:68], off offset:1024
	s_or_b32 exec_lo, exec_lo, s9
	s_and_saveexec_b32 s9, s15
	s_cbranch_execz .LBB181_90
.LBB181_146:                            ;   in Loop: Header=BB181_21 Depth=1
	v_add_co_u32 v66, vcc_lo, v45, v62
	v_add_co_ci_u32_e64 v67, null, 0, v71, vcc_lo
	v_add_co_u32 v68, vcc_lo, v60, v37
	v_add_co_ci_u32_e64 v69, null, v61, v38, vcc_lo
	;; [unrolled: 2-line block ×4, first 2 shown]
	v_cndmask_b32_e64 v66, v68, v66, s0
	v_add_co_u32 v68, vcc_lo, v43, v46
	v_cndmask_b32_e64 v67, v69, v67, s0
	v_add_co_ci_u32_e64 v69, null, 0, v44, vcc_lo
	global_load_dwordx2 v[66:67], v[66:67], off
	v_lshlrev_b64 v[72:73], 2, v[68:69]
	v_lshlrev_b64 v[68:69], 3, v[68:69]
	v_add_co_u32 v72, vcc_lo, s30, v72
	v_add_co_ci_u32_e64 v73, null, s31, v73, vcc_lo
	v_add_co_u32 v68, vcc_lo, s26, v68
	v_add_co_ci_u32_e64 v69, null, s27, v69, vcc_lo
	global_store_dword v[72:73], v64, off offset:640
	s_waitcnt vmcnt(0)
	global_store_dwordx2 v[68:69], v[66:67], off offset:1280
	s_or_b32 exec_lo, exec_lo, s9
	s_and_saveexec_b32 s9, s4
	s_cbranch_execz .LBB181_91
.LBB181_147:                            ;   in Loop: Header=BB181_21 Depth=1
	v_add_co_u32 v64, vcc_lo, v45, v62
	v_add_co_ci_u32_e64 v66, null, 0, v71, vcc_lo
	v_add_co_u32 v67, vcc_lo, v60, v39
	v_add_co_ci_u32_e64 v68, null, v61, v40, vcc_lo
	;; [unrolled: 2-line block ×4, first 2 shown]
	v_add_co_u32 v68, vcc_lo, v43, v46
	v_cndmask_b32_e64 v67, v67, v66, s0
	v_cndmask_b32_e64 v66, v69, v64, s0
	v_add_co_ci_u32_e64 v69, null, 0, v44, vcc_lo
	global_load_dwordx2 v[66:67], v[66:67], off
	v_lshlrev_b64 v[72:73], 2, v[68:69]
	v_lshlrev_b64 v[68:69], 3, v[68:69]
	v_add_co_u32 v72, vcc_lo, s30, v72
	v_add_co_ci_u32_e64 v73, null, s31, v73, vcc_lo
	v_add_co_u32 v68, vcc_lo, s26, v68
	v_add_co_ci_u32_e64 v69, null, s27, v69, vcc_lo
	global_store_dword v[72:73], v63, off offset:768
	s_waitcnt vmcnt(0)
	global_store_dwordx2 v[68:69], v[66:67], off offset:1536
	s_or_b32 exec_lo, exec_lo, s9
	s_and_saveexec_b32 s9, s5
	s_cbranch_execz .LBB181_20
.LBB181_148:                            ;   in Loop: Header=BB181_21 Depth=1
	v_add_co_u32 v45, vcc_lo, v45, v62
	v_add_co_ci_u32_e64 v62, null, 0, v71, vcc_lo
	v_add_co_u32 v60, vcc_lo, v60, v41
	v_add_co_ci_u32_e64 v61, null, v61, v42, vcc_lo
	v_add_co_u32 v43, vcc_lo, v43, v46
	v_cndmask_b32_e64 v60, v60, v45, s0
	v_cndmask_b32_e64 v61, v61, v62, s0
	v_add_co_ci_u32_e64 v44, null, 0, v44, vcc_lo
	global_load_dwordx2 v[60:61], v[60:61], off offset:1792
	v_lshlrev_b64 v[62:63], 2, v[43:44]
	v_lshlrev_b64 v[43:44], 3, v[43:44]
	v_add_co_u32 v62, vcc_lo, s30, v62
	v_add_co_ci_u32_e64 v63, null, s31, v63, vcc_lo
	v_add_co_u32 v43, vcc_lo, s26, v43
	v_add_co_ci_u32_e64 v44, null, s27, v44, vcc_lo
	global_store_dword v[62:63], v65, off offset:896
	s_waitcnt vmcnt(0)
	global_store_dwordx2 v[43:44], v[60:61], off offset:1792
	s_branch .LBB181_20
.LBB181_149:
	s_endpgm
	.section	.rodata,"a",@progbits
	.p2align	6, 0x0
	.amdhsa_kernel _ZN9rocsparseL35bsr2csr_block_per_row_33_256_kernelILj1024ELj256ELj32E21rocsparse_complex_numIfEliEEv20rocsparse_direction_T4_S4_21rocsparse_index_base_PKT2_PKT3_PKS4_S4_S5_PS6_PS9_PS4_
		.amdhsa_group_segment_fixed_size 0
		.amdhsa_private_segment_fixed_size 0
		.amdhsa_kernarg_size 72
		.amdhsa_user_sgpr_count 6
		.amdhsa_user_sgpr_private_segment_buffer 1
		.amdhsa_user_sgpr_dispatch_ptr 0
		.amdhsa_user_sgpr_queue_ptr 0
		.amdhsa_user_sgpr_kernarg_segment_ptr 1
		.amdhsa_user_sgpr_dispatch_id 0
		.amdhsa_user_sgpr_flat_scratch_init 0
		.amdhsa_user_sgpr_private_segment_size 0
		.amdhsa_wavefront_size32 1
		.amdhsa_uses_dynamic_stack 0
		.amdhsa_system_sgpr_private_segment_wavefront_offset 0
		.amdhsa_system_sgpr_workgroup_id_x 1
		.amdhsa_system_sgpr_workgroup_id_y 0
		.amdhsa_system_sgpr_workgroup_id_z 0
		.amdhsa_system_sgpr_workgroup_info 0
		.amdhsa_system_vgpr_workitem_id 0
		.amdhsa_next_free_vgpr 78
		.amdhsa_next_free_sgpr 92
		.amdhsa_reserve_vcc 1
		.amdhsa_reserve_flat_scratch 0
		.amdhsa_float_round_mode_32 0
		.amdhsa_float_round_mode_16_64 0
		.amdhsa_float_denorm_mode_32 3
		.amdhsa_float_denorm_mode_16_64 3
		.amdhsa_dx10_clamp 1
		.amdhsa_ieee_mode 1
		.amdhsa_fp16_overflow 0
		.amdhsa_workgroup_processor_mode 1
		.amdhsa_memory_ordered 1
		.amdhsa_forward_progress 1
		.amdhsa_shared_vgpr_count 0
		.amdhsa_exception_fp_ieee_invalid_op 0
		.amdhsa_exception_fp_denorm_src 0
		.amdhsa_exception_fp_ieee_div_zero 0
		.amdhsa_exception_fp_ieee_overflow 0
		.amdhsa_exception_fp_ieee_underflow 0
		.amdhsa_exception_fp_ieee_inexact 0
		.amdhsa_exception_int_div_zero 0
	.end_amdhsa_kernel
	.section	.text._ZN9rocsparseL35bsr2csr_block_per_row_33_256_kernelILj1024ELj256ELj32E21rocsparse_complex_numIfEliEEv20rocsparse_direction_T4_S4_21rocsparse_index_base_PKT2_PKT3_PKS4_S4_S5_PS6_PS9_PS4_,"axG",@progbits,_ZN9rocsparseL35bsr2csr_block_per_row_33_256_kernelILj1024ELj256ELj32E21rocsparse_complex_numIfEliEEv20rocsparse_direction_T4_S4_21rocsparse_index_base_PKT2_PKT3_PKS4_S4_S5_PS6_PS9_PS4_,comdat
.Lfunc_end181:
	.size	_ZN9rocsparseL35bsr2csr_block_per_row_33_256_kernelILj1024ELj256ELj32E21rocsparse_complex_numIfEliEEv20rocsparse_direction_T4_S4_21rocsparse_index_base_PKT2_PKT3_PKS4_S4_S5_PS6_PS9_PS4_, .Lfunc_end181-_ZN9rocsparseL35bsr2csr_block_per_row_33_256_kernelILj1024ELj256ELj32E21rocsparse_complex_numIfEliEEv20rocsparse_direction_T4_S4_21rocsparse_index_base_PKT2_PKT3_PKS4_S4_S5_PS6_PS9_PS4_
                                        ; -- End function
	.set _ZN9rocsparseL35bsr2csr_block_per_row_33_256_kernelILj1024ELj256ELj32E21rocsparse_complex_numIfEliEEv20rocsparse_direction_T4_S4_21rocsparse_index_base_PKT2_PKT3_PKS4_S4_S5_PS6_PS9_PS4_.num_vgpr, 78
	.set _ZN9rocsparseL35bsr2csr_block_per_row_33_256_kernelILj1024ELj256ELj32E21rocsparse_complex_numIfEliEEv20rocsparse_direction_T4_S4_21rocsparse_index_base_PKT2_PKT3_PKS4_S4_S5_PS6_PS9_PS4_.num_agpr, 0
	.set _ZN9rocsparseL35bsr2csr_block_per_row_33_256_kernelILj1024ELj256ELj32E21rocsparse_complex_numIfEliEEv20rocsparse_direction_T4_S4_21rocsparse_index_base_PKT2_PKT3_PKS4_S4_S5_PS6_PS9_PS4_.numbered_sgpr, 92
	.set _ZN9rocsparseL35bsr2csr_block_per_row_33_256_kernelILj1024ELj256ELj32E21rocsparse_complex_numIfEliEEv20rocsparse_direction_T4_S4_21rocsparse_index_base_PKT2_PKT3_PKS4_S4_S5_PS6_PS9_PS4_.num_named_barrier, 0
	.set _ZN9rocsparseL35bsr2csr_block_per_row_33_256_kernelILj1024ELj256ELj32E21rocsparse_complex_numIfEliEEv20rocsparse_direction_T4_S4_21rocsparse_index_base_PKT2_PKT3_PKS4_S4_S5_PS6_PS9_PS4_.private_seg_size, 0
	.set _ZN9rocsparseL35bsr2csr_block_per_row_33_256_kernelILj1024ELj256ELj32E21rocsparse_complex_numIfEliEEv20rocsparse_direction_T4_S4_21rocsparse_index_base_PKT2_PKT3_PKS4_S4_S5_PS6_PS9_PS4_.uses_vcc, 1
	.set _ZN9rocsparseL35bsr2csr_block_per_row_33_256_kernelILj1024ELj256ELj32E21rocsparse_complex_numIfEliEEv20rocsparse_direction_T4_S4_21rocsparse_index_base_PKT2_PKT3_PKS4_S4_S5_PS6_PS9_PS4_.uses_flat_scratch, 0
	.set _ZN9rocsparseL35bsr2csr_block_per_row_33_256_kernelILj1024ELj256ELj32E21rocsparse_complex_numIfEliEEv20rocsparse_direction_T4_S4_21rocsparse_index_base_PKT2_PKT3_PKS4_S4_S5_PS6_PS9_PS4_.has_dyn_sized_stack, 0
	.set _ZN9rocsparseL35bsr2csr_block_per_row_33_256_kernelILj1024ELj256ELj32E21rocsparse_complex_numIfEliEEv20rocsparse_direction_T4_S4_21rocsparse_index_base_PKT2_PKT3_PKS4_S4_S5_PS6_PS9_PS4_.has_recursion, 0
	.set _ZN9rocsparseL35bsr2csr_block_per_row_33_256_kernelILj1024ELj256ELj32E21rocsparse_complex_numIfEliEEv20rocsparse_direction_T4_S4_21rocsparse_index_base_PKT2_PKT3_PKS4_S4_S5_PS6_PS9_PS4_.has_indirect_call, 0
	.section	.AMDGPU.csdata,"",@progbits
; Kernel info:
; codeLenInByte = 14788
; TotalNumSgprs: 94
; NumVgprs: 78
; ScratchSize: 0
; MemoryBound: 0
; FloatMode: 240
; IeeeMode: 1
; LDSByteSize: 0 bytes/workgroup (compile time only)
; SGPRBlocks: 0
; VGPRBlocks: 9
; NumSGPRsForWavesPerEU: 94
; NumVGPRsForWavesPerEU: 78
; Occupancy: 12
; WaveLimiterHint : 1
; COMPUTE_PGM_RSRC2:SCRATCH_EN: 0
; COMPUTE_PGM_RSRC2:USER_SGPR: 6
; COMPUTE_PGM_RSRC2:TRAP_HANDLER: 0
; COMPUTE_PGM_RSRC2:TGID_X_EN: 1
; COMPUTE_PGM_RSRC2:TGID_Y_EN: 0
; COMPUTE_PGM_RSRC2:TGID_Z_EN: 0
; COMPUTE_PGM_RSRC2:TIDIG_COMP_CNT: 0
	.section	.text._ZN9rocsparseL35bsr2csr_block_dim_equals_one_kernelILj1024E21rocsparse_complex_numIfEilEEvT2_S3_21rocsparse_index_base_PKT0_PKT1_PKS3_S4_PS5_PS8_PS3_,"axG",@progbits,_ZN9rocsparseL35bsr2csr_block_dim_equals_one_kernelILj1024E21rocsparse_complex_numIfEilEEvT2_S3_21rocsparse_index_base_PKT0_PKT1_PKS3_S4_PS5_PS8_PS3_,comdat
	.globl	_ZN9rocsparseL35bsr2csr_block_dim_equals_one_kernelILj1024E21rocsparse_complex_numIfEilEEvT2_S3_21rocsparse_index_base_PKT0_PKT1_PKS3_S4_PS5_PS8_PS3_ ; -- Begin function _ZN9rocsparseL35bsr2csr_block_dim_equals_one_kernelILj1024E21rocsparse_complex_numIfEilEEvT2_S3_21rocsparse_index_base_PKT0_PKT1_PKS3_S4_PS5_PS8_PS3_
	.p2align	8
	.type	_ZN9rocsparseL35bsr2csr_block_dim_equals_one_kernelILj1024E21rocsparse_complex_numIfEilEEvT2_S3_21rocsparse_index_base_PKT0_PKT1_PKS3_S4_PS5_PS8_PS3_,@function
_ZN9rocsparseL35bsr2csr_block_dim_equals_one_kernelILj1024E21rocsparse_complex_numIfEilEEvT2_S3_21rocsparse_index_base_PKT0_PKT1_PKS3_S4_PS5_PS8_PS3_: ; @_ZN9rocsparseL35bsr2csr_block_dim_equals_one_kernelILj1024E21rocsparse_complex_numIfEilEEvT2_S3_21rocsparse_index_base_PKT0_PKT1_PKS3_S4_PS5_PS8_PS3_
; %bb.0:
	s_clause 0x6
	s_load_dwordx2 s[0:1], s[4:5], 0x0
	s_load_dword s16, s[4:5], 0x10
	s_load_dwordx4 s[8:11], s[4:5], 0x18
	s_load_dwordx2 s[2:3], s[4:5], 0x28
	s_load_dwordx2 s[12:13], s[4:5], 0x48
	s_load_dword s17, s[4:5], 0x30
	s_load_dwordx2 s[14:15], s[4:5], 0x38
	v_lshl_or_b32 v0, s6, 10, v0
	v_mov_b32_e32 v1, 0
	s_mov_b32 s18, exec_lo
	s_waitcnt lgkmcnt(0)
	v_cmpx_gt_i64_e64 s[0:1], v[0:1]
	s_cbranch_execz .LBB182_6
; %bb.1:
	s_load_dwordx2 s[6:7], s[4:5], 0x40
	s_mov_b32 s19, exec_lo
                                        ; implicit-def: $sgpr20
	v_cmpx_ne_u32_e32 0, v0
	s_xor_b32 s19, exec_lo, s19
; %bb.2:
	s_sub_i32 s20, s17, s16
; %bb.3:
	s_or_saveexec_b32 s19, s19
	v_mov_b32_e32 v2, s20
	s_xor_b32 exec_lo, exec_lo, s19
	s_cbranch_execz .LBB182_5
; %bb.4:
	s_load_dword s20, s[10:11], 0x0
	s_sub_i32 s21, s17, s16
	v_mov_b32_e32 v3, 0
	v_mov_b32_e32 v2, s21
	s_waitcnt lgkmcnt(0)
	s_add_i32 s20, s21, s20
	v_mov_b32_e32 v4, s20
	global_store_dword v3, v4, s[6:7]
.LBB182_5:
	s_or_b32 exec_lo, exec_lo, s19
	v_lshlrev_b64 v[3:4], 2, v[0:1]
	v_add_co_u32 v5, vcc_lo, s10, v3
	v_add_co_ci_u32_e64 v6, null, s11, v4, vcc_lo
	global_load_dword v5, v[5:6], off offset:4
	s_waitcnt vmcnt(0)
	v_add_nc_u32_e32 v5, v2, v5
	s_waitcnt lgkmcnt(0)
	v_add_co_u32 v2, vcc_lo, s6, v3
	v_add_co_ci_u32_e64 v3, null, s7, v4, vcc_lo
	global_store_dword v[2:3], v5, off offset:4
.LBB182_6:
	s_or_b32 exec_lo, exec_lo, s18
	s_lshl_b64 s[0:1], s[0:1], 2
	s_add_u32 s0, s10, s0
	s_addc_u32 s1, s11, s1
	s_clause 0x1
	s_load_dword s0, s[0:1], 0x0
	s_load_dword s1, s[10:11], 0x0
	s_waitcnt lgkmcnt(0)
	s_sub_i32 s6, s0, s1
	s_mov_b32 s0, exec_lo
	s_ashr_i32 s7, s6, 31
	v_cmpx_gt_i64_e64 s[6:7], v[0:1]
	s_cbranch_execz .LBB182_9
; %bb.7:
	s_load_dword s0, s[4:5], 0x50
	v_lshlrev_b64 v[2:3], 3, v[0:1]
	s_sub_u32 s16, s17, s16
	s_mov_b32 s5, 0
	s_subb_u32 s17, 0, 0
	s_waitcnt lgkmcnt(0)
	s_lshl_b32 s4, s0, 10
	s_lshl_b64 s[10:11], s[4:5], 3
	s_inst_prefetch 0x1
	.p2align	6
.LBB182_8:                              ; =>This Inner Loop Header: Depth=1
	v_add_co_u32 v4, vcc_lo, s2, v2
	v_add_co_ci_u32_e64 v5, null, s3, v3, vcc_lo
	v_add_co_u32 v6, vcc_lo, s8, v2
	v_add_co_ci_u32_e64 v7, null, s9, v3, vcc_lo
	global_load_dwordx2 v[4:5], v[4:5], off
	global_load_dwordx2 v[6:7], v[6:7], off
	v_add_co_u32 v8, vcc_lo, s12, v2
	v_add_co_ci_u32_e64 v9, null, s13, v3, vcc_lo
	v_add_co_u32 v0, vcc_lo, v0, s4
	v_add_co_ci_u32_e64 v1, null, 0, v1, vcc_lo
	;; [unrolled: 2-line block ×3, first 2 shown]
	v_cmp_le_i64_e64 s0, s[6:7], v[0:1]
	v_add_co_u32 v2, vcc_lo, v2, s10
	v_add_co_ci_u32_e64 v3, null, s11, v3, vcc_lo
	s_or_b32 s5, s0, s5
	s_waitcnt vmcnt(1)
	v_add_co_u32 v4, s1, s16, v4
	v_add_co_ci_u32_e64 v5, null, s17, v5, s1
	s_waitcnt vmcnt(0)
	global_store_dwordx2 v[10:11], v[6:7], off
	global_store_dwordx2 v[8:9], v[4:5], off
	s_andn2_b32 exec_lo, exec_lo, s5
	s_cbranch_execnz .LBB182_8
.LBB182_9:
	s_inst_prefetch 0x2
	s_endpgm
	.section	.rodata,"a",@progbits
	.p2align	6, 0x0
	.amdhsa_kernel _ZN9rocsparseL35bsr2csr_block_dim_equals_one_kernelILj1024E21rocsparse_complex_numIfEilEEvT2_S3_21rocsparse_index_base_PKT0_PKT1_PKS3_S4_PS5_PS8_PS3_
		.amdhsa_group_segment_fixed_size 0
		.amdhsa_private_segment_fixed_size 0
		.amdhsa_kernarg_size 336
		.amdhsa_user_sgpr_count 6
		.amdhsa_user_sgpr_private_segment_buffer 1
		.amdhsa_user_sgpr_dispatch_ptr 0
		.amdhsa_user_sgpr_queue_ptr 0
		.amdhsa_user_sgpr_kernarg_segment_ptr 1
		.amdhsa_user_sgpr_dispatch_id 0
		.amdhsa_user_sgpr_flat_scratch_init 0
		.amdhsa_user_sgpr_private_segment_size 0
		.amdhsa_wavefront_size32 1
		.amdhsa_uses_dynamic_stack 0
		.amdhsa_system_sgpr_private_segment_wavefront_offset 0
		.amdhsa_system_sgpr_workgroup_id_x 1
		.amdhsa_system_sgpr_workgroup_id_y 0
		.amdhsa_system_sgpr_workgroup_id_z 0
		.amdhsa_system_sgpr_workgroup_info 0
		.amdhsa_system_vgpr_workitem_id 0
		.amdhsa_next_free_vgpr 12
		.amdhsa_next_free_sgpr 22
		.amdhsa_reserve_vcc 1
		.amdhsa_reserve_flat_scratch 0
		.amdhsa_float_round_mode_32 0
		.amdhsa_float_round_mode_16_64 0
		.amdhsa_float_denorm_mode_32 3
		.amdhsa_float_denorm_mode_16_64 3
		.amdhsa_dx10_clamp 1
		.amdhsa_ieee_mode 1
		.amdhsa_fp16_overflow 0
		.amdhsa_workgroup_processor_mode 1
		.amdhsa_memory_ordered 1
		.amdhsa_forward_progress 1
		.amdhsa_shared_vgpr_count 0
		.amdhsa_exception_fp_ieee_invalid_op 0
		.amdhsa_exception_fp_denorm_src 0
		.amdhsa_exception_fp_ieee_div_zero 0
		.amdhsa_exception_fp_ieee_overflow 0
		.amdhsa_exception_fp_ieee_underflow 0
		.amdhsa_exception_fp_ieee_inexact 0
		.amdhsa_exception_int_div_zero 0
	.end_amdhsa_kernel
	.section	.text._ZN9rocsparseL35bsr2csr_block_dim_equals_one_kernelILj1024E21rocsparse_complex_numIfEilEEvT2_S3_21rocsparse_index_base_PKT0_PKT1_PKS3_S4_PS5_PS8_PS3_,"axG",@progbits,_ZN9rocsparseL35bsr2csr_block_dim_equals_one_kernelILj1024E21rocsparse_complex_numIfEilEEvT2_S3_21rocsparse_index_base_PKT0_PKT1_PKS3_S4_PS5_PS8_PS3_,comdat
.Lfunc_end182:
	.size	_ZN9rocsparseL35bsr2csr_block_dim_equals_one_kernelILj1024E21rocsparse_complex_numIfEilEEvT2_S3_21rocsparse_index_base_PKT0_PKT1_PKS3_S4_PS5_PS8_PS3_, .Lfunc_end182-_ZN9rocsparseL35bsr2csr_block_dim_equals_one_kernelILj1024E21rocsparse_complex_numIfEilEEvT2_S3_21rocsparse_index_base_PKT0_PKT1_PKS3_S4_PS5_PS8_PS3_
                                        ; -- End function
	.set _ZN9rocsparseL35bsr2csr_block_dim_equals_one_kernelILj1024E21rocsparse_complex_numIfEilEEvT2_S3_21rocsparse_index_base_PKT0_PKT1_PKS3_S4_PS5_PS8_PS3_.num_vgpr, 12
	.set _ZN9rocsparseL35bsr2csr_block_dim_equals_one_kernelILj1024E21rocsparse_complex_numIfEilEEvT2_S3_21rocsparse_index_base_PKT0_PKT1_PKS3_S4_PS5_PS8_PS3_.num_agpr, 0
	.set _ZN9rocsparseL35bsr2csr_block_dim_equals_one_kernelILj1024E21rocsparse_complex_numIfEilEEvT2_S3_21rocsparse_index_base_PKT0_PKT1_PKS3_S4_PS5_PS8_PS3_.numbered_sgpr, 22
	.set _ZN9rocsparseL35bsr2csr_block_dim_equals_one_kernelILj1024E21rocsparse_complex_numIfEilEEvT2_S3_21rocsparse_index_base_PKT0_PKT1_PKS3_S4_PS5_PS8_PS3_.num_named_barrier, 0
	.set _ZN9rocsparseL35bsr2csr_block_dim_equals_one_kernelILj1024E21rocsparse_complex_numIfEilEEvT2_S3_21rocsparse_index_base_PKT0_PKT1_PKS3_S4_PS5_PS8_PS3_.private_seg_size, 0
	.set _ZN9rocsparseL35bsr2csr_block_dim_equals_one_kernelILj1024E21rocsparse_complex_numIfEilEEvT2_S3_21rocsparse_index_base_PKT0_PKT1_PKS3_S4_PS5_PS8_PS3_.uses_vcc, 1
	.set _ZN9rocsparseL35bsr2csr_block_dim_equals_one_kernelILj1024E21rocsparse_complex_numIfEilEEvT2_S3_21rocsparse_index_base_PKT0_PKT1_PKS3_S4_PS5_PS8_PS3_.uses_flat_scratch, 0
	.set _ZN9rocsparseL35bsr2csr_block_dim_equals_one_kernelILj1024E21rocsparse_complex_numIfEilEEvT2_S3_21rocsparse_index_base_PKT0_PKT1_PKS3_S4_PS5_PS8_PS3_.has_dyn_sized_stack, 0
	.set _ZN9rocsparseL35bsr2csr_block_dim_equals_one_kernelILj1024E21rocsparse_complex_numIfEilEEvT2_S3_21rocsparse_index_base_PKT0_PKT1_PKS3_S4_PS5_PS8_PS3_.has_recursion, 0
	.set _ZN9rocsparseL35bsr2csr_block_dim_equals_one_kernelILj1024E21rocsparse_complex_numIfEilEEvT2_S3_21rocsparse_index_base_PKT0_PKT1_PKS3_S4_PS5_PS8_PS3_.has_indirect_call, 0
	.section	.AMDGPU.csdata,"",@progbits
; Kernel info:
; codeLenInByte = 564
; TotalNumSgprs: 24
; NumVgprs: 12
; ScratchSize: 0
; MemoryBound: 0
; FloatMode: 240
; IeeeMode: 1
; LDSByteSize: 0 bytes/workgroup (compile time only)
; SGPRBlocks: 0
; VGPRBlocks: 1
; NumSGPRsForWavesPerEU: 24
; NumVGPRsForWavesPerEU: 12
; Occupancy: 16
; WaveLimiterHint : 0
; COMPUTE_PGM_RSRC2:SCRATCH_EN: 0
; COMPUTE_PGM_RSRC2:USER_SGPR: 6
; COMPUTE_PGM_RSRC2:TRAP_HANDLER: 0
; COMPUTE_PGM_RSRC2:TGID_X_EN: 1
; COMPUTE_PGM_RSRC2:TGID_Y_EN: 0
; COMPUTE_PGM_RSRC2:TGID_Z_EN: 0
; COMPUTE_PGM_RSRC2:TIDIG_COMP_CNT: 0
	.section	.text._ZN9rocsparseL32bsr2csr_block_per_row_2_7_kernelILj256ELj2E21rocsparse_complex_numIfEilEEv20rocsparse_direction_T3_S4_21rocsparse_index_base_PKT1_PKT2_PKS4_S4_S5_PS6_PS9_PS4_,"axG",@progbits,_ZN9rocsparseL32bsr2csr_block_per_row_2_7_kernelILj256ELj2E21rocsparse_complex_numIfEilEEv20rocsparse_direction_T3_S4_21rocsparse_index_base_PKT1_PKT2_PKS4_S4_S5_PS6_PS9_PS4_,comdat
	.globl	_ZN9rocsparseL32bsr2csr_block_per_row_2_7_kernelILj256ELj2E21rocsparse_complex_numIfEilEEv20rocsparse_direction_T3_S4_21rocsparse_index_base_PKT1_PKT2_PKS4_S4_S5_PS6_PS9_PS4_ ; -- Begin function _ZN9rocsparseL32bsr2csr_block_per_row_2_7_kernelILj256ELj2E21rocsparse_complex_numIfEilEEv20rocsparse_direction_T3_S4_21rocsparse_index_base_PKT1_PKT2_PKS4_S4_S5_PS6_PS9_PS4_
	.p2align	8
	.type	_ZN9rocsparseL32bsr2csr_block_per_row_2_7_kernelILj256ELj2E21rocsparse_complex_numIfEilEEv20rocsparse_direction_T3_S4_21rocsparse_index_base_PKT1_PKT2_PKS4_S4_S5_PS6_PS9_PS4_,@function
_ZN9rocsparseL32bsr2csr_block_per_row_2_7_kernelILj256ELj2E21rocsparse_complex_numIfEilEEv20rocsparse_direction_T3_S4_21rocsparse_index_base_PKT1_PKT2_PKS4_S4_S5_PS6_PS9_PS4_: ; @_ZN9rocsparseL32bsr2csr_block_per_row_2_7_kernelILj256ELj2E21rocsparse_complex_numIfEilEEv20rocsparse_direction_T3_S4_21rocsparse_index_base_PKT1_PKT2_PKS4_S4_S5_PS6_PS9_PS4_
; %bb.0:
	s_load_dwordx2 s[0:1], s[4:5], 0x28
	s_mov_b32 s7, 0
	s_clause 0x1
	s_load_dword s12, s[4:5], 0x40
	s_load_dwordx2 s[2:3], s[4:5], 0x50
	s_lshl_b64 s[8:9], s[6:7], 2
	v_or_b32_e32 v1, s6, v0
	s_waitcnt lgkmcnt(0)
	s_add_u32 s0, s0, s8
	s_addc_u32 s1, s1, s9
	s_mov_b32 s8, exec_lo
	s_load_dwordx2 s[0:1], s[0:1], 0x0
	v_cmpx_eq_u32_e32 0, v1
	s_cbranch_execz .LBB183_2
; %bb.1:
	v_mov_b32_e32 v1, 0
	v_mov_b32_e32 v2, s12
	global_store_dword v1, v2, s[2:3]
.LBB183_2:
	s_or_b32 exec_lo, exec_lo, s8
	s_load_dword s13, s[4:5], 0x18
	v_and_b32_e32 v8, 1, v0
	v_lshrrev_b32_e32 v2, 1, v0
	s_lshl_b64 s[6:7], s[6:7], 3
	v_lshlrev_b32_e32 v4, 2, v8
	s_waitcnt lgkmcnt(0)
	s_sub_i32 s8, s0, s13
	s_sub_i32 s14, s1, s13
	s_lshl_b32 s9, s8, 2
	s_sub_i32 s1, s14, s8
	v_add_nc_u32_e32 v0, s8, v2
	s_lshl_b32 s1, s1, 1
	v_mul_lo_u32 v1, s1, v8
	s_add_i32 s1, s1, s12
	s_add_u32 s2, s2, s6
	s_addc_u32 s3, s3, s7
	v_add3_u32 v3, s1, s9, v1
	s_mov_b32 s1, exec_lo
	global_store_dword v4, v3, s[2:3] offset:4
	v_cmpx_gt_i32_e64 s14, v0
	s_cbranch_execz .LBB183_5
; %bb.3:
	s_clause 0x4
	s_load_dwordx2 s[6:7], s[4:5], 0x30
	s_load_dwordx2 s[8:9], s[4:5], 0x48
	s_load_dword s1, s[4:5], 0x0
	s_load_dwordx2 s[10:11], s[4:5], 0x20
	s_load_dwordx2 s[4:5], s[4:5], 0x58
	v_lshlrev_b32_e32 v2, 1, v2
	v_lshlrev_b32_e32 v4, 4, v8
	v_mov_b32_e32 v3, 0
	v_lshlrev_b32_e32 v6, 2, v0
	s_mov_b32 s3, 0
	s_waitcnt lgkmcnt(0)
	s_cmp_eq_u32 s1, 0
	s_cselect_b32 vcc_lo, -1, 0
	s_lshl_b32 s0, s0, 2
	s_lshl_b32 s1, s13, 2
	v_add3_u32 v1, v1, s0, v2
	v_add_co_u32 v9, s0, s10, v4
	v_add_co_ci_u32_e64 v10, null, s11, 0, s0
	v_subrev_nc_u32_e32 v4, s1, v1
.LBB183_4:                              ; =>This Inner Loop Header: Depth=1
	v_ashrrev_i32_e32 v1, 31, v0
	v_mov_b32_e32 v7, v3
	v_add_nc_u32_e32 v2, v8, v6
	v_lshlrev_b64 v[11:12], 3, v[0:1]
	v_lshlrev_b64 v[13:14], 3, v[6:7]
	;; [unrolled: 1-line block ×3, first 2 shown]
	v_add_nc_u32_e32 v0, 0x80, v0
	v_add_nc_u32_e32 v6, 0x200, v6
	v_add_co_u32 v11, s0, s6, v11
	v_add_co_ci_u32_e64 v12, null, s7, v12, s0
	v_add_co_u32 v5, s1, v9, v13
	v_add_co_u32 v1, s0, s10, v1
	global_load_dwordx2 v[15:16], v[11:12], off
	v_add_co_ci_u32_e64 v7, null, v10, v14, s1
	v_add_co_ci_u32_e64 v2, null, s11, v2, s0
	v_add_co_u32 v11, s0, v5, 8
	v_add_co_ci_u32_e64 v12, null, 0, v7, s0
	v_add_co_u32 v13, s0, v1, 16
	v_add_co_ci_u32_e64 v14, null, 0, v2, s0
	v_cndmask_b32_e32 v2, v2, v7, vcc_lo
	v_cndmask_b32_e32 v1, v1, v5, vcc_lo
	;; [unrolled: 1-line block ×4, first 2 shown]
	global_load_dwordx2 v[11:12], v[1:2], off
	global_load_dwordx2 v[13:14], v[13:14], off
	v_ashrrev_i32_e32 v5, 31, v4
	v_cmp_le_i32_e64 s0, s14, v0
	v_lshlrev_b64 v[1:2], 3, v[4:5]
	v_add_nc_u32_e32 v4, 0x100, v4
	s_or_b32 s3, s0, s3
	v_add_co_u32 v19, s1, s4, v1
	v_add_co_ci_u32_e64 v20, null, s5, v2, s1
	v_add_co_u32 v1, s1, s8, v1
	v_add_co_ci_u32_e64 v2, null, s9, v2, s1
	s_waitcnt vmcnt(2)
	v_sub_co_u32 v15, s2, v15, s13
	v_subrev_co_ci_u32_e64 v16, null, 0, v16, s2
	v_lshlrev_b64 v[15:16], 1, v[15:16]
	v_add_co_u32 v15, s2, v15, s12
	v_add_co_ci_u32_e64 v16, null, 0, v16, s2
	v_add_co_u32 v17, s1, v15, 1
	v_add_co_ci_u32_e64 v18, null, 0, v16, s1
	s_waitcnt vmcnt(0)
	global_store_dwordx4 v[1:2], v[11:14], off
	global_store_dwordx4 v[19:20], v[15:18], off
	s_andn2_b32 exec_lo, exec_lo, s3
	s_cbranch_execnz .LBB183_4
.LBB183_5:
	s_endpgm
	.section	.rodata,"a",@progbits
	.p2align	6, 0x0
	.amdhsa_kernel _ZN9rocsparseL32bsr2csr_block_per_row_2_7_kernelILj256ELj2E21rocsparse_complex_numIfEilEEv20rocsparse_direction_T3_S4_21rocsparse_index_base_PKT1_PKT2_PKS4_S4_S5_PS6_PS9_PS4_
		.amdhsa_group_segment_fixed_size 0
		.amdhsa_private_segment_fixed_size 0
		.amdhsa_kernarg_size 96
		.amdhsa_user_sgpr_count 6
		.amdhsa_user_sgpr_private_segment_buffer 1
		.amdhsa_user_sgpr_dispatch_ptr 0
		.amdhsa_user_sgpr_queue_ptr 0
		.amdhsa_user_sgpr_kernarg_segment_ptr 1
		.amdhsa_user_sgpr_dispatch_id 0
		.amdhsa_user_sgpr_flat_scratch_init 0
		.amdhsa_user_sgpr_private_segment_size 0
		.amdhsa_wavefront_size32 1
		.amdhsa_uses_dynamic_stack 0
		.amdhsa_system_sgpr_private_segment_wavefront_offset 0
		.amdhsa_system_sgpr_workgroup_id_x 1
		.amdhsa_system_sgpr_workgroup_id_y 0
		.amdhsa_system_sgpr_workgroup_id_z 0
		.amdhsa_system_sgpr_workgroup_info 0
		.amdhsa_system_vgpr_workitem_id 0
		.amdhsa_next_free_vgpr 21
		.amdhsa_next_free_sgpr 15
		.amdhsa_reserve_vcc 1
		.amdhsa_reserve_flat_scratch 0
		.amdhsa_float_round_mode_32 0
		.amdhsa_float_round_mode_16_64 0
		.amdhsa_float_denorm_mode_32 3
		.amdhsa_float_denorm_mode_16_64 3
		.amdhsa_dx10_clamp 1
		.amdhsa_ieee_mode 1
		.amdhsa_fp16_overflow 0
		.amdhsa_workgroup_processor_mode 1
		.amdhsa_memory_ordered 1
		.amdhsa_forward_progress 1
		.amdhsa_shared_vgpr_count 0
		.amdhsa_exception_fp_ieee_invalid_op 0
		.amdhsa_exception_fp_denorm_src 0
		.amdhsa_exception_fp_ieee_div_zero 0
		.amdhsa_exception_fp_ieee_overflow 0
		.amdhsa_exception_fp_ieee_underflow 0
		.amdhsa_exception_fp_ieee_inexact 0
		.amdhsa_exception_int_div_zero 0
	.end_amdhsa_kernel
	.section	.text._ZN9rocsparseL32bsr2csr_block_per_row_2_7_kernelILj256ELj2E21rocsparse_complex_numIfEilEEv20rocsparse_direction_T3_S4_21rocsparse_index_base_PKT1_PKT2_PKS4_S4_S5_PS6_PS9_PS4_,"axG",@progbits,_ZN9rocsparseL32bsr2csr_block_per_row_2_7_kernelILj256ELj2E21rocsparse_complex_numIfEilEEv20rocsparse_direction_T3_S4_21rocsparse_index_base_PKT1_PKT2_PKS4_S4_S5_PS6_PS9_PS4_,comdat
.Lfunc_end183:
	.size	_ZN9rocsparseL32bsr2csr_block_per_row_2_7_kernelILj256ELj2E21rocsparse_complex_numIfEilEEv20rocsparse_direction_T3_S4_21rocsparse_index_base_PKT1_PKT2_PKS4_S4_S5_PS6_PS9_PS4_, .Lfunc_end183-_ZN9rocsparseL32bsr2csr_block_per_row_2_7_kernelILj256ELj2E21rocsparse_complex_numIfEilEEv20rocsparse_direction_T3_S4_21rocsparse_index_base_PKT1_PKT2_PKS4_S4_S5_PS6_PS9_PS4_
                                        ; -- End function
	.set _ZN9rocsparseL32bsr2csr_block_per_row_2_7_kernelILj256ELj2E21rocsparse_complex_numIfEilEEv20rocsparse_direction_T3_S4_21rocsparse_index_base_PKT1_PKT2_PKS4_S4_S5_PS6_PS9_PS4_.num_vgpr, 21
	.set _ZN9rocsparseL32bsr2csr_block_per_row_2_7_kernelILj256ELj2E21rocsparse_complex_numIfEilEEv20rocsparse_direction_T3_S4_21rocsparse_index_base_PKT1_PKT2_PKS4_S4_S5_PS6_PS9_PS4_.num_agpr, 0
	.set _ZN9rocsparseL32bsr2csr_block_per_row_2_7_kernelILj256ELj2E21rocsparse_complex_numIfEilEEv20rocsparse_direction_T3_S4_21rocsparse_index_base_PKT1_PKT2_PKS4_S4_S5_PS6_PS9_PS4_.numbered_sgpr, 15
	.set _ZN9rocsparseL32bsr2csr_block_per_row_2_7_kernelILj256ELj2E21rocsparse_complex_numIfEilEEv20rocsparse_direction_T3_S4_21rocsparse_index_base_PKT1_PKT2_PKS4_S4_S5_PS6_PS9_PS4_.num_named_barrier, 0
	.set _ZN9rocsparseL32bsr2csr_block_per_row_2_7_kernelILj256ELj2E21rocsparse_complex_numIfEilEEv20rocsparse_direction_T3_S4_21rocsparse_index_base_PKT1_PKT2_PKS4_S4_S5_PS6_PS9_PS4_.private_seg_size, 0
	.set _ZN9rocsparseL32bsr2csr_block_per_row_2_7_kernelILj256ELj2E21rocsparse_complex_numIfEilEEv20rocsparse_direction_T3_S4_21rocsparse_index_base_PKT1_PKT2_PKS4_S4_S5_PS6_PS9_PS4_.uses_vcc, 1
	.set _ZN9rocsparseL32bsr2csr_block_per_row_2_7_kernelILj256ELj2E21rocsparse_complex_numIfEilEEv20rocsparse_direction_T3_S4_21rocsparse_index_base_PKT1_PKT2_PKS4_S4_S5_PS6_PS9_PS4_.uses_flat_scratch, 0
	.set _ZN9rocsparseL32bsr2csr_block_per_row_2_7_kernelILj256ELj2E21rocsparse_complex_numIfEilEEv20rocsparse_direction_T3_S4_21rocsparse_index_base_PKT1_PKT2_PKS4_S4_S5_PS6_PS9_PS4_.has_dyn_sized_stack, 0
	.set _ZN9rocsparseL32bsr2csr_block_per_row_2_7_kernelILj256ELj2E21rocsparse_complex_numIfEilEEv20rocsparse_direction_T3_S4_21rocsparse_index_base_PKT1_PKT2_PKS4_S4_S5_PS6_PS9_PS4_.has_recursion, 0
	.set _ZN9rocsparseL32bsr2csr_block_per_row_2_7_kernelILj256ELj2E21rocsparse_complex_numIfEilEEv20rocsparse_direction_T3_S4_21rocsparse_index_base_PKT1_PKT2_PKS4_S4_S5_PS6_PS9_PS4_.has_indirect_call, 0
	.section	.AMDGPU.csdata,"",@progbits
; Kernel info:
; codeLenInByte = 636
; TotalNumSgprs: 17
; NumVgprs: 21
; ScratchSize: 0
; MemoryBound: 0
; FloatMode: 240
; IeeeMode: 1
; LDSByteSize: 0 bytes/workgroup (compile time only)
; SGPRBlocks: 0
; VGPRBlocks: 2
; NumSGPRsForWavesPerEU: 17
; NumVGPRsForWavesPerEU: 21
; Occupancy: 16
; WaveLimiterHint : 0
; COMPUTE_PGM_RSRC2:SCRATCH_EN: 0
; COMPUTE_PGM_RSRC2:USER_SGPR: 6
; COMPUTE_PGM_RSRC2:TRAP_HANDLER: 0
; COMPUTE_PGM_RSRC2:TGID_X_EN: 1
; COMPUTE_PGM_RSRC2:TGID_Y_EN: 0
; COMPUTE_PGM_RSRC2:TGID_Z_EN: 0
; COMPUTE_PGM_RSRC2:TIDIG_COMP_CNT: 0
	.section	.text._ZN9rocsparseL32bsr2csr_block_per_row_2_7_kernelILj256ELj3E21rocsparse_complex_numIfEilEEv20rocsparse_direction_T3_S4_21rocsparse_index_base_PKT1_PKT2_PKS4_S4_S5_PS6_PS9_PS4_,"axG",@progbits,_ZN9rocsparseL32bsr2csr_block_per_row_2_7_kernelILj256ELj3E21rocsparse_complex_numIfEilEEv20rocsparse_direction_T3_S4_21rocsparse_index_base_PKT1_PKT2_PKS4_S4_S5_PS6_PS9_PS4_,comdat
	.globl	_ZN9rocsparseL32bsr2csr_block_per_row_2_7_kernelILj256ELj3E21rocsparse_complex_numIfEilEEv20rocsparse_direction_T3_S4_21rocsparse_index_base_PKT1_PKT2_PKS4_S4_S5_PS6_PS9_PS4_ ; -- Begin function _ZN9rocsparseL32bsr2csr_block_per_row_2_7_kernelILj256ELj3E21rocsparse_complex_numIfEilEEv20rocsparse_direction_T3_S4_21rocsparse_index_base_PKT1_PKT2_PKS4_S4_S5_PS6_PS9_PS4_
	.p2align	8
	.type	_ZN9rocsparseL32bsr2csr_block_per_row_2_7_kernelILj256ELj3E21rocsparse_complex_numIfEilEEv20rocsparse_direction_T3_S4_21rocsparse_index_base_PKT1_PKT2_PKS4_S4_S5_PS6_PS9_PS4_,@function
_ZN9rocsparseL32bsr2csr_block_per_row_2_7_kernelILj256ELj3E21rocsparse_complex_numIfEilEEv20rocsparse_direction_T3_S4_21rocsparse_index_base_PKT1_PKT2_PKS4_S4_S5_PS6_PS9_PS4_: ; @_ZN9rocsparseL32bsr2csr_block_per_row_2_7_kernelILj256ELj3E21rocsparse_complex_numIfEilEEv20rocsparse_direction_T3_S4_21rocsparse_index_base_PKT1_PKT2_PKS4_S4_S5_PS6_PS9_PS4_
; %bb.0:
	s_clause 0x2
	s_load_dwordx2 s[2:3], s[4:5], 0x28
	s_load_dword s8, s[4:5], 0x40
	s_load_dwordx2 s[0:1], s[4:5], 0x50
	s_mov_b32 s7, 0
	v_or_b32_e32 v1, s6, v0
	s_lshl_b64 s[10:11], s[6:7], 2
	s_mov_b32 s7, exec_lo
	s_waitcnt lgkmcnt(0)
	s_add_u32 s2, s2, s10
	s_addc_u32 s3, s3, s11
	v_cmpx_eq_u32_e32 0, v1
	s_cbranch_execz .LBB184_2
; %bb.1:
	v_mov_b32_e32 v1, 0
	v_mov_b32_e32 v2, s8
	global_store_dword v1, v2, s[0:1]
.LBB184_2:
	s_or_b32 exec_lo, exec_lo, s7
	v_and_b32_e32 v1, 3, v0
	s_mov_b32 s7, exec_lo
	v_cmpx_ne_u32_e32 3, v1
	s_cbranch_execz .LBB184_6
; %bb.3:
	s_load_dwordx2 s[2:3], s[2:3], 0x0
	s_load_dword s12, s[4:5], 0x18
	v_lshrrev_b32_e32 v2, 2, v0
	s_mul_hi_u32 s10, s6, 12
	s_mul_i32 s6, s6, 12
	v_lshlrev_b32_e32 v5, 2, v1
	s_waitcnt lgkmcnt(0)
	s_sub_i32 s7, s2, s12
	s_sub_i32 s3, s3, s12
	v_add_nc_u32_e32 v0, s7, v2
	s_sub_i32 s9, s3, s7
	s_mul_i32 s11, s7, 9
	s_mul_i32 s9, s9, 3
	v_mul_lo_u32 v4, s9, v1
	s_add_i32 s9, s9, s8
	v_cmp_gt_i32_e32 vcc_lo, s3, v0
	s_add_u32 s0, s0, s6
	s_addc_u32 s1, s1, s10
	v_add3_u32 v3, s9, s11, v4
	global_store_dword v5, v3, s[0:1] offset:4
	s_and_b32 exec_lo, exec_lo, vcc_lo
	s_cbranch_execz .LBB184_6
; %bb.4:
	s_clause 0x4
	s_load_dwordx2 s[0:1], s[4:5], 0x20
	s_load_dwordx2 s[6:7], s[4:5], 0x30
	;; [unrolled: 1-line block ×3, first 2 shown]
	s_load_dword s9, s[4:5], 0x0
	s_load_dwordx2 s[4:5], s[4:5], 0x58
	v_lshlrev_b32_e32 v5, 3, v1
	v_mul_u32_u24_e32 v6, 3, v2
	s_mul_i32 s2, s2, 9
	v_lshlrev_b32_e32 v1, 4, v1
	s_mul_i32 s13, s12, 9
	v_mov_b32_e32 v3, 0
	v_add3_u32 v4, v4, s2, v6
	v_lshl_add_u32 v2, v0, 3, v0
	v_subrev_nc_u32_e32 v4, s13, v4
	s_waitcnt lgkmcnt(0)
	v_add_co_u32 v6, s0, s0, v5
	v_add_co_ci_u32_e64 v7, null, s1, 0, s0
	s_cmp_eq_u32 s9, 0
	v_add_co_u32 v8, vcc_lo, v6, v1
	v_add_co_ci_u32_e64 v9, null, 0, v7, vcc_lo
	s_mov_b32 s9, 0
	s_cselect_b32 vcc_lo, -1, 0
	s_mov_b32 s13, s9
.LBB184_5:                              ; =>This Inner Loop Header: Depth=1
	v_ashrrev_i32_e32 v1, 31, v0
	v_lshlrev_b64 v[10:11], 3, v[2:3]
	v_add_nc_u32_e32 v2, 0x240, v2
	v_lshlrev_b64 v[12:13], 3, v[0:1]
	v_add_nc_u32_e32 v0, 64, v0
	v_add_co_u32 v5, s1, v8, v10
	v_add_co_u32 v1, s0, v6, v10
	;; [unrolled: 1-line block ×3, first 2 shown]
	v_add_co_ci_u32_e64 v13, null, s7, v13, s2
	v_add_co_ci_u32_e64 v10, null, v9, v11, s1
	;; [unrolled: 1-line block ×3, first 2 shown]
	global_load_dwordx2 v[14:15], v[12:13], off
	v_add_co_u32 v12, s0, v5, 8
	v_add_co_ci_u32_e64 v13, null, 0, v10, s0
	v_add_co_u32 v16, s0, v1, 24
	v_add_co_ci_u32_e64 v17, null, 0, v11, s0
	;; [unrolled: 2-line block ×4, first 2 shown]
	v_cndmask_b32_e32 v11, v11, v10, vcc_lo
	v_cndmask_b32_e32 v10, v1, v5, vcc_lo
	v_cndmask_b32_e32 v13, v17, v13, vcc_lo
	v_cndmask_b32_e32 v12, v16, v12, vcc_lo
	v_cndmask_b32_e32 v17, v21, v19, vcc_lo
	v_cndmask_b32_e32 v16, v20, v18, vcc_lo
	global_load_dwordx2 v[10:11], v[10:11], off
	global_load_dwordx2 v[12:13], v[12:13], off
	;; [unrolled: 1-line block ×3, first 2 shown]
	v_ashrrev_i32_e32 v5, 31, v4
	v_cmp_le_i32_e64 s0, s3, v0
	v_lshlrev_b64 v[16:17], 3, v[4:5]
	v_add_nc_u32_e32 v4, 0xc0, v4
	s_or_b32 s13, s0, s13
	s_waitcnt vmcnt(3)
	v_sub_co_u32 v1, s1, v14, s12
	v_subrev_co_ci_u32_e64 v5, null, 0, v15, s1
	v_add_co_u32 v20, s1, s4, v16
	v_mad_u64_u32 v[14:15], null, v1, 3, s[8:9]
	v_add_co_ci_u32_e64 v21, null, s5, v17, s1
	v_add_co_u32 v22, s1, s10, v16
	v_add_co_ci_u32_e64 v23, null, s11, v17, s1
	v_mov_b32_e32 v1, v15
	v_add_co_u32 v24, s1, v14, 2
	v_mad_u64_u32 v[15:16], null, v5, 3, v[1:2]
	v_add_co_u32 v16, s2, v14, 1
	v_add_co_ci_u32_e64 v17, null, 0, v15, s2
	v_add_co_ci_u32_e64 v25, null, 0, v15, s1
	s_waitcnt vmcnt(1)
	global_store_dwordx4 v[22:23], v[10:13], off
	s_waitcnt vmcnt(0)
	global_store_dwordx2 v[22:23], v[18:19], off offset:16
	global_store_dwordx4 v[20:21], v[14:17], off
	global_store_dwordx2 v[20:21], v[24:25], off offset:16
	s_andn2_b32 exec_lo, exec_lo, s13
	s_cbranch_execnz .LBB184_5
.LBB184_6:
	s_endpgm
	.section	.rodata,"a",@progbits
	.p2align	6, 0x0
	.amdhsa_kernel _ZN9rocsparseL32bsr2csr_block_per_row_2_7_kernelILj256ELj3E21rocsparse_complex_numIfEilEEv20rocsparse_direction_T3_S4_21rocsparse_index_base_PKT1_PKT2_PKS4_S4_S5_PS6_PS9_PS4_
		.amdhsa_group_segment_fixed_size 0
		.amdhsa_private_segment_fixed_size 0
		.amdhsa_kernarg_size 96
		.amdhsa_user_sgpr_count 6
		.amdhsa_user_sgpr_private_segment_buffer 1
		.amdhsa_user_sgpr_dispatch_ptr 0
		.amdhsa_user_sgpr_queue_ptr 0
		.amdhsa_user_sgpr_kernarg_segment_ptr 1
		.amdhsa_user_sgpr_dispatch_id 0
		.amdhsa_user_sgpr_flat_scratch_init 0
		.amdhsa_user_sgpr_private_segment_size 0
		.amdhsa_wavefront_size32 1
		.amdhsa_uses_dynamic_stack 0
		.amdhsa_system_sgpr_private_segment_wavefront_offset 0
		.amdhsa_system_sgpr_workgroup_id_x 1
		.amdhsa_system_sgpr_workgroup_id_y 0
		.amdhsa_system_sgpr_workgroup_id_z 0
		.amdhsa_system_sgpr_workgroup_info 0
		.amdhsa_system_vgpr_workitem_id 0
		.amdhsa_next_free_vgpr 26
		.amdhsa_next_free_sgpr 14
		.amdhsa_reserve_vcc 1
		.amdhsa_reserve_flat_scratch 0
		.amdhsa_float_round_mode_32 0
		.amdhsa_float_round_mode_16_64 0
		.amdhsa_float_denorm_mode_32 3
		.amdhsa_float_denorm_mode_16_64 3
		.amdhsa_dx10_clamp 1
		.amdhsa_ieee_mode 1
		.amdhsa_fp16_overflow 0
		.amdhsa_workgroup_processor_mode 1
		.amdhsa_memory_ordered 1
		.amdhsa_forward_progress 1
		.amdhsa_shared_vgpr_count 0
		.amdhsa_exception_fp_ieee_invalid_op 0
		.amdhsa_exception_fp_denorm_src 0
		.amdhsa_exception_fp_ieee_div_zero 0
		.amdhsa_exception_fp_ieee_overflow 0
		.amdhsa_exception_fp_ieee_underflow 0
		.amdhsa_exception_fp_ieee_inexact 0
		.amdhsa_exception_int_div_zero 0
	.end_amdhsa_kernel
	.section	.text._ZN9rocsparseL32bsr2csr_block_per_row_2_7_kernelILj256ELj3E21rocsparse_complex_numIfEilEEv20rocsparse_direction_T3_S4_21rocsparse_index_base_PKT1_PKT2_PKS4_S4_S5_PS6_PS9_PS4_,"axG",@progbits,_ZN9rocsparseL32bsr2csr_block_per_row_2_7_kernelILj256ELj3E21rocsparse_complex_numIfEilEEv20rocsparse_direction_T3_S4_21rocsparse_index_base_PKT1_PKT2_PKS4_S4_S5_PS6_PS9_PS4_,comdat
.Lfunc_end184:
	.size	_ZN9rocsparseL32bsr2csr_block_per_row_2_7_kernelILj256ELj3E21rocsparse_complex_numIfEilEEv20rocsparse_direction_T3_S4_21rocsparse_index_base_PKT1_PKT2_PKS4_S4_S5_PS6_PS9_PS4_, .Lfunc_end184-_ZN9rocsparseL32bsr2csr_block_per_row_2_7_kernelILj256ELj3E21rocsparse_complex_numIfEilEEv20rocsparse_direction_T3_S4_21rocsparse_index_base_PKT1_PKT2_PKS4_S4_S5_PS6_PS9_PS4_
                                        ; -- End function
	.set _ZN9rocsparseL32bsr2csr_block_per_row_2_7_kernelILj256ELj3E21rocsparse_complex_numIfEilEEv20rocsparse_direction_T3_S4_21rocsparse_index_base_PKT1_PKT2_PKS4_S4_S5_PS6_PS9_PS4_.num_vgpr, 26
	.set _ZN9rocsparseL32bsr2csr_block_per_row_2_7_kernelILj256ELj3E21rocsparse_complex_numIfEilEEv20rocsparse_direction_T3_S4_21rocsparse_index_base_PKT1_PKT2_PKS4_S4_S5_PS6_PS9_PS4_.num_agpr, 0
	.set _ZN9rocsparseL32bsr2csr_block_per_row_2_7_kernelILj256ELj3E21rocsparse_complex_numIfEilEEv20rocsparse_direction_T3_S4_21rocsparse_index_base_PKT1_PKT2_PKS4_S4_S5_PS6_PS9_PS4_.numbered_sgpr, 14
	.set _ZN9rocsparseL32bsr2csr_block_per_row_2_7_kernelILj256ELj3E21rocsparse_complex_numIfEilEEv20rocsparse_direction_T3_S4_21rocsparse_index_base_PKT1_PKT2_PKS4_S4_S5_PS6_PS9_PS4_.num_named_barrier, 0
	.set _ZN9rocsparseL32bsr2csr_block_per_row_2_7_kernelILj256ELj3E21rocsparse_complex_numIfEilEEv20rocsparse_direction_T3_S4_21rocsparse_index_base_PKT1_PKT2_PKS4_S4_S5_PS6_PS9_PS4_.private_seg_size, 0
	.set _ZN9rocsparseL32bsr2csr_block_per_row_2_7_kernelILj256ELj3E21rocsparse_complex_numIfEilEEv20rocsparse_direction_T3_S4_21rocsparse_index_base_PKT1_PKT2_PKS4_S4_S5_PS6_PS9_PS4_.uses_vcc, 1
	.set _ZN9rocsparseL32bsr2csr_block_per_row_2_7_kernelILj256ELj3E21rocsparse_complex_numIfEilEEv20rocsparse_direction_T3_S4_21rocsparse_index_base_PKT1_PKT2_PKS4_S4_S5_PS6_PS9_PS4_.uses_flat_scratch, 0
	.set _ZN9rocsparseL32bsr2csr_block_per_row_2_7_kernelILj256ELj3E21rocsparse_complex_numIfEilEEv20rocsparse_direction_T3_S4_21rocsparse_index_base_PKT1_PKT2_PKS4_S4_S5_PS6_PS9_PS4_.has_dyn_sized_stack, 0
	.set _ZN9rocsparseL32bsr2csr_block_per_row_2_7_kernelILj256ELj3E21rocsparse_complex_numIfEilEEv20rocsparse_direction_T3_S4_21rocsparse_index_base_PKT1_PKT2_PKS4_S4_S5_PS6_PS9_PS4_.has_recursion, 0
	.set _ZN9rocsparseL32bsr2csr_block_per_row_2_7_kernelILj256ELj3E21rocsparse_complex_numIfEilEEv20rocsparse_direction_T3_S4_21rocsparse_index_base_PKT1_PKT2_PKS4_S4_S5_PS6_PS9_PS4_.has_indirect_call, 0
	.section	.AMDGPU.csdata,"",@progbits
; Kernel info:
; codeLenInByte = 736
; TotalNumSgprs: 16
; NumVgprs: 26
; ScratchSize: 0
; MemoryBound: 0
; FloatMode: 240
; IeeeMode: 1
; LDSByteSize: 0 bytes/workgroup (compile time only)
; SGPRBlocks: 0
; VGPRBlocks: 3
; NumSGPRsForWavesPerEU: 16
; NumVGPRsForWavesPerEU: 26
; Occupancy: 16
; WaveLimiterHint : 0
; COMPUTE_PGM_RSRC2:SCRATCH_EN: 0
; COMPUTE_PGM_RSRC2:USER_SGPR: 6
; COMPUTE_PGM_RSRC2:TRAP_HANDLER: 0
; COMPUTE_PGM_RSRC2:TGID_X_EN: 1
; COMPUTE_PGM_RSRC2:TGID_Y_EN: 0
; COMPUTE_PGM_RSRC2:TGID_Z_EN: 0
; COMPUTE_PGM_RSRC2:TIDIG_COMP_CNT: 0
	.section	.text._ZN9rocsparseL32bsr2csr_block_per_row_2_7_kernelILj256ELj4E21rocsparse_complex_numIfEilEEv20rocsparse_direction_T3_S4_21rocsparse_index_base_PKT1_PKT2_PKS4_S4_S5_PS6_PS9_PS4_,"axG",@progbits,_ZN9rocsparseL32bsr2csr_block_per_row_2_7_kernelILj256ELj4E21rocsparse_complex_numIfEilEEv20rocsparse_direction_T3_S4_21rocsparse_index_base_PKT1_PKT2_PKS4_S4_S5_PS6_PS9_PS4_,comdat
	.globl	_ZN9rocsparseL32bsr2csr_block_per_row_2_7_kernelILj256ELj4E21rocsparse_complex_numIfEilEEv20rocsparse_direction_T3_S4_21rocsparse_index_base_PKT1_PKT2_PKS4_S4_S5_PS6_PS9_PS4_ ; -- Begin function _ZN9rocsparseL32bsr2csr_block_per_row_2_7_kernelILj256ELj4E21rocsparse_complex_numIfEilEEv20rocsparse_direction_T3_S4_21rocsparse_index_base_PKT1_PKT2_PKS4_S4_S5_PS6_PS9_PS4_
	.p2align	8
	.type	_ZN9rocsparseL32bsr2csr_block_per_row_2_7_kernelILj256ELj4E21rocsparse_complex_numIfEilEEv20rocsparse_direction_T3_S4_21rocsparse_index_base_PKT1_PKT2_PKS4_S4_S5_PS6_PS9_PS4_,@function
_ZN9rocsparseL32bsr2csr_block_per_row_2_7_kernelILj256ELj4E21rocsparse_complex_numIfEilEEv20rocsparse_direction_T3_S4_21rocsparse_index_base_PKT1_PKT2_PKS4_S4_S5_PS6_PS9_PS4_: ; @_ZN9rocsparseL32bsr2csr_block_per_row_2_7_kernelILj256ELj4E21rocsparse_complex_numIfEilEEv20rocsparse_direction_T3_S4_21rocsparse_index_base_PKT1_PKT2_PKS4_S4_S5_PS6_PS9_PS4_
; %bb.0:
	s_load_dwordx2 s[0:1], s[4:5], 0x28
	s_mov_b32 s7, 0
	s_clause 0x1
	s_load_dword s10, s[4:5], 0x40
	s_load_dwordx2 s[2:3], s[4:5], 0x50
	s_lshl_b64 s[8:9], s[6:7], 2
	v_or_b32_e32 v1, s6, v0
	s_waitcnt lgkmcnt(0)
	s_add_u32 s0, s0, s8
	s_addc_u32 s1, s1, s9
	s_mov_b32 s8, exec_lo
	s_load_dwordx2 s[0:1], s[0:1], 0x0
	v_cmpx_eq_u32_e32 0, v1
	s_cbranch_execz .LBB185_2
; %bb.1:
	v_mov_b32_e32 v1, 0
	v_mov_b32_e32 v2, s10
	global_store_dword v1, v2, s[2:3]
.LBB185_2:
	s_or_b32 exec_lo, exec_lo, s8
	s_load_dword s11, s[4:5], 0x18
	v_and_b32_e32 v8, 3, v0
	v_lshrrev_b32_e32 v2, 2, v0
	s_lshl_b64 s[6:7], s[6:7], 4
	v_lshlrev_b32_e32 v4, 2, v8
	s_waitcnt lgkmcnt(0)
	s_sub_i32 s8, s0, s11
	s_sub_i32 s12, s1, s11
	s_lshl_b32 s9, s8, 4
	s_sub_i32 s1, s12, s8
	v_add_nc_u32_e32 v0, s8, v2
	s_lshl_b32 s1, s1, 2
	v_mul_lo_u32 v1, s1, v8
	s_add_i32 s1, s1, s10
	s_add_u32 s2, s2, s6
	s_addc_u32 s3, s3, s7
	v_add3_u32 v3, s1, s9, v1
	s_mov_b32 s1, exec_lo
	global_store_dword v4, v3, s[2:3] offset:4
	v_cmpx_gt_i32_e64 s12, v0
	s_cbranch_execz .LBB185_5
; %bb.3:
	s_clause 0x4
	s_load_dwordx2 s[2:3], s[4:5], 0x30
	s_load_dwordx2 s[6:7], s[4:5], 0x48
	s_load_dword s1, s[4:5], 0x0
	s_load_dwordx2 s[8:9], s[4:5], 0x20
	s_load_dwordx2 s[4:5], s[4:5], 0x58
	v_lshlrev_b32_e32 v2, 2, v2
	v_lshlrev_b32_e32 v4, 5, v8
	v_mov_b32_e32 v3, 0
	v_lshlrev_b32_e32 v6, 4, v0
	s_mov_b32 s13, 0
	s_waitcnt lgkmcnt(0)
	s_cmp_eq_u32 s1, 0
	s_cselect_b32 vcc_lo, -1, 0
	s_lshl_b32 s0, s0, 4
	s_lshl_b32 s1, s11, 4
	v_add3_u32 v1, v1, s0, v2
	v_add_co_u32 v9, s0, s8, v4
	v_add_co_ci_u32_e64 v10, null, s9, 0, s0
	v_subrev_nc_u32_e32 v4, s1, v1
.LBB185_4:                              ; =>This Inner Loop Header: Depth=1
	v_ashrrev_i32_e32 v1, 31, v0
	v_add_nc_u32_e32 v2, v8, v6
	v_mov_b32_e32 v7, v3
	v_lshlrev_b64 v[11:12], 3, v[0:1]
	v_lshlrev_b64 v[1:2], 3, v[2:3]
	;; [unrolled: 1-line block ×3, first 2 shown]
	v_add_nc_u32_e32 v0, 64, v0
	v_add_nc_u32_e32 v6, 0x400, v6
	v_add_co_u32 v11, s0, s2, v11
	v_add_co_ci_u32_e64 v12, null, s3, v12, s0
	v_add_co_u32 v5, s0, s8, v1
	v_add_co_ci_u32_e64 v7, null, s9, v2, s0
	global_load_dwordx2 v[1:2], v[11:12], off
	v_add_co_u32 v13, s0, v9, v13
	v_add_co_ci_u32_e64 v14, null, v10, v14, s0
	v_add_co_u32 v15, s0, v13, 8
	v_add_co_ci_u32_e64 v16, null, 0, v14, s0
	;; [unrolled: 2-line block ×5, first 2 shown]
	v_add_co_u32 v23, s0, v13, 24
	v_cndmask_b32_e32 v11, v5, v13, vcc_lo
	v_add_co_ci_u32_e64 v24, null, 0, v14, s0
	v_add_co_u32 v5, s0, 0x60, v5
	v_cndmask_b32_e32 v12, v7, v14, vcc_lo
	v_add_co_ci_u32_e64 v7, null, 0, v7, s0
	v_cndmask_b32_e32 v14, v18, v16, vcc_lo
	v_cndmask_b32_e32 v13, v17, v15, vcc_lo
	;; [unrolled: 1-line block ×6, first 2 shown]
	global_load_dwordx2 v[11:12], v[11:12], off
	global_load_dwordx2 v[13:14], v[13:14], off
	;; [unrolled: 1-line block ×4, first 2 shown]
	v_ashrrev_i32_e32 v5, 31, v4
	v_cmp_le_i32_e64 s0, s12, v0
	v_lshlrev_b64 v[19:20], 3, v[4:5]
	v_add_nc_u32_e32 v4, 0x100, v4
	s_or_b32 s13, s0, s13
	v_add_co_u32 v27, s1, s4, v19
	v_add_co_ci_u32_e64 v28, null, s5, v20, s1
	v_add_co_u32 v29, s1, s6, v19
	v_add_co_ci_u32_e64 v30, null, s7, v20, s1
	s_waitcnt vmcnt(4)
	v_sub_co_u32 v1, s1, v1, s11
	v_subrev_co_ci_u32_e64 v2, null, 0, v2, s1
	v_lshlrev_b64 v[1:2], 2, v[1:2]
	v_add_co_u32 v19, s1, v1, s10
	v_add_co_ci_u32_e64 v20, null, 0, v2, s1
	v_add_co_u32 v21, s1, v19, 1
	v_add_co_ci_u32_e64 v22, null, 0, v20, s1
	;; [unrolled: 2-line block ×4, first 2 shown]
	s_waitcnt vmcnt(2)
	global_store_dwordx4 v[29:30], v[11:14], off
	s_waitcnt vmcnt(0)
	global_store_dwordx4 v[29:30], v[15:18], off offset:16
	global_store_dwordx4 v[27:28], v[19:22], off
	global_store_dwordx4 v[27:28], v[23:26], off offset:16
	s_andn2_b32 exec_lo, exec_lo, s13
	s_cbranch_execnz .LBB185_4
.LBB185_5:
	s_endpgm
	.section	.rodata,"a",@progbits
	.p2align	6, 0x0
	.amdhsa_kernel _ZN9rocsparseL32bsr2csr_block_per_row_2_7_kernelILj256ELj4E21rocsparse_complex_numIfEilEEv20rocsparse_direction_T3_S4_21rocsparse_index_base_PKT1_PKT2_PKS4_S4_S5_PS6_PS9_PS4_
		.amdhsa_group_segment_fixed_size 0
		.amdhsa_private_segment_fixed_size 0
		.amdhsa_kernarg_size 96
		.amdhsa_user_sgpr_count 6
		.amdhsa_user_sgpr_private_segment_buffer 1
		.amdhsa_user_sgpr_dispatch_ptr 0
		.amdhsa_user_sgpr_queue_ptr 0
		.amdhsa_user_sgpr_kernarg_segment_ptr 1
		.amdhsa_user_sgpr_dispatch_id 0
		.amdhsa_user_sgpr_flat_scratch_init 0
		.amdhsa_user_sgpr_private_segment_size 0
		.amdhsa_wavefront_size32 1
		.amdhsa_uses_dynamic_stack 0
		.amdhsa_system_sgpr_private_segment_wavefront_offset 0
		.amdhsa_system_sgpr_workgroup_id_x 1
		.amdhsa_system_sgpr_workgroup_id_y 0
		.amdhsa_system_sgpr_workgroup_id_z 0
		.amdhsa_system_sgpr_workgroup_info 0
		.amdhsa_system_vgpr_workitem_id 0
		.amdhsa_next_free_vgpr 31
		.amdhsa_next_free_sgpr 14
		.amdhsa_reserve_vcc 1
		.amdhsa_reserve_flat_scratch 0
		.amdhsa_float_round_mode_32 0
		.amdhsa_float_round_mode_16_64 0
		.amdhsa_float_denorm_mode_32 3
		.amdhsa_float_denorm_mode_16_64 3
		.amdhsa_dx10_clamp 1
		.amdhsa_ieee_mode 1
		.amdhsa_fp16_overflow 0
		.amdhsa_workgroup_processor_mode 1
		.amdhsa_memory_ordered 1
		.amdhsa_forward_progress 1
		.amdhsa_shared_vgpr_count 0
		.amdhsa_exception_fp_ieee_invalid_op 0
		.amdhsa_exception_fp_denorm_src 0
		.amdhsa_exception_fp_ieee_div_zero 0
		.amdhsa_exception_fp_ieee_overflow 0
		.amdhsa_exception_fp_ieee_underflow 0
		.amdhsa_exception_fp_ieee_inexact 0
		.amdhsa_exception_int_div_zero 0
	.end_amdhsa_kernel
	.section	.text._ZN9rocsparseL32bsr2csr_block_per_row_2_7_kernelILj256ELj4E21rocsparse_complex_numIfEilEEv20rocsparse_direction_T3_S4_21rocsparse_index_base_PKT1_PKT2_PKS4_S4_S5_PS6_PS9_PS4_,"axG",@progbits,_ZN9rocsparseL32bsr2csr_block_per_row_2_7_kernelILj256ELj4E21rocsparse_complex_numIfEilEEv20rocsparse_direction_T3_S4_21rocsparse_index_base_PKT1_PKT2_PKS4_S4_S5_PS6_PS9_PS4_,comdat
.Lfunc_end185:
	.size	_ZN9rocsparseL32bsr2csr_block_per_row_2_7_kernelILj256ELj4E21rocsparse_complex_numIfEilEEv20rocsparse_direction_T3_S4_21rocsparse_index_base_PKT1_PKT2_PKS4_S4_S5_PS6_PS9_PS4_, .Lfunc_end185-_ZN9rocsparseL32bsr2csr_block_per_row_2_7_kernelILj256ELj4E21rocsparse_complex_numIfEilEEv20rocsparse_direction_T3_S4_21rocsparse_index_base_PKT1_PKT2_PKS4_S4_S5_PS6_PS9_PS4_
                                        ; -- End function
	.set _ZN9rocsparseL32bsr2csr_block_per_row_2_7_kernelILj256ELj4E21rocsparse_complex_numIfEilEEv20rocsparse_direction_T3_S4_21rocsparse_index_base_PKT1_PKT2_PKS4_S4_S5_PS6_PS9_PS4_.num_vgpr, 31
	.set _ZN9rocsparseL32bsr2csr_block_per_row_2_7_kernelILj256ELj4E21rocsparse_complex_numIfEilEEv20rocsparse_direction_T3_S4_21rocsparse_index_base_PKT1_PKT2_PKS4_S4_S5_PS6_PS9_PS4_.num_agpr, 0
	.set _ZN9rocsparseL32bsr2csr_block_per_row_2_7_kernelILj256ELj4E21rocsparse_complex_numIfEilEEv20rocsparse_direction_T3_S4_21rocsparse_index_base_PKT1_PKT2_PKS4_S4_S5_PS6_PS9_PS4_.numbered_sgpr, 14
	.set _ZN9rocsparseL32bsr2csr_block_per_row_2_7_kernelILj256ELj4E21rocsparse_complex_numIfEilEEv20rocsparse_direction_T3_S4_21rocsparse_index_base_PKT1_PKT2_PKS4_S4_S5_PS6_PS9_PS4_.num_named_barrier, 0
	.set _ZN9rocsparseL32bsr2csr_block_per_row_2_7_kernelILj256ELj4E21rocsparse_complex_numIfEilEEv20rocsparse_direction_T3_S4_21rocsparse_index_base_PKT1_PKT2_PKS4_S4_S5_PS6_PS9_PS4_.private_seg_size, 0
	.set _ZN9rocsparseL32bsr2csr_block_per_row_2_7_kernelILj256ELj4E21rocsparse_complex_numIfEilEEv20rocsparse_direction_T3_S4_21rocsparse_index_base_PKT1_PKT2_PKS4_S4_S5_PS6_PS9_PS4_.uses_vcc, 1
	.set _ZN9rocsparseL32bsr2csr_block_per_row_2_7_kernelILj256ELj4E21rocsparse_complex_numIfEilEEv20rocsparse_direction_T3_S4_21rocsparse_index_base_PKT1_PKT2_PKS4_S4_S5_PS6_PS9_PS4_.uses_flat_scratch, 0
	.set _ZN9rocsparseL32bsr2csr_block_per_row_2_7_kernelILj256ELj4E21rocsparse_complex_numIfEilEEv20rocsparse_direction_T3_S4_21rocsparse_index_base_PKT1_PKT2_PKS4_S4_S5_PS6_PS9_PS4_.has_dyn_sized_stack, 0
	.set _ZN9rocsparseL32bsr2csr_block_per_row_2_7_kernelILj256ELj4E21rocsparse_complex_numIfEilEEv20rocsparse_direction_T3_S4_21rocsparse_index_base_PKT1_PKT2_PKS4_S4_S5_PS6_PS9_PS4_.has_recursion, 0
	.set _ZN9rocsparseL32bsr2csr_block_per_row_2_7_kernelILj256ELj4E21rocsparse_complex_numIfEilEEv20rocsparse_direction_T3_S4_21rocsparse_index_base_PKT1_PKT2_PKS4_S4_S5_PS6_PS9_PS4_.has_indirect_call, 0
	.section	.AMDGPU.csdata,"",@progbits
; Kernel info:
; codeLenInByte = 784
; TotalNumSgprs: 16
; NumVgprs: 31
; ScratchSize: 0
; MemoryBound: 0
; FloatMode: 240
; IeeeMode: 1
; LDSByteSize: 0 bytes/workgroup (compile time only)
; SGPRBlocks: 0
; VGPRBlocks: 3
; NumSGPRsForWavesPerEU: 16
; NumVGPRsForWavesPerEU: 31
; Occupancy: 16
; WaveLimiterHint : 0
; COMPUTE_PGM_RSRC2:SCRATCH_EN: 0
; COMPUTE_PGM_RSRC2:USER_SGPR: 6
; COMPUTE_PGM_RSRC2:TRAP_HANDLER: 0
; COMPUTE_PGM_RSRC2:TGID_X_EN: 1
; COMPUTE_PGM_RSRC2:TGID_Y_EN: 0
; COMPUTE_PGM_RSRC2:TGID_Z_EN: 0
; COMPUTE_PGM_RSRC2:TIDIG_COMP_CNT: 0
	.section	.text._ZN9rocsparseL32bsr2csr_block_per_row_2_7_kernelILj256ELj5E21rocsparse_complex_numIfEilEEv20rocsparse_direction_T3_S4_21rocsparse_index_base_PKT1_PKT2_PKS4_S4_S5_PS6_PS9_PS4_,"axG",@progbits,_ZN9rocsparseL32bsr2csr_block_per_row_2_7_kernelILj256ELj5E21rocsparse_complex_numIfEilEEv20rocsparse_direction_T3_S4_21rocsparse_index_base_PKT1_PKT2_PKS4_S4_S5_PS6_PS9_PS4_,comdat
	.globl	_ZN9rocsparseL32bsr2csr_block_per_row_2_7_kernelILj256ELj5E21rocsparse_complex_numIfEilEEv20rocsparse_direction_T3_S4_21rocsparse_index_base_PKT1_PKT2_PKS4_S4_S5_PS6_PS9_PS4_ ; -- Begin function _ZN9rocsparseL32bsr2csr_block_per_row_2_7_kernelILj256ELj5E21rocsparse_complex_numIfEilEEv20rocsparse_direction_T3_S4_21rocsparse_index_base_PKT1_PKT2_PKS4_S4_S5_PS6_PS9_PS4_
	.p2align	8
	.type	_ZN9rocsparseL32bsr2csr_block_per_row_2_7_kernelILj256ELj5E21rocsparse_complex_numIfEilEEv20rocsparse_direction_T3_S4_21rocsparse_index_base_PKT1_PKT2_PKS4_S4_S5_PS6_PS9_PS4_,@function
_ZN9rocsparseL32bsr2csr_block_per_row_2_7_kernelILj256ELj5E21rocsparse_complex_numIfEilEEv20rocsparse_direction_T3_S4_21rocsparse_index_base_PKT1_PKT2_PKS4_S4_S5_PS6_PS9_PS4_: ; @_ZN9rocsparseL32bsr2csr_block_per_row_2_7_kernelILj256ELj5E21rocsparse_complex_numIfEilEEv20rocsparse_direction_T3_S4_21rocsparse_index_base_PKT1_PKT2_PKS4_S4_S5_PS6_PS9_PS4_
; %bb.0:
	s_clause 0x2
	s_load_dwordx2 s[2:3], s[4:5], 0x28
	s_load_dword s8, s[4:5], 0x40
	s_load_dwordx2 s[0:1], s[4:5], 0x50
	s_mov_b32 s7, 0
	v_or_b32_e32 v1, s6, v0
	s_lshl_b64 s[10:11], s[6:7], 2
	s_mov_b32 s7, exec_lo
	s_waitcnt lgkmcnt(0)
	s_add_u32 s2, s2, s10
	s_addc_u32 s3, s3, s11
	v_cmpx_eq_u32_e32 0, v1
	s_cbranch_execz .LBB186_2
; %bb.1:
	v_mov_b32_e32 v1, 0
	v_mov_b32_e32 v2, s8
	global_store_dword v1, v2, s[0:1]
.LBB186_2:
	s_or_b32 exec_lo, exec_lo, s7
	v_and_b32_e32 v1, 7, v0
	s_mov_b32 s7, exec_lo
	v_cmpx_gt_u32_e32 5, v1
	s_cbranch_execz .LBB186_6
; %bb.3:
	s_load_dwordx2 s[2:3], s[2:3], 0x0
	s_load_dword s12, s[4:5], 0x18
	v_lshrrev_b32_e32 v2, 3, v0
	s_mul_hi_u32 s9, s6, 20
	s_mul_i32 s6, s6, 20
	v_lshlrev_b32_e32 v5, 2, v1
	s_waitcnt lgkmcnt(0)
	s_sub_i32 s7, s2, s12
	s_sub_i32 s13, s3, s12
	v_add_nc_u32_e32 v0, s7, v2
	s_sub_i32 s3, s13, s7
	s_mul_i32 s10, s7, 25
	s_mul_i32 s3, s3, 5
	v_mul_lo_u32 v4, s3, v1
	s_add_i32 s3, s3, s8
	v_cmp_gt_i32_e32 vcc_lo, s13, v0
	s_add_u32 s0, s0, s6
	s_addc_u32 s1, s1, s9
	v_add3_u32 v3, s3, s10, v4
	global_store_dword v5, v3, s[0:1] offset:4
	s_and_b32 exec_lo, exec_lo, vcc_lo
	s_cbranch_execz .LBB186_6
; %bb.4:
	s_clause 0x4
	s_load_dwordx2 s[0:1], s[4:5], 0x20
	s_load_dwordx2 s[6:7], s[4:5], 0x30
	;; [unrolled: 1-line block ×3, first 2 shown]
	s_load_dword s3, s[4:5], 0x0
	s_load_dwordx2 s[4:5], s[4:5], 0x58
	v_lshlrev_b32_e32 v5, 3, v1
	v_mul_u32_u24_e32 v6, 5, v2
	s_mul_i32 s2, s2, 25
	v_lshlrev_b32_e32 v1, 5, v1
	v_mul_lo_u32 v2, v0, 25
	s_mul_i32 s9, s12, 25
	v_add3_u32 v4, v4, s2, v6
	v_mov_b32_e32 v3, 0
	v_subrev_nc_u32_e32 v4, s9, v4
	s_mov_b32 s9, 0
	s_mov_b32 s14, s9
	s_waitcnt lgkmcnt(0)
	v_add_co_u32 v6, s0, s0, v5
	v_add_co_ci_u32_e64 v7, null, s1, 0, s0
	s_cmp_eq_u32 s3, 0
	v_add_co_u32 v8, vcc_lo, v6, v1
	v_add_co_ci_u32_e64 v9, null, 0, v7, vcc_lo
	s_cselect_b32 vcc_lo, -1, 0
.LBB186_5:                              ; =>This Inner Loop Header: Depth=1
	v_lshlrev_b64 v[10:11], 3, v[2:3]
	v_ashrrev_i32_e32 v1, 31, v0
	v_add_nc_u32_e32 v2, 0x320, v2
	v_lshlrev_b64 v[12:13], 3, v[0:1]
	v_add_co_u32 v1, s0, v6, v10
	v_add_co_ci_u32_e64 v5, null, v7, v11, s0
	v_add_co_u32 v14, s0, v8, v10
	v_add_co_ci_u32_e64 v15, null, v9, v11, s0
	;; [unrolled: 2-line block ×3, first 2 shown]
	v_cndmask_b32_e32 v13, v5, v15, vcc_lo
	v_cndmask_b32_e32 v12, v1, v14, vcc_lo
	global_load_dwordx2 v[18:19], v[10:11], off
	global_load_dwordx2 v[10:11], v[12:13], off
	v_add_co_u32 v16, s0, v14, 8
	v_add_co_ci_u32_e64 v17, null, 0, v15, s0
	v_add_co_u32 v20, s0, v1, 40
	v_add_co_ci_u32_e64 v21, null, 0, v5, s0
	;; [unrolled: 2-line block ×8, first 2 shown]
	v_cndmask_b32_e32 v13, v21, v17, vcc_lo
	v_cndmask_b32_e32 v12, v20, v16, vcc_lo
	;; [unrolled: 1-line block ×8, first 2 shown]
	global_load_dwordx2 v[12:13], v[12:13], off
	global_load_dwordx2 v[14:15], v[14:15], off
	;; [unrolled: 1-line block ×4, first 2 shown]
	v_add_nc_u32_e32 v0, 32, v0
	v_ashrrev_i32_e32 v5, 31, v4
	v_cmp_le_i32_e64 s0, s13, v0
	v_lshlrev_b64 v[20:21], 3, v[4:5]
	v_add_nc_u32_e32 v4, 0xa0, v4
	s_or_b32 s14, s0, s14
	v_add_co_u32 v24, s1, s4, v20
	v_add_co_ci_u32_e64 v25, null, s5, v21, s1
	v_add_co_u32 v26, s1, s10, v20
	v_add_co_ci_u32_e64 v27, null, s11, v21, s1
	s_waitcnt vmcnt(5)
	v_sub_co_u32 v1, s0, v18, s12
	v_subrev_co_ci_u32_e64 v5, null, 0, v19, s0
	v_mad_u64_u32 v[18:19], null, v1, 5, s[8:9]
	v_mov_b32_e32 v1, v19
	v_add_co_u32 v28, s2, v18, 4
	v_mad_u64_u32 v[19:20], null, v5, 5, v[1:2]
	v_add_co_u32 v20, s3, v18, 1
	v_add_co_ci_u32_e64 v21, null, 0, v19, s3
	v_add_co_ci_u32_e64 v29, null, 0, v19, s2
	s_waitcnt vmcnt(3)
	global_store_dwordx4 v[26:27], v[10:13], off
	v_add_co_u32 v10, s0, v18, 2
	v_add_co_u32 v12, s1, v18, 3
	v_add_co_ci_u32_e64 v11, null, 0, v19, s0
	v_add_co_ci_u32_e64 v13, null, 0, v19, s1
	s_waitcnt vmcnt(1)
	global_store_dwordx4 v[26:27], v[14:17], off offset:16
	s_waitcnt vmcnt(0)
	global_store_dwordx2 v[26:27], v[22:23], off offset:32
	global_store_dwordx4 v[24:25], v[18:21], off
	global_store_dwordx4 v[24:25], v[10:13], off offset:16
	global_store_dwordx2 v[24:25], v[28:29], off offset:32
	s_andn2_b32 exec_lo, exec_lo, s14
	s_cbranch_execnz .LBB186_5
.LBB186_6:
	s_endpgm
	.section	.rodata,"a",@progbits
	.p2align	6, 0x0
	.amdhsa_kernel _ZN9rocsparseL32bsr2csr_block_per_row_2_7_kernelILj256ELj5E21rocsparse_complex_numIfEilEEv20rocsparse_direction_T3_S4_21rocsparse_index_base_PKT1_PKT2_PKS4_S4_S5_PS6_PS9_PS4_
		.amdhsa_group_segment_fixed_size 0
		.amdhsa_private_segment_fixed_size 0
		.amdhsa_kernarg_size 96
		.amdhsa_user_sgpr_count 6
		.amdhsa_user_sgpr_private_segment_buffer 1
		.amdhsa_user_sgpr_dispatch_ptr 0
		.amdhsa_user_sgpr_queue_ptr 0
		.amdhsa_user_sgpr_kernarg_segment_ptr 1
		.amdhsa_user_sgpr_dispatch_id 0
		.amdhsa_user_sgpr_flat_scratch_init 0
		.amdhsa_user_sgpr_private_segment_size 0
		.amdhsa_wavefront_size32 1
		.amdhsa_uses_dynamic_stack 0
		.amdhsa_system_sgpr_private_segment_wavefront_offset 0
		.amdhsa_system_sgpr_workgroup_id_x 1
		.amdhsa_system_sgpr_workgroup_id_y 0
		.amdhsa_system_sgpr_workgroup_id_z 0
		.amdhsa_system_sgpr_workgroup_info 0
		.amdhsa_system_vgpr_workitem_id 0
		.amdhsa_next_free_vgpr 32
		.amdhsa_next_free_sgpr 15
		.amdhsa_reserve_vcc 1
		.amdhsa_reserve_flat_scratch 0
		.amdhsa_float_round_mode_32 0
		.amdhsa_float_round_mode_16_64 0
		.amdhsa_float_denorm_mode_32 3
		.amdhsa_float_denorm_mode_16_64 3
		.amdhsa_dx10_clamp 1
		.amdhsa_ieee_mode 1
		.amdhsa_fp16_overflow 0
		.amdhsa_workgroup_processor_mode 1
		.amdhsa_memory_ordered 1
		.amdhsa_forward_progress 1
		.amdhsa_shared_vgpr_count 0
		.amdhsa_exception_fp_ieee_invalid_op 0
		.amdhsa_exception_fp_denorm_src 0
		.amdhsa_exception_fp_ieee_div_zero 0
		.amdhsa_exception_fp_ieee_overflow 0
		.amdhsa_exception_fp_ieee_underflow 0
		.amdhsa_exception_fp_ieee_inexact 0
		.amdhsa_exception_int_div_zero 0
	.end_amdhsa_kernel
	.section	.text._ZN9rocsparseL32bsr2csr_block_per_row_2_7_kernelILj256ELj5E21rocsparse_complex_numIfEilEEv20rocsparse_direction_T3_S4_21rocsparse_index_base_PKT1_PKT2_PKS4_S4_S5_PS6_PS9_PS4_,"axG",@progbits,_ZN9rocsparseL32bsr2csr_block_per_row_2_7_kernelILj256ELj5E21rocsparse_complex_numIfEilEEv20rocsparse_direction_T3_S4_21rocsparse_index_base_PKT1_PKT2_PKS4_S4_S5_PS6_PS9_PS4_,comdat
.Lfunc_end186:
	.size	_ZN9rocsparseL32bsr2csr_block_per_row_2_7_kernelILj256ELj5E21rocsparse_complex_numIfEilEEv20rocsparse_direction_T3_S4_21rocsparse_index_base_PKT1_PKT2_PKS4_S4_S5_PS6_PS9_PS4_, .Lfunc_end186-_ZN9rocsparseL32bsr2csr_block_per_row_2_7_kernelILj256ELj5E21rocsparse_complex_numIfEilEEv20rocsparse_direction_T3_S4_21rocsparse_index_base_PKT1_PKT2_PKS4_S4_S5_PS6_PS9_PS4_
                                        ; -- End function
	.set _ZN9rocsparseL32bsr2csr_block_per_row_2_7_kernelILj256ELj5E21rocsparse_complex_numIfEilEEv20rocsparse_direction_T3_S4_21rocsparse_index_base_PKT1_PKT2_PKS4_S4_S5_PS6_PS9_PS4_.num_vgpr, 32
	.set _ZN9rocsparseL32bsr2csr_block_per_row_2_7_kernelILj256ELj5E21rocsparse_complex_numIfEilEEv20rocsparse_direction_T3_S4_21rocsparse_index_base_PKT1_PKT2_PKS4_S4_S5_PS6_PS9_PS4_.num_agpr, 0
	.set _ZN9rocsparseL32bsr2csr_block_per_row_2_7_kernelILj256ELj5E21rocsparse_complex_numIfEilEEv20rocsparse_direction_T3_S4_21rocsparse_index_base_PKT1_PKT2_PKS4_S4_S5_PS6_PS9_PS4_.numbered_sgpr, 15
	.set _ZN9rocsparseL32bsr2csr_block_per_row_2_7_kernelILj256ELj5E21rocsparse_complex_numIfEilEEv20rocsparse_direction_T3_S4_21rocsparse_index_base_PKT1_PKT2_PKS4_S4_S5_PS6_PS9_PS4_.num_named_barrier, 0
	.set _ZN9rocsparseL32bsr2csr_block_per_row_2_7_kernelILj256ELj5E21rocsparse_complex_numIfEilEEv20rocsparse_direction_T3_S4_21rocsparse_index_base_PKT1_PKT2_PKS4_S4_S5_PS6_PS9_PS4_.private_seg_size, 0
	.set _ZN9rocsparseL32bsr2csr_block_per_row_2_7_kernelILj256ELj5E21rocsparse_complex_numIfEilEEv20rocsparse_direction_T3_S4_21rocsparse_index_base_PKT1_PKT2_PKS4_S4_S5_PS6_PS9_PS4_.uses_vcc, 1
	.set _ZN9rocsparseL32bsr2csr_block_per_row_2_7_kernelILj256ELj5E21rocsparse_complex_numIfEilEEv20rocsparse_direction_T3_S4_21rocsparse_index_base_PKT1_PKT2_PKS4_S4_S5_PS6_PS9_PS4_.uses_flat_scratch, 0
	.set _ZN9rocsparseL32bsr2csr_block_per_row_2_7_kernelILj256ELj5E21rocsparse_complex_numIfEilEEv20rocsparse_direction_T3_S4_21rocsparse_index_base_PKT1_PKT2_PKS4_S4_S5_PS6_PS9_PS4_.has_dyn_sized_stack, 0
	.set _ZN9rocsparseL32bsr2csr_block_per_row_2_7_kernelILj256ELj5E21rocsparse_complex_numIfEilEEv20rocsparse_direction_T3_S4_21rocsparse_index_base_PKT1_PKT2_PKS4_S4_S5_PS6_PS9_PS4_.has_recursion, 0
	.set _ZN9rocsparseL32bsr2csr_block_per_row_2_7_kernelILj256ELj5E21rocsparse_complex_numIfEilEEv20rocsparse_direction_T3_S4_21rocsparse_index_base_PKT1_PKT2_PKS4_S4_S5_PS6_PS9_PS4_.has_indirect_call, 0
	.section	.AMDGPU.csdata,"",@progbits
; Kernel info:
; codeLenInByte = 896
; TotalNumSgprs: 17
; NumVgprs: 32
; ScratchSize: 0
; MemoryBound: 0
; FloatMode: 240
; IeeeMode: 1
; LDSByteSize: 0 bytes/workgroup (compile time only)
; SGPRBlocks: 0
; VGPRBlocks: 3
; NumSGPRsForWavesPerEU: 17
; NumVGPRsForWavesPerEU: 32
; Occupancy: 16
; WaveLimiterHint : 0
; COMPUTE_PGM_RSRC2:SCRATCH_EN: 0
; COMPUTE_PGM_RSRC2:USER_SGPR: 6
; COMPUTE_PGM_RSRC2:TRAP_HANDLER: 0
; COMPUTE_PGM_RSRC2:TGID_X_EN: 1
; COMPUTE_PGM_RSRC2:TGID_Y_EN: 0
; COMPUTE_PGM_RSRC2:TGID_Z_EN: 0
; COMPUTE_PGM_RSRC2:TIDIG_COMP_CNT: 0
	.section	.text._ZN9rocsparseL32bsr2csr_block_per_row_2_7_kernelILj256ELj6E21rocsparse_complex_numIfEilEEv20rocsparse_direction_T3_S4_21rocsparse_index_base_PKT1_PKT2_PKS4_S4_S5_PS6_PS9_PS4_,"axG",@progbits,_ZN9rocsparseL32bsr2csr_block_per_row_2_7_kernelILj256ELj6E21rocsparse_complex_numIfEilEEv20rocsparse_direction_T3_S4_21rocsparse_index_base_PKT1_PKT2_PKS4_S4_S5_PS6_PS9_PS4_,comdat
	.globl	_ZN9rocsparseL32bsr2csr_block_per_row_2_7_kernelILj256ELj6E21rocsparse_complex_numIfEilEEv20rocsparse_direction_T3_S4_21rocsparse_index_base_PKT1_PKT2_PKS4_S4_S5_PS6_PS9_PS4_ ; -- Begin function _ZN9rocsparseL32bsr2csr_block_per_row_2_7_kernelILj256ELj6E21rocsparse_complex_numIfEilEEv20rocsparse_direction_T3_S4_21rocsparse_index_base_PKT1_PKT2_PKS4_S4_S5_PS6_PS9_PS4_
	.p2align	8
	.type	_ZN9rocsparseL32bsr2csr_block_per_row_2_7_kernelILj256ELj6E21rocsparse_complex_numIfEilEEv20rocsparse_direction_T3_S4_21rocsparse_index_base_PKT1_PKT2_PKS4_S4_S5_PS6_PS9_PS4_,@function
_ZN9rocsparseL32bsr2csr_block_per_row_2_7_kernelILj256ELj6E21rocsparse_complex_numIfEilEEv20rocsparse_direction_T3_S4_21rocsparse_index_base_PKT1_PKT2_PKS4_S4_S5_PS6_PS9_PS4_: ; @_ZN9rocsparseL32bsr2csr_block_per_row_2_7_kernelILj256ELj6E21rocsparse_complex_numIfEilEEv20rocsparse_direction_T3_S4_21rocsparse_index_base_PKT1_PKT2_PKS4_S4_S5_PS6_PS9_PS4_
; %bb.0:
	s_clause 0x2
	s_load_dwordx2 s[2:3], s[4:5], 0x28
	s_load_dword s8, s[4:5], 0x40
	s_load_dwordx2 s[0:1], s[4:5], 0x50
	s_mov_b32 s7, 0
	v_or_b32_e32 v1, s6, v0
	s_lshl_b64 s[10:11], s[6:7], 2
	s_mov_b32 s7, exec_lo
	s_waitcnt lgkmcnt(0)
	s_add_u32 s2, s2, s10
	s_addc_u32 s3, s3, s11
	v_cmpx_eq_u32_e32 0, v1
	s_cbranch_execz .LBB187_2
; %bb.1:
	v_mov_b32_e32 v1, 0
	v_mov_b32_e32 v2, s8
	global_store_dword v1, v2, s[0:1]
.LBB187_2:
	s_or_b32 exec_lo, exec_lo, s7
	v_and_b32_e32 v1, 7, v0
	s_mov_b32 s7, exec_lo
	v_cmpx_gt_u32_e32 6, v1
	s_cbranch_execz .LBB187_6
; %bb.3:
	s_load_dwordx2 s[2:3], s[2:3], 0x0
	s_load_dword s14, s[4:5], 0x18
	v_lshrrev_b32_e32 v2, 3, v0
	s_mul_hi_u32 s9, s6, 24
	s_mul_i32 s6, s6, 24
	v_lshlrev_b32_e32 v5, 2, v1
	s_waitcnt lgkmcnt(0)
	s_sub_i32 s7, s2, s14
	s_sub_i32 s15, s3, s14
	v_add_nc_u32_e32 v0, s7, v2
	s_sub_i32 s3, s15, s7
	s_mul_i32 s10, s7, 36
	s_mul_i32 s3, s3, 6
	v_mul_lo_u32 v4, s3, v1
	s_add_i32 s3, s3, s8
	v_cmp_gt_i32_e32 vcc_lo, s15, v0
	s_add_u32 s0, s0, s6
	s_addc_u32 s1, s1, s9
	v_add3_u32 v3, s3, s10, v4
	global_store_dword v5, v3, s[0:1] offset:4
	s_and_b32 exec_lo, exec_lo, vcc_lo
	s_cbranch_execz .LBB187_6
; %bb.4:
	s_clause 0x3
	s_load_dwordx2 s[0:1], s[4:5], 0x20
	s_load_dwordx2 s[6:7], s[4:5], 0x30
	;; [unrolled: 1-line block ×3, first 2 shown]
	s_load_dword s3, s[4:5], 0x0
	v_lshlrev_b32_e32 v3, 3, v1
	s_load_dwordx2 s[12:13], s[4:5], 0x58
	v_mul_u32_u24_e32 v6, 6, v2
	v_mov_b32_e32 v5, 0
	s_mov_b32 s9, 0
	s_mov_b32 s5, s9
	s_waitcnt lgkmcnt(0)
	v_add_co_u32 v2, s0, s0, v3
	v_add_co_ci_u32_e64 v3, null, s1, 0, s0
	s_mul_i32 s0, s2, 36
	s_cmp_eq_u32 s3, 0
	v_add3_u32 v8, v4, s0, v6
	v_mad_u64_u32 v[6:7], null, v1, 40, v[2:3]
	v_mul_lo_u32 v4, v0, 36
	s_mul_i32 s0, s14, 36
	s_cselect_b32 vcc_lo, -1, 0
	v_subrev_nc_u32_e32 v8, s0, v8
.LBB187_5:                              ; =>This Inner Loop Header: Depth=1
	v_lshlrev_b64 v[9:10], 3, v[4:5]
	v_ashrrev_i32_e32 v1, 31, v0
	v_add_nc_u32_e32 v4, 0x480, v4
	v_lshlrev_b64 v[11:12], 3, v[0:1]
	v_add_co_u32 v1, s0, v2, v9
	v_add_co_ci_u32_e64 v13, null, v3, v10, s0
	v_add_co_u32 v14, s0, v6, v9
	v_add_co_ci_u32_e64 v15, null, v7, v10, s0
	;; [unrolled: 2-line block ×3, first 2 shown]
	v_cndmask_b32_e32 v12, v13, v15, vcc_lo
	v_cndmask_b32_e32 v11, v1, v14, vcc_lo
	global_load_dwordx2 v[22:23], v[9:10], off
	global_load_dwordx2 v[10:11], v[11:12], off
	v_add_co_u32 v16, s0, v14, 8
	v_add_co_ci_u32_e64 v17, null, 0, v15, s0
	v_add_co_u32 v18, s0, v1, 48
	v_add_co_ci_u32_e64 v19, null, 0, v13, s0
	v_add_co_u32 v20, s0, v14, 16
	v_add_co_ci_u32_e64 v21, null, 0, v15, s0
	v_add_co_u32 v24, s0, 0x60, v1
	v_add_co_ci_u32_e64 v25, null, 0, v13, s0
	v_add_co_u32 v26, s0, v14, 24
	v_add_co_ci_u32_e64 v27, null, 0, v15, s0
	v_add_co_u32 v28, s0, 0x90, v1
	v_add_co_ci_u32_e64 v29, null, 0, v13, s0
	v_add_co_u32 v30, s0, v14, 32
	v_add_co_ci_u32_e64 v31, null, 0, v15, s0
	v_add_co_u32 v32, s0, 0xc0, v1
	v_add_co_ci_u32_e64 v33, null, 0, v13, s0
	v_add_co_u32 v34, s0, v14, 40
	v_add_co_ci_u32_e64 v35, null, 0, v15, s0
	v_add_co_u32 v1, s0, 0xf0, v1
	v_add_co_ci_u32_e64 v36, null, 0, v13, s0
	v_cndmask_b32_e32 v13, v19, v17, vcc_lo
	v_cndmask_b32_e32 v12, v18, v16, vcc_lo
	;; [unrolled: 1-line block ×10, first 2 shown]
	global_load_dwordx2 v[12:13], v[12:13], off
	global_load_dwordx2 v[14:15], v[14:15], off
	;; [unrolled: 1-line block ×5, first 2 shown]
	v_add_nc_u32_e32 v0, 32, v0
	v_ashrrev_i32_e32 v9, 31, v8
	v_cmp_le_i32_e64 s0, s15, v0
	v_lshlrev_b64 v[24:25], 3, v[8:9]
	v_add_nc_u32_e32 v8, 0xc0, v8
	s_or_b32 s5, s0, s5
	v_add_co_u32 v30, s1, s12, v24
	v_add_co_ci_u32_e64 v31, null, s13, v25, s1
	v_add_co_u32 v32, s1, s10, v24
	v_add_co_ci_u32_e64 v33, null, s11, v25, s1
	s_waitcnt vmcnt(6)
	v_sub_co_u32 v1, s0, v22, s14
	v_subrev_co_ci_u32_e64 v9, null, 0, v23, s0
	v_mad_u64_u32 v[22:23], null, v1, 6, s[8:9]
	v_mov_b32_e32 v1, v23
	v_add_co_u32 v26, s2, v22, 4
	v_add_co_u32 v28, s3, v22, 5
	v_mad_u64_u32 v[23:24], null, v9, 6, v[1:2]
	v_add_co_u32 v24, s4, v22, 1
	v_add_co_u32 v9, s0, v22, 2
	v_add_co_ci_u32_e64 v25, null, 0, v23, s4
	v_add_co_ci_u32_e64 v27, null, 0, v23, s2
	;; [unrolled: 1-line block ×3, first 2 shown]
	s_waitcnt vmcnt(4)
	global_store_dwordx4 v[32:33], v[10:13], off
	v_add_co_u32 v11, s1, v22, 3
	v_add_co_ci_u32_e64 v10, null, 0, v23, s0
	v_add_co_ci_u32_e64 v12, null, 0, v23, s1
	s_waitcnt vmcnt(2)
	global_store_dwordx4 v[32:33], v[14:17], off offset:16
	s_waitcnt vmcnt(0)
	global_store_dwordx4 v[32:33], v[18:21], off offset:32
	global_store_dwordx4 v[30:31], v[22:25], off
	global_store_dwordx4 v[30:31], v[9:12], off offset:16
	global_store_dwordx4 v[30:31], v[26:29], off offset:32
	s_andn2_b32 exec_lo, exec_lo, s5
	s_cbranch_execnz .LBB187_5
.LBB187_6:
	s_endpgm
	.section	.rodata,"a",@progbits
	.p2align	6, 0x0
	.amdhsa_kernel _ZN9rocsparseL32bsr2csr_block_per_row_2_7_kernelILj256ELj6E21rocsparse_complex_numIfEilEEv20rocsparse_direction_T3_S4_21rocsparse_index_base_PKT1_PKT2_PKS4_S4_S5_PS6_PS9_PS4_
		.amdhsa_group_segment_fixed_size 0
		.amdhsa_private_segment_fixed_size 0
		.amdhsa_kernarg_size 96
		.amdhsa_user_sgpr_count 6
		.amdhsa_user_sgpr_private_segment_buffer 1
		.amdhsa_user_sgpr_dispatch_ptr 0
		.amdhsa_user_sgpr_queue_ptr 0
		.amdhsa_user_sgpr_kernarg_segment_ptr 1
		.amdhsa_user_sgpr_dispatch_id 0
		.amdhsa_user_sgpr_flat_scratch_init 0
		.amdhsa_user_sgpr_private_segment_size 0
		.amdhsa_wavefront_size32 1
		.amdhsa_uses_dynamic_stack 0
		.amdhsa_system_sgpr_private_segment_wavefront_offset 0
		.amdhsa_system_sgpr_workgroup_id_x 1
		.amdhsa_system_sgpr_workgroup_id_y 0
		.amdhsa_system_sgpr_workgroup_id_z 0
		.amdhsa_system_sgpr_workgroup_info 0
		.amdhsa_system_vgpr_workitem_id 0
		.amdhsa_next_free_vgpr 37
		.amdhsa_next_free_sgpr 16
		.amdhsa_reserve_vcc 1
		.amdhsa_reserve_flat_scratch 0
		.amdhsa_float_round_mode_32 0
		.amdhsa_float_round_mode_16_64 0
		.amdhsa_float_denorm_mode_32 3
		.amdhsa_float_denorm_mode_16_64 3
		.amdhsa_dx10_clamp 1
		.amdhsa_ieee_mode 1
		.amdhsa_fp16_overflow 0
		.amdhsa_workgroup_processor_mode 1
		.amdhsa_memory_ordered 1
		.amdhsa_forward_progress 1
		.amdhsa_shared_vgpr_count 0
		.amdhsa_exception_fp_ieee_invalid_op 0
		.amdhsa_exception_fp_denorm_src 0
		.amdhsa_exception_fp_ieee_div_zero 0
		.amdhsa_exception_fp_ieee_overflow 0
		.amdhsa_exception_fp_ieee_underflow 0
		.amdhsa_exception_fp_ieee_inexact 0
		.amdhsa_exception_int_div_zero 0
	.end_amdhsa_kernel
	.section	.text._ZN9rocsparseL32bsr2csr_block_per_row_2_7_kernelILj256ELj6E21rocsparse_complex_numIfEilEEv20rocsparse_direction_T3_S4_21rocsparse_index_base_PKT1_PKT2_PKS4_S4_S5_PS6_PS9_PS4_,"axG",@progbits,_ZN9rocsparseL32bsr2csr_block_per_row_2_7_kernelILj256ELj6E21rocsparse_complex_numIfEilEEv20rocsparse_direction_T3_S4_21rocsparse_index_base_PKT1_PKT2_PKS4_S4_S5_PS6_PS9_PS4_,comdat
.Lfunc_end187:
	.size	_ZN9rocsparseL32bsr2csr_block_per_row_2_7_kernelILj256ELj6E21rocsparse_complex_numIfEilEEv20rocsparse_direction_T3_S4_21rocsparse_index_base_PKT1_PKT2_PKS4_S4_S5_PS6_PS9_PS4_, .Lfunc_end187-_ZN9rocsparseL32bsr2csr_block_per_row_2_7_kernelILj256ELj6E21rocsparse_complex_numIfEilEEv20rocsparse_direction_T3_S4_21rocsparse_index_base_PKT1_PKT2_PKS4_S4_S5_PS6_PS9_PS4_
                                        ; -- End function
	.set _ZN9rocsparseL32bsr2csr_block_per_row_2_7_kernelILj256ELj6E21rocsparse_complex_numIfEilEEv20rocsparse_direction_T3_S4_21rocsparse_index_base_PKT1_PKT2_PKS4_S4_S5_PS6_PS9_PS4_.num_vgpr, 37
	.set _ZN9rocsparseL32bsr2csr_block_per_row_2_7_kernelILj256ELj6E21rocsparse_complex_numIfEilEEv20rocsparse_direction_T3_S4_21rocsparse_index_base_PKT1_PKT2_PKS4_S4_S5_PS6_PS9_PS4_.num_agpr, 0
	.set _ZN9rocsparseL32bsr2csr_block_per_row_2_7_kernelILj256ELj6E21rocsparse_complex_numIfEilEEv20rocsparse_direction_T3_S4_21rocsparse_index_base_PKT1_PKT2_PKS4_S4_S5_PS6_PS9_PS4_.numbered_sgpr, 16
	.set _ZN9rocsparseL32bsr2csr_block_per_row_2_7_kernelILj256ELj6E21rocsparse_complex_numIfEilEEv20rocsparse_direction_T3_S4_21rocsparse_index_base_PKT1_PKT2_PKS4_S4_S5_PS6_PS9_PS4_.num_named_barrier, 0
	.set _ZN9rocsparseL32bsr2csr_block_per_row_2_7_kernelILj256ELj6E21rocsparse_complex_numIfEilEEv20rocsparse_direction_T3_S4_21rocsparse_index_base_PKT1_PKT2_PKS4_S4_S5_PS6_PS9_PS4_.private_seg_size, 0
	.set _ZN9rocsparseL32bsr2csr_block_per_row_2_7_kernelILj256ELj6E21rocsparse_complex_numIfEilEEv20rocsparse_direction_T3_S4_21rocsparse_index_base_PKT1_PKT2_PKS4_S4_S5_PS6_PS9_PS4_.uses_vcc, 1
	.set _ZN9rocsparseL32bsr2csr_block_per_row_2_7_kernelILj256ELj6E21rocsparse_complex_numIfEilEEv20rocsparse_direction_T3_S4_21rocsparse_index_base_PKT1_PKT2_PKS4_S4_S5_PS6_PS9_PS4_.uses_flat_scratch, 0
	.set _ZN9rocsparseL32bsr2csr_block_per_row_2_7_kernelILj256ELj6E21rocsparse_complex_numIfEilEEv20rocsparse_direction_T3_S4_21rocsparse_index_base_PKT1_PKT2_PKS4_S4_S5_PS6_PS9_PS4_.has_dyn_sized_stack, 0
	.set _ZN9rocsparseL32bsr2csr_block_per_row_2_7_kernelILj256ELj6E21rocsparse_complex_numIfEilEEv20rocsparse_direction_T3_S4_21rocsparse_index_base_PKT1_PKT2_PKS4_S4_S5_PS6_PS9_PS4_.has_recursion, 0
	.set _ZN9rocsparseL32bsr2csr_block_per_row_2_7_kernelILj256ELj6E21rocsparse_complex_numIfEilEEv20rocsparse_direction_T3_S4_21rocsparse_index_base_PKT1_PKT2_PKS4_S4_S5_PS6_PS9_PS4_.has_indirect_call, 0
	.section	.AMDGPU.csdata,"",@progbits
; Kernel info:
; codeLenInByte = 952
; TotalNumSgprs: 18
; NumVgprs: 37
; ScratchSize: 0
; MemoryBound: 0
; FloatMode: 240
; IeeeMode: 1
; LDSByteSize: 0 bytes/workgroup (compile time only)
; SGPRBlocks: 0
; VGPRBlocks: 4
; NumSGPRsForWavesPerEU: 18
; NumVGPRsForWavesPerEU: 37
; Occupancy: 16
; WaveLimiterHint : 0
; COMPUTE_PGM_RSRC2:SCRATCH_EN: 0
; COMPUTE_PGM_RSRC2:USER_SGPR: 6
; COMPUTE_PGM_RSRC2:TRAP_HANDLER: 0
; COMPUTE_PGM_RSRC2:TGID_X_EN: 1
; COMPUTE_PGM_RSRC2:TGID_Y_EN: 0
; COMPUTE_PGM_RSRC2:TGID_Z_EN: 0
; COMPUTE_PGM_RSRC2:TIDIG_COMP_CNT: 0
	.section	.text._ZN9rocsparseL32bsr2csr_block_per_row_2_7_kernelILj256ELj7E21rocsparse_complex_numIfEilEEv20rocsparse_direction_T3_S4_21rocsparse_index_base_PKT1_PKT2_PKS4_S4_S5_PS6_PS9_PS4_,"axG",@progbits,_ZN9rocsparseL32bsr2csr_block_per_row_2_7_kernelILj256ELj7E21rocsparse_complex_numIfEilEEv20rocsparse_direction_T3_S4_21rocsparse_index_base_PKT1_PKT2_PKS4_S4_S5_PS6_PS9_PS4_,comdat
	.globl	_ZN9rocsparseL32bsr2csr_block_per_row_2_7_kernelILj256ELj7E21rocsparse_complex_numIfEilEEv20rocsparse_direction_T3_S4_21rocsparse_index_base_PKT1_PKT2_PKS4_S4_S5_PS6_PS9_PS4_ ; -- Begin function _ZN9rocsparseL32bsr2csr_block_per_row_2_7_kernelILj256ELj7E21rocsparse_complex_numIfEilEEv20rocsparse_direction_T3_S4_21rocsparse_index_base_PKT1_PKT2_PKS4_S4_S5_PS6_PS9_PS4_
	.p2align	8
	.type	_ZN9rocsparseL32bsr2csr_block_per_row_2_7_kernelILj256ELj7E21rocsparse_complex_numIfEilEEv20rocsparse_direction_T3_S4_21rocsparse_index_base_PKT1_PKT2_PKS4_S4_S5_PS6_PS9_PS4_,@function
_ZN9rocsparseL32bsr2csr_block_per_row_2_7_kernelILj256ELj7E21rocsparse_complex_numIfEilEEv20rocsparse_direction_T3_S4_21rocsparse_index_base_PKT1_PKT2_PKS4_S4_S5_PS6_PS9_PS4_: ; @_ZN9rocsparseL32bsr2csr_block_per_row_2_7_kernelILj256ELj7E21rocsparse_complex_numIfEilEEv20rocsparse_direction_T3_S4_21rocsparse_index_base_PKT1_PKT2_PKS4_S4_S5_PS6_PS9_PS4_
; %bb.0:
	s_clause 0x2
	s_load_dwordx2 s[2:3], s[4:5], 0x28
	s_load_dword s8, s[4:5], 0x40
	s_load_dwordx2 s[0:1], s[4:5], 0x50
	s_mov_b32 s7, 0
	v_or_b32_e32 v1, s6, v0
	s_lshl_b64 s[10:11], s[6:7], 2
	s_mov_b32 s7, exec_lo
	s_waitcnt lgkmcnt(0)
	s_add_u32 s2, s2, s10
	s_addc_u32 s3, s3, s11
	v_cmpx_eq_u32_e32 0, v1
	s_cbranch_execz .LBB188_2
; %bb.1:
	v_mov_b32_e32 v1, 0
	v_mov_b32_e32 v2, s8
	global_store_dword v1, v2, s[0:1]
.LBB188_2:
	s_or_b32 exec_lo, exec_lo, s7
	v_and_b32_e32 v1, 7, v0
	s_mov_b32 s7, exec_lo
	v_cmpx_ne_u32_e32 7, v1
	s_cbranch_execz .LBB188_6
; %bb.3:
	s_load_dwordx2 s[2:3], s[2:3], 0x0
	s_load_dword s14, s[4:5], 0x18
	v_lshrrev_b32_e32 v2, 3, v0
	s_mul_hi_u32 s9, s6, 28
	s_mul_i32 s6, s6, 28
	v_lshlrev_b32_e32 v5, 2, v1
	s_waitcnt lgkmcnt(0)
	s_sub_i32 s7, s2, s14
	s_sub_i32 s15, s3, s14
	v_add_nc_u32_e32 v0, s7, v2
	s_sub_i32 s3, s15, s7
	s_mul_i32 s10, s7, 49
	s_mul_i32 s3, s3, 7
	v_mul_lo_u32 v4, s3, v1
	s_add_i32 s3, s3, s8
	v_cmp_gt_i32_e32 vcc_lo, s15, v0
	s_add_u32 s0, s0, s6
	s_addc_u32 s1, s1, s9
	v_add3_u32 v3, s3, s10, v4
	global_store_dword v5, v3, s[0:1] offset:4
	s_and_b32 exec_lo, exec_lo, vcc_lo
	s_cbranch_execz .LBB188_6
; %bb.4:
	s_clause 0x3
	s_load_dwordx2 s[0:1], s[4:5], 0x20
	s_load_dwordx2 s[6:7], s[4:5], 0x30
	;; [unrolled: 1-line block ×3, first 2 shown]
	s_load_dword s3, s[4:5], 0x0
	v_lshlrev_b32_e32 v3, 3, v1
	s_load_dwordx2 s[12:13], s[4:5], 0x58
	v_mul_u32_u24_e32 v6, 7, v2
	v_mov_b32_e32 v5, 0
	s_mov_b32 s9, 0
	s_mov_b32 s16, s9
	s_waitcnt lgkmcnt(0)
	v_add_co_u32 v2, s0, s0, v3
	v_add_co_ci_u32_e64 v3, null, s1, 0, s0
	s_mul_i32 s0, s2, 49
	s_cmp_eq_u32 s3, 0
	v_add3_u32 v8, v4, s0, v6
	v_mad_u64_u32 v[6:7], null, v1, 48, v[2:3]
	v_mul_lo_u32 v4, v0, 49
	s_mul_i32 s0, s14, 49
	s_cselect_b32 vcc_lo, -1, 0
	v_subrev_nc_u32_e32 v8, s0, v8
.LBB188_5:                              ; =>This Inner Loop Header: Depth=1
	v_lshlrev_b64 v[9:10], 3, v[4:5]
	v_ashrrev_i32_e32 v1, 31, v0
	v_add_nc_u32_e32 v4, 0x620, v4
	v_lshlrev_b64 v[11:12], 3, v[0:1]
	v_add_co_u32 v1, s0, v2, v9
	v_add_co_ci_u32_e64 v13, null, v3, v10, s0
	v_add_co_u32 v14, s0, v6, v9
	v_add_co_ci_u32_e64 v15, null, v7, v10, s0
	;; [unrolled: 2-line block ×3, first 2 shown]
	v_cndmask_b32_e32 v12, v13, v15, vcc_lo
	v_cndmask_b32_e32 v11, v1, v14, vcc_lo
	v_add_co_u32 v16, s0, v14, 8
	v_add_co_ci_u32_e64 v17, null, 0, v15, s0
	v_add_co_u32 v18, s0, v1, 56
	v_add_co_ci_u32_e64 v19, null, 0, v13, s0
	v_add_co_u32 v20, s0, v14, 16
	global_load_dwordx2 v[22:23], v[9:10], off
	global_load_dwordx2 v[10:11], v[11:12], off
	v_add_co_ci_u32_e64 v21, null, 0, v15, s0
	v_add_co_u32 v24, s0, 0x70, v1
	v_add_co_ci_u32_e64 v25, null, 0, v13, s0
	v_add_co_u32 v26, s0, v14, 24
	;; [unrolled: 2-line block ×9, first 2 shown]
	v_add_co_ci_u32_e64 v40, null, 0, v13, s0
	v_cndmask_b32_e32 v13, v19, v17, vcc_lo
	v_cndmask_b32_e32 v12, v18, v16, vcc_lo
	;; [unrolled: 1-line block ×12, first 2 shown]
	global_load_dwordx2 v[12:13], v[12:13], off
	global_load_dwordx2 v[14:15], v[14:15], off
	;; [unrolled: 1-line block ×6, first 2 shown]
	v_add_nc_u32_e32 v0, 32, v0
	v_ashrrev_i32_e32 v9, 31, v8
	v_cmp_le_i32_e64 s0, s15, v0
	v_lshlrev_b64 v[24:25], 3, v[8:9]
	v_add_nc_u32_e32 v8, 0xe0, v8
	s_or_b32 s16, s0, s16
	v_add_co_u32 v28, s1, s12, v24
	v_add_co_ci_u32_e64 v29, null, s13, v25, s1
	v_add_co_u32 v30, s1, s10, v24
	v_add_co_ci_u32_e64 v31, null, s11, v25, s1
	s_waitcnt vmcnt(5)
	global_store_dwordx4 v[30:31], v[10:13], off
	s_waitcnt vmcnt(3)
	global_store_dwordx4 v[30:31], v[14:17], off offset:16
	s_waitcnt vmcnt(1)
	global_store_dwordx4 v[30:31], v[18:21], off offset:32
	v_sub_co_u32 v1, s0, v22, s14
	v_subrev_co_ci_u32_e64 v9, null, 0, v23, s0
	v_mad_u64_u32 v[22:23], null, v1, 7, s[8:9]
	v_mov_b32_e32 v1, v23
	v_add_co_u32 v11, s1, v22, 3
	v_add_co_u32 v13, s2, v22, 4
	v_mad_u64_u32 v[23:24], null, v9, 7, v[1:2]
	v_add_co_u32 v24, s5, v22, 1
	v_add_co_u32 v9, s0, v22, 2
	;; [unrolled: 1-line block ×3, first 2 shown]
	v_add_co_ci_u32_e64 v25, null, 0, v23, s5
	v_add_co_u32 v17, s4, v22, 6
	v_add_co_ci_u32_e64 v10, null, 0, v23, s0
	v_add_co_ci_u32_e64 v12, null, 0, v23, s1
	;; [unrolled: 1-line block ×5, first 2 shown]
	s_waitcnt vmcnt(0)
	global_store_dwordx2 v[30:31], v[26:27], off offset:48
	global_store_dwordx4 v[28:29], v[22:25], off
	global_store_dwordx4 v[28:29], v[9:12], off offset:16
	global_store_dwordx4 v[28:29], v[13:16], off offset:32
	global_store_dwordx2 v[28:29], v[17:18], off offset:48
	s_andn2_b32 exec_lo, exec_lo, s16
	s_cbranch_execnz .LBB188_5
.LBB188_6:
	s_endpgm
	.section	.rodata,"a",@progbits
	.p2align	6, 0x0
	.amdhsa_kernel _ZN9rocsparseL32bsr2csr_block_per_row_2_7_kernelILj256ELj7E21rocsparse_complex_numIfEilEEv20rocsparse_direction_T3_S4_21rocsparse_index_base_PKT1_PKT2_PKS4_S4_S5_PS6_PS9_PS4_
		.amdhsa_group_segment_fixed_size 0
		.amdhsa_private_segment_fixed_size 0
		.amdhsa_kernarg_size 96
		.amdhsa_user_sgpr_count 6
		.amdhsa_user_sgpr_private_segment_buffer 1
		.amdhsa_user_sgpr_dispatch_ptr 0
		.amdhsa_user_sgpr_queue_ptr 0
		.amdhsa_user_sgpr_kernarg_segment_ptr 1
		.amdhsa_user_sgpr_dispatch_id 0
		.amdhsa_user_sgpr_flat_scratch_init 0
		.amdhsa_user_sgpr_private_segment_size 0
		.amdhsa_wavefront_size32 1
		.amdhsa_uses_dynamic_stack 0
		.amdhsa_system_sgpr_private_segment_wavefront_offset 0
		.amdhsa_system_sgpr_workgroup_id_x 1
		.amdhsa_system_sgpr_workgroup_id_y 0
		.amdhsa_system_sgpr_workgroup_id_z 0
		.amdhsa_system_sgpr_workgroup_info 0
		.amdhsa_system_vgpr_workitem_id 0
		.amdhsa_next_free_vgpr 41
		.amdhsa_next_free_sgpr 17
		.amdhsa_reserve_vcc 1
		.amdhsa_reserve_flat_scratch 0
		.amdhsa_float_round_mode_32 0
		.amdhsa_float_round_mode_16_64 0
		.amdhsa_float_denorm_mode_32 3
		.amdhsa_float_denorm_mode_16_64 3
		.amdhsa_dx10_clamp 1
		.amdhsa_ieee_mode 1
		.amdhsa_fp16_overflow 0
		.amdhsa_workgroup_processor_mode 1
		.amdhsa_memory_ordered 1
		.amdhsa_forward_progress 1
		.amdhsa_shared_vgpr_count 0
		.amdhsa_exception_fp_ieee_invalid_op 0
		.amdhsa_exception_fp_denorm_src 0
		.amdhsa_exception_fp_ieee_div_zero 0
		.amdhsa_exception_fp_ieee_overflow 0
		.amdhsa_exception_fp_ieee_underflow 0
		.amdhsa_exception_fp_ieee_inexact 0
		.amdhsa_exception_int_div_zero 0
	.end_amdhsa_kernel
	.section	.text._ZN9rocsparseL32bsr2csr_block_per_row_2_7_kernelILj256ELj7E21rocsparse_complex_numIfEilEEv20rocsparse_direction_T3_S4_21rocsparse_index_base_PKT1_PKT2_PKS4_S4_S5_PS6_PS9_PS4_,"axG",@progbits,_ZN9rocsparseL32bsr2csr_block_per_row_2_7_kernelILj256ELj7E21rocsparse_complex_numIfEilEEv20rocsparse_direction_T3_S4_21rocsparse_index_base_PKT1_PKT2_PKS4_S4_S5_PS6_PS9_PS4_,comdat
.Lfunc_end188:
	.size	_ZN9rocsparseL32bsr2csr_block_per_row_2_7_kernelILj256ELj7E21rocsparse_complex_numIfEilEEv20rocsparse_direction_T3_S4_21rocsparse_index_base_PKT1_PKT2_PKS4_S4_S5_PS6_PS9_PS4_, .Lfunc_end188-_ZN9rocsparseL32bsr2csr_block_per_row_2_7_kernelILj256ELj7E21rocsparse_complex_numIfEilEEv20rocsparse_direction_T3_S4_21rocsparse_index_base_PKT1_PKT2_PKS4_S4_S5_PS6_PS9_PS4_
                                        ; -- End function
	.set _ZN9rocsparseL32bsr2csr_block_per_row_2_7_kernelILj256ELj7E21rocsparse_complex_numIfEilEEv20rocsparse_direction_T3_S4_21rocsparse_index_base_PKT1_PKT2_PKS4_S4_S5_PS6_PS9_PS4_.num_vgpr, 41
	.set _ZN9rocsparseL32bsr2csr_block_per_row_2_7_kernelILj256ELj7E21rocsparse_complex_numIfEilEEv20rocsparse_direction_T3_S4_21rocsparse_index_base_PKT1_PKT2_PKS4_S4_S5_PS6_PS9_PS4_.num_agpr, 0
	.set _ZN9rocsparseL32bsr2csr_block_per_row_2_7_kernelILj256ELj7E21rocsparse_complex_numIfEilEEv20rocsparse_direction_T3_S4_21rocsparse_index_base_PKT1_PKT2_PKS4_S4_S5_PS6_PS9_PS4_.numbered_sgpr, 17
	.set _ZN9rocsparseL32bsr2csr_block_per_row_2_7_kernelILj256ELj7E21rocsparse_complex_numIfEilEEv20rocsparse_direction_T3_S4_21rocsparse_index_base_PKT1_PKT2_PKS4_S4_S5_PS6_PS9_PS4_.num_named_barrier, 0
	.set _ZN9rocsparseL32bsr2csr_block_per_row_2_7_kernelILj256ELj7E21rocsparse_complex_numIfEilEEv20rocsparse_direction_T3_S4_21rocsparse_index_base_PKT1_PKT2_PKS4_S4_S5_PS6_PS9_PS4_.private_seg_size, 0
	.set _ZN9rocsparseL32bsr2csr_block_per_row_2_7_kernelILj256ELj7E21rocsparse_complex_numIfEilEEv20rocsparse_direction_T3_S4_21rocsparse_index_base_PKT1_PKT2_PKS4_S4_S5_PS6_PS9_PS4_.uses_vcc, 1
	.set _ZN9rocsparseL32bsr2csr_block_per_row_2_7_kernelILj256ELj7E21rocsparse_complex_numIfEilEEv20rocsparse_direction_T3_S4_21rocsparse_index_base_PKT1_PKT2_PKS4_S4_S5_PS6_PS9_PS4_.uses_flat_scratch, 0
	.set _ZN9rocsparseL32bsr2csr_block_per_row_2_7_kernelILj256ELj7E21rocsparse_complex_numIfEilEEv20rocsparse_direction_T3_S4_21rocsparse_index_base_PKT1_PKT2_PKS4_S4_S5_PS6_PS9_PS4_.has_dyn_sized_stack, 0
	.set _ZN9rocsparseL32bsr2csr_block_per_row_2_7_kernelILj256ELj7E21rocsparse_complex_numIfEilEEv20rocsparse_direction_T3_S4_21rocsparse_index_base_PKT1_PKT2_PKS4_S4_S5_PS6_PS9_PS4_.has_recursion, 0
	.set _ZN9rocsparseL32bsr2csr_block_per_row_2_7_kernelILj256ELj7E21rocsparse_complex_numIfEilEEv20rocsparse_direction_T3_S4_21rocsparse_index_base_PKT1_PKT2_PKS4_S4_S5_PS6_PS9_PS4_.has_indirect_call, 0
	.section	.AMDGPU.csdata,"",@progbits
; Kernel info:
; codeLenInByte = 1036
; TotalNumSgprs: 19
; NumVgprs: 41
; ScratchSize: 0
; MemoryBound: 0
; FloatMode: 240
; IeeeMode: 1
; LDSByteSize: 0 bytes/workgroup (compile time only)
; SGPRBlocks: 0
; VGPRBlocks: 5
; NumSGPRsForWavesPerEU: 19
; NumVGPRsForWavesPerEU: 41
; Occupancy: 16
; WaveLimiterHint : 0
; COMPUTE_PGM_RSRC2:SCRATCH_EN: 0
; COMPUTE_PGM_RSRC2:USER_SGPR: 6
; COMPUTE_PGM_RSRC2:TRAP_HANDLER: 0
; COMPUTE_PGM_RSRC2:TGID_X_EN: 1
; COMPUTE_PGM_RSRC2:TGID_Y_EN: 0
; COMPUTE_PGM_RSRC2:TGID_Z_EN: 0
; COMPUTE_PGM_RSRC2:TIDIG_COMP_CNT: 0
	.section	.text._ZN9rocsparseL33bsr2csr_block_per_row_8_32_kernelILj1024ELj8E21rocsparse_complex_numIfEilEEv20rocsparse_direction_T3_S4_21rocsparse_index_base_PKT1_PKT2_PKS4_S4_S5_PS6_PS9_PS4_,"axG",@progbits,_ZN9rocsparseL33bsr2csr_block_per_row_8_32_kernelILj1024ELj8E21rocsparse_complex_numIfEilEEv20rocsparse_direction_T3_S4_21rocsparse_index_base_PKT1_PKT2_PKS4_S4_S5_PS6_PS9_PS4_,comdat
	.globl	_ZN9rocsparseL33bsr2csr_block_per_row_8_32_kernelILj1024ELj8E21rocsparse_complex_numIfEilEEv20rocsparse_direction_T3_S4_21rocsparse_index_base_PKT1_PKT2_PKS4_S4_S5_PS6_PS9_PS4_ ; -- Begin function _ZN9rocsparseL33bsr2csr_block_per_row_8_32_kernelILj1024ELj8E21rocsparse_complex_numIfEilEEv20rocsparse_direction_T3_S4_21rocsparse_index_base_PKT1_PKT2_PKS4_S4_S5_PS6_PS9_PS4_
	.p2align	8
	.type	_ZN9rocsparseL33bsr2csr_block_per_row_8_32_kernelILj1024ELj8E21rocsparse_complex_numIfEilEEv20rocsparse_direction_T3_S4_21rocsparse_index_base_PKT1_PKT2_PKS4_S4_S5_PS6_PS9_PS4_,@function
_ZN9rocsparseL33bsr2csr_block_per_row_8_32_kernelILj1024ELj8E21rocsparse_complex_numIfEilEEv20rocsparse_direction_T3_S4_21rocsparse_index_base_PKT1_PKT2_PKS4_S4_S5_PS6_PS9_PS4_: ; @_ZN9rocsparseL33bsr2csr_block_per_row_8_32_kernelILj1024ELj8E21rocsparse_complex_numIfEilEEv20rocsparse_direction_T3_S4_21rocsparse_index_base_PKT1_PKT2_PKS4_S4_S5_PS6_PS9_PS4_
; %bb.0:
	s_clause 0x2
	s_load_dwordx2 s[2:3], s[4:5], 0x28
	s_load_dword s1, s[4:5], 0x40
	s_load_dwordx2 s[8:9], s[4:5], 0x50
	s_mov_b32 s7, 0
	v_or_b32_e32 v1, s6, v0
	s_lshl_b64 s[10:11], s[6:7], 2
	s_mov_b32 s0, exec_lo
	s_waitcnt lgkmcnt(0)
	s_add_u32 s10, s2, s10
	s_addc_u32 s11, s3, s11
	v_cmpx_eq_u32_e32 0, v1
	s_cbranch_execz .LBB189_2
; %bb.1:
	v_mov_b32_e32 v1, 0
	v_mov_b32_e32 v2, s1
	global_store_dword v1, v2, s[8:9]
.LBB189_2:
	s_or_b32 exec_lo, exec_lo, s0
	s_load_dwordx2 s[2:3], s[4:5], 0x38
	v_mov_b32_e32 v2, 0
	v_bfe_u32 v3, v0, 3, 3
	v_and_b32_e32 v1, 7, v0
	v_mov_b32_e32 v4, v2
	s_waitcnt lgkmcnt(0)
	v_cmp_gt_i64_e32 vcc_lo, s[2:3], v[3:4]
	v_cmp_gt_i64_e64 s0, s[2:3], v[1:2]
	s_and_b32 s0, vcc_lo, s0
	s_and_saveexec_b32 s7, s0
	s_cbranch_execz .LBB189_6
; %bb.3:
	s_load_dwordx2 s[10:11], s[10:11], 0x0
	s_load_dword s12, s[4:5], 0x18
	v_lshrrev_b32_e32 v2, 6, v0
	s_mul_i32 s14, s2, s2
	s_mul_i32 s7, s3, s6
	v_lshlrev_b32_e32 v5, 2, v3
	s_waitcnt lgkmcnt(0)
	s_sub_i32 s0, s10, s12
	s_sub_i32 s13, s11, s12
	v_add_nc_u32_e32 v0, s0, v2
	s_sub_i32 s15, s13, s0
	s_mul_hi_u32 s11, s2, s6
	s_mul_i32 s10, s2, s15
	s_mul_i32 s6, s2, s6
	v_mul_lo_u32 v4, s10, v3
	s_add_i32 s7, s11, s7
	s_mul_i32 s11, s14, s0
	s_add_i32 s10, s1, s10
	s_lshl_b64 s[6:7], s[6:7], 2
	v_cmp_gt_i32_e32 vcc_lo, s13, v0
	s_add_u32 s6, s8, s6
	s_addc_u32 s7, s9, s7
	v_add3_u32 v4, s10, s11, v4
	global_store_dword v5, v4, s[6:7] offset:4
	s_and_b32 exec_lo, exec_lo, vcc_lo
	s_cbranch_execz .LBB189_6
; %bb.4:
	v_mad_u64_u32 v[4:5], null, s2, v1, 0
	v_mad_u64_u32 v[6:7], null, s2, v3, 0
	s_clause 0x4
	s_load_dwordx2 s[16:17], s[4:5], 0x20
	s_load_dwordx2 s[6:7], s[4:5], 0x58
	;; [unrolled: 1-line block ×4, first 2 shown]
	s_load_dword s5, s[4:5], 0x0
	v_mul_lo_u32 v10, s15, v3
	s_mul_i32 s0, s2, s0
	s_mul_i32 s18, s2, s3
	v_mad_u64_u32 v[8:9], null, s3, v1, v[5:6]
	v_lshlrev_b32_e32 v9, 3, v1
	s_mul_hi_u32 s19, s2, s2
	v_add3_u32 v2, v2, s0, v10
	s_add_i32 s4, s19, s18
	v_mov_b32_e32 v5, v8
	v_mad_u64_u32 v[7:8], null, s3, v3, v[7:8]
	v_lshlrev_b32_e32 v8, 3, v3
	s_add_i32 s4, s4, s18
	v_lshlrev_b64 v[4:5], 3, v[4:5]
	s_waitcnt lgkmcnt(0)
	s_cmp_eq_u32 s5, 0
	s_mov_b32 s5, 0
	v_add_co_u32 v11, vcc_lo, s16, v4
	v_lshlrev_b64 v[3:4], 3, v[6:7]
	v_add_co_ci_u32_e64 v5, null, s17, v5, vcc_lo
	v_add_co_u32 v7, vcc_lo, v11, v8
	v_add_co_ci_u32_e64 v8, null, 0, v5, vcc_lo
	v_add_co_u32 v3, vcc_lo, s16, v3
	v_add_co_ci_u32_e64 v4, null, s17, v4, vcc_lo
	v_mad_u64_u32 v[5:6], null, s2, v2, v[1:2]
	v_add_co_u32 v9, vcc_lo, v3, v9
	v_add_co_ci_u32_e64 v10, null, 0, v4, vcc_lo
	v_add_co_u32 v2, s0, v1, s1
	s_cselect_b32 vcc_lo, -1, 0
	v_add_co_ci_u32_e64 v3, null, 0, 0, s0
	v_mov_b32_e32 v4, 0
	v_cndmask_b32_e32 v6, v8, v10, vcc_lo
	v_cndmask_b32_e32 v7, v7, v9, vcc_lo
	s_lshl_b32 s15, s2, 4
.LBB189_5:                              ; =>This Inner Loop Header: Depth=1
	v_ashrrev_i32_e32 v1, 31, v0
	v_mul_lo_u32 v12, s4, v0
	v_mad_u64_u32 v[8:9], null, s14, v0, 0
	v_lshlrev_b64 v[10:11], 3, v[0:1]
	v_mul_lo_u32 v1, s14, v1
	v_add_nc_u32_e32 v0, 16, v0
	v_add_co_u32 v10, vcc_lo, s8, v10
	v_add_co_ci_u32_e64 v11, null, s9, v11, vcc_lo
	v_add3_u32 v9, v9, v1, v12
	v_ashrrev_i64 v[12:13], 29, v[4:5]
	global_load_dwordx2 v[10:11], v[10:11], off
	v_lshlrev_b64 v[8:9], 3, v[8:9]
	v_add_co_u32 v14, s0, s6, v12
	v_add_co_ci_u32_e64 v15, null, s7, v13, s0
	v_add_co_u32 v8, vcc_lo, v7, v8
	v_add_co_ci_u32_e64 v9, null, v6, v9, vcc_lo
	v_add_co_u32 v12, s0, s10, v12
	v_add_co_u32 v4, vcc_lo, v4, 0
	global_load_dwordx2 v[8:9], v[8:9], off
	v_add_co_ci_u32_e64 v13, null, s11, v13, s0
	v_cmp_le_i32_e64 s0, s13, v0
	v_add_co_ci_u32_e64 v5, null, s15, v5, vcc_lo
	s_or_b32 s5, s0, s5
	s_waitcnt vmcnt(1)
	v_sub_co_u32 v1, s1, v10, s12
	v_subrev_co_ci_u32_e64 v10, null, 0, v11, s1
	v_mul_lo_u32 v16, v1, s3
	v_mul_lo_u32 v17, v10, s2
	v_mad_u64_u32 v[10:11], null, v1, s2, v[2:3]
	v_add3_u32 v11, v17, v11, v16
	s_waitcnt vmcnt(0)
	global_store_dwordx2 v[12:13], v[8:9], off
	global_store_dwordx2 v[14:15], v[10:11], off
	s_andn2_b32 exec_lo, exec_lo, s5
	s_cbranch_execnz .LBB189_5
.LBB189_6:
	s_endpgm
	.section	.rodata,"a",@progbits
	.p2align	6, 0x0
	.amdhsa_kernel _ZN9rocsparseL33bsr2csr_block_per_row_8_32_kernelILj1024ELj8E21rocsparse_complex_numIfEilEEv20rocsparse_direction_T3_S4_21rocsparse_index_base_PKT1_PKT2_PKS4_S4_S5_PS6_PS9_PS4_
		.amdhsa_group_segment_fixed_size 0
		.amdhsa_private_segment_fixed_size 0
		.amdhsa_kernarg_size 96
		.amdhsa_user_sgpr_count 6
		.amdhsa_user_sgpr_private_segment_buffer 1
		.amdhsa_user_sgpr_dispatch_ptr 0
		.amdhsa_user_sgpr_queue_ptr 0
		.amdhsa_user_sgpr_kernarg_segment_ptr 1
		.amdhsa_user_sgpr_dispatch_id 0
		.amdhsa_user_sgpr_flat_scratch_init 0
		.amdhsa_user_sgpr_private_segment_size 0
		.amdhsa_wavefront_size32 1
		.amdhsa_uses_dynamic_stack 0
		.amdhsa_system_sgpr_private_segment_wavefront_offset 0
		.amdhsa_system_sgpr_workgroup_id_x 1
		.amdhsa_system_sgpr_workgroup_id_y 0
		.amdhsa_system_sgpr_workgroup_id_z 0
		.amdhsa_system_sgpr_workgroup_info 0
		.amdhsa_system_vgpr_workitem_id 0
		.amdhsa_next_free_vgpr 18
		.amdhsa_next_free_sgpr 20
		.amdhsa_reserve_vcc 1
		.amdhsa_reserve_flat_scratch 0
		.amdhsa_float_round_mode_32 0
		.amdhsa_float_round_mode_16_64 0
		.amdhsa_float_denorm_mode_32 3
		.amdhsa_float_denorm_mode_16_64 3
		.amdhsa_dx10_clamp 1
		.amdhsa_ieee_mode 1
		.amdhsa_fp16_overflow 0
		.amdhsa_workgroup_processor_mode 1
		.amdhsa_memory_ordered 1
		.amdhsa_forward_progress 1
		.amdhsa_shared_vgpr_count 0
		.amdhsa_exception_fp_ieee_invalid_op 0
		.amdhsa_exception_fp_denorm_src 0
		.amdhsa_exception_fp_ieee_div_zero 0
		.amdhsa_exception_fp_ieee_overflow 0
		.amdhsa_exception_fp_ieee_underflow 0
		.amdhsa_exception_fp_ieee_inexact 0
		.amdhsa_exception_int_div_zero 0
	.end_amdhsa_kernel
	.section	.text._ZN9rocsparseL33bsr2csr_block_per_row_8_32_kernelILj1024ELj8E21rocsparse_complex_numIfEilEEv20rocsparse_direction_T3_S4_21rocsparse_index_base_PKT1_PKT2_PKS4_S4_S5_PS6_PS9_PS4_,"axG",@progbits,_ZN9rocsparseL33bsr2csr_block_per_row_8_32_kernelILj1024ELj8E21rocsparse_complex_numIfEilEEv20rocsparse_direction_T3_S4_21rocsparse_index_base_PKT1_PKT2_PKS4_S4_S5_PS6_PS9_PS4_,comdat
.Lfunc_end189:
	.size	_ZN9rocsparseL33bsr2csr_block_per_row_8_32_kernelILj1024ELj8E21rocsparse_complex_numIfEilEEv20rocsparse_direction_T3_S4_21rocsparse_index_base_PKT1_PKT2_PKS4_S4_S5_PS6_PS9_PS4_, .Lfunc_end189-_ZN9rocsparseL33bsr2csr_block_per_row_8_32_kernelILj1024ELj8E21rocsparse_complex_numIfEilEEv20rocsparse_direction_T3_S4_21rocsparse_index_base_PKT1_PKT2_PKS4_S4_S5_PS6_PS9_PS4_
                                        ; -- End function
	.set _ZN9rocsparseL33bsr2csr_block_per_row_8_32_kernelILj1024ELj8E21rocsparse_complex_numIfEilEEv20rocsparse_direction_T3_S4_21rocsparse_index_base_PKT1_PKT2_PKS4_S4_S5_PS6_PS9_PS4_.num_vgpr, 18
	.set _ZN9rocsparseL33bsr2csr_block_per_row_8_32_kernelILj1024ELj8E21rocsparse_complex_numIfEilEEv20rocsparse_direction_T3_S4_21rocsparse_index_base_PKT1_PKT2_PKS4_S4_S5_PS6_PS9_PS4_.num_agpr, 0
	.set _ZN9rocsparseL33bsr2csr_block_per_row_8_32_kernelILj1024ELj8E21rocsparse_complex_numIfEilEEv20rocsparse_direction_T3_S4_21rocsparse_index_base_PKT1_PKT2_PKS4_S4_S5_PS6_PS9_PS4_.numbered_sgpr, 20
	.set _ZN9rocsparseL33bsr2csr_block_per_row_8_32_kernelILj1024ELj8E21rocsparse_complex_numIfEilEEv20rocsparse_direction_T3_S4_21rocsparse_index_base_PKT1_PKT2_PKS4_S4_S5_PS6_PS9_PS4_.num_named_barrier, 0
	.set _ZN9rocsparseL33bsr2csr_block_per_row_8_32_kernelILj1024ELj8E21rocsparse_complex_numIfEilEEv20rocsparse_direction_T3_S4_21rocsparse_index_base_PKT1_PKT2_PKS4_S4_S5_PS6_PS9_PS4_.private_seg_size, 0
	.set _ZN9rocsparseL33bsr2csr_block_per_row_8_32_kernelILj1024ELj8E21rocsparse_complex_numIfEilEEv20rocsparse_direction_T3_S4_21rocsparse_index_base_PKT1_PKT2_PKS4_S4_S5_PS6_PS9_PS4_.uses_vcc, 1
	.set _ZN9rocsparseL33bsr2csr_block_per_row_8_32_kernelILj1024ELj8E21rocsparse_complex_numIfEilEEv20rocsparse_direction_T3_S4_21rocsparse_index_base_PKT1_PKT2_PKS4_S4_S5_PS6_PS9_PS4_.uses_flat_scratch, 0
	.set _ZN9rocsparseL33bsr2csr_block_per_row_8_32_kernelILj1024ELj8E21rocsparse_complex_numIfEilEEv20rocsparse_direction_T3_S4_21rocsparse_index_base_PKT1_PKT2_PKS4_S4_S5_PS6_PS9_PS4_.has_dyn_sized_stack, 0
	.set _ZN9rocsparseL33bsr2csr_block_per_row_8_32_kernelILj1024ELj8E21rocsparse_complex_numIfEilEEv20rocsparse_direction_T3_S4_21rocsparse_index_base_PKT1_PKT2_PKS4_S4_S5_PS6_PS9_PS4_.has_recursion, 0
	.set _ZN9rocsparseL33bsr2csr_block_per_row_8_32_kernelILj1024ELj8E21rocsparse_complex_numIfEilEEv20rocsparse_direction_T3_S4_21rocsparse_index_base_PKT1_PKT2_PKS4_S4_S5_PS6_PS9_PS4_.has_indirect_call, 0
	.section	.AMDGPU.csdata,"",@progbits
; Kernel info:
; codeLenInByte = 780
; TotalNumSgprs: 22
; NumVgprs: 18
; ScratchSize: 0
; MemoryBound: 0
; FloatMode: 240
; IeeeMode: 1
; LDSByteSize: 0 bytes/workgroup (compile time only)
; SGPRBlocks: 0
; VGPRBlocks: 2
; NumSGPRsForWavesPerEU: 22
; NumVGPRsForWavesPerEU: 18
; Occupancy: 16
; WaveLimiterHint : 0
; COMPUTE_PGM_RSRC2:SCRATCH_EN: 0
; COMPUTE_PGM_RSRC2:USER_SGPR: 6
; COMPUTE_PGM_RSRC2:TRAP_HANDLER: 0
; COMPUTE_PGM_RSRC2:TGID_X_EN: 1
; COMPUTE_PGM_RSRC2:TGID_Y_EN: 0
; COMPUTE_PGM_RSRC2:TGID_Z_EN: 0
; COMPUTE_PGM_RSRC2:TIDIG_COMP_CNT: 0
	.section	.text._ZN9rocsparseL33bsr2csr_block_per_row_8_32_kernelILj1024ELj16E21rocsparse_complex_numIfEilEEv20rocsparse_direction_T3_S4_21rocsparse_index_base_PKT1_PKT2_PKS4_S4_S5_PS6_PS9_PS4_,"axG",@progbits,_ZN9rocsparseL33bsr2csr_block_per_row_8_32_kernelILj1024ELj16E21rocsparse_complex_numIfEilEEv20rocsparse_direction_T3_S4_21rocsparse_index_base_PKT1_PKT2_PKS4_S4_S5_PS6_PS9_PS4_,comdat
	.globl	_ZN9rocsparseL33bsr2csr_block_per_row_8_32_kernelILj1024ELj16E21rocsparse_complex_numIfEilEEv20rocsparse_direction_T3_S4_21rocsparse_index_base_PKT1_PKT2_PKS4_S4_S5_PS6_PS9_PS4_ ; -- Begin function _ZN9rocsparseL33bsr2csr_block_per_row_8_32_kernelILj1024ELj16E21rocsparse_complex_numIfEilEEv20rocsparse_direction_T3_S4_21rocsparse_index_base_PKT1_PKT2_PKS4_S4_S5_PS6_PS9_PS4_
	.p2align	8
	.type	_ZN9rocsparseL33bsr2csr_block_per_row_8_32_kernelILj1024ELj16E21rocsparse_complex_numIfEilEEv20rocsparse_direction_T3_S4_21rocsparse_index_base_PKT1_PKT2_PKS4_S4_S5_PS6_PS9_PS4_,@function
_ZN9rocsparseL33bsr2csr_block_per_row_8_32_kernelILj1024ELj16E21rocsparse_complex_numIfEilEEv20rocsparse_direction_T3_S4_21rocsparse_index_base_PKT1_PKT2_PKS4_S4_S5_PS6_PS9_PS4_: ; @_ZN9rocsparseL33bsr2csr_block_per_row_8_32_kernelILj1024ELj16E21rocsparse_complex_numIfEilEEv20rocsparse_direction_T3_S4_21rocsparse_index_base_PKT1_PKT2_PKS4_S4_S5_PS6_PS9_PS4_
; %bb.0:
	s_clause 0x2
	s_load_dwordx2 s[2:3], s[4:5], 0x28
	s_load_dword s1, s[4:5], 0x40
	s_load_dwordx2 s[8:9], s[4:5], 0x50
	s_mov_b32 s7, 0
	v_or_b32_e32 v1, s6, v0
	s_lshl_b64 s[10:11], s[6:7], 2
	s_mov_b32 s0, exec_lo
	s_waitcnt lgkmcnt(0)
	s_add_u32 s10, s2, s10
	s_addc_u32 s11, s3, s11
	v_cmpx_eq_u32_e32 0, v1
	s_cbranch_execz .LBB190_2
; %bb.1:
	v_mov_b32_e32 v1, 0
	v_mov_b32_e32 v2, s1
	global_store_dword v1, v2, s[8:9]
.LBB190_2:
	s_or_b32 exec_lo, exec_lo, s0
	s_load_dwordx2 s[2:3], s[4:5], 0x38
	v_mov_b32_e32 v2, 0
	v_bfe_u32 v3, v0, 4, 4
	v_and_b32_e32 v1, 15, v0
	v_mov_b32_e32 v4, v2
	s_waitcnt lgkmcnt(0)
	v_cmp_gt_i64_e32 vcc_lo, s[2:3], v[3:4]
	v_cmp_gt_i64_e64 s0, s[2:3], v[1:2]
	s_and_b32 s0, vcc_lo, s0
	s_and_saveexec_b32 s7, s0
	s_cbranch_execz .LBB190_6
; %bb.3:
	s_load_dwordx2 s[10:11], s[10:11], 0x0
	s_load_dword s12, s[4:5], 0x18
	v_lshrrev_b32_e32 v2, 8, v0
	s_mul_i32 s14, s2, s2
	s_mul_i32 s7, s3, s6
	v_lshlrev_b32_e32 v5, 2, v3
	s_waitcnt lgkmcnt(0)
	s_sub_i32 s0, s10, s12
	s_sub_i32 s13, s11, s12
	v_add_nc_u32_e32 v0, s0, v2
	s_sub_i32 s15, s13, s0
	s_mul_hi_u32 s11, s2, s6
	s_mul_i32 s10, s2, s15
	s_mul_i32 s6, s2, s6
	v_mul_lo_u32 v4, s10, v3
	s_add_i32 s7, s11, s7
	s_mul_i32 s11, s14, s0
	s_add_i32 s10, s1, s10
	s_lshl_b64 s[6:7], s[6:7], 2
	v_cmp_gt_i32_e32 vcc_lo, s13, v0
	s_add_u32 s6, s8, s6
	s_addc_u32 s7, s9, s7
	v_add3_u32 v4, s10, s11, v4
	global_store_dword v5, v4, s[6:7] offset:4
	s_and_b32 exec_lo, exec_lo, vcc_lo
	s_cbranch_execz .LBB190_6
; %bb.4:
	v_mad_u64_u32 v[4:5], null, s2, v1, 0
	v_mad_u64_u32 v[6:7], null, s2, v3, 0
	s_clause 0x4
	s_load_dwordx2 s[16:17], s[4:5], 0x20
	s_load_dwordx2 s[6:7], s[4:5], 0x58
	;; [unrolled: 1-line block ×4, first 2 shown]
	s_load_dword s5, s[4:5], 0x0
	v_mul_lo_u32 v10, s15, v3
	s_mul_i32 s0, s2, s0
	s_mul_i32 s18, s2, s3
	v_mad_u64_u32 v[8:9], null, s3, v1, v[5:6]
	v_lshlrev_b32_e32 v9, 3, v1
	s_mul_hi_u32 s19, s2, s2
	v_add3_u32 v2, v2, s0, v10
	s_add_i32 s4, s19, s18
	v_mov_b32_e32 v5, v8
	v_mad_u64_u32 v[7:8], null, s3, v3, v[7:8]
	v_lshlrev_b32_e32 v8, 3, v3
	s_add_i32 s4, s4, s18
	v_lshlrev_b64 v[4:5], 3, v[4:5]
	s_waitcnt lgkmcnt(0)
	s_cmp_eq_u32 s5, 0
	s_mov_b32 s5, 0
	v_add_co_u32 v11, vcc_lo, s16, v4
	v_lshlrev_b64 v[3:4], 3, v[6:7]
	v_add_co_ci_u32_e64 v5, null, s17, v5, vcc_lo
	v_add_co_u32 v7, vcc_lo, v11, v8
	v_add_co_ci_u32_e64 v8, null, 0, v5, vcc_lo
	v_add_co_u32 v3, vcc_lo, s16, v3
	v_add_co_ci_u32_e64 v4, null, s17, v4, vcc_lo
	v_mad_u64_u32 v[5:6], null, s2, v2, v[1:2]
	v_add_co_u32 v9, vcc_lo, v3, v9
	v_add_co_ci_u32_e64 v10, null, 0, v4, vcc_lo
	v_add_co_u32 v2, s0, v1, s1
	s_cselect_b32 vcc_lo, -1, 0
	v_add_co_ci_u32_e64 v3, null, 0, 0, s0
	v_mov_b32_e32 v4, 0
	v_cndmask_b32_e32 v6, v8, v10, vcc_lo
	v_cndmask_b32_e32 v7, v7, v9, vcc_lo
	s_lshl_b32 s15, s2, 2
.LBB190_5:                              ; =>This Inner Loop Header: Depth=1
	v_ashrrev_i32_e32 v1, 31, v0
	v_mul_lo_u32 v12, s4, v0
	v_mad_u64_u32 v[8:9], null, s14, v0, 0
	v_lshlrev_b64 v[10:11], 3, v[0:1]
	v_mul_lo_u32 v1, s14, v1
	v_add_nc_u32_e32 v0, 4, v0
	v_add_co_u32 v10, vcc_lo, s8, v10
	v_add_co_ci_u32_e64 v11, null, s9, v11, vcc_lo
	v_add3_u32 v9, v9, v1, v12
	v_ashrrev_i64 v[12:13], 29, v[4:5]
	global_load_dwordx2 v[10:11], v[10:11], off
	v_lshlrev_b64 v[8:9], 3, v[8:9]
	v_add_co_u32 v14, s0, s6, v12
	v_add_co_ci_u32_e64 v15, null, s7, v13, s0
	v_add_co_u32 v8, vcc_lo, v7, v8
	v_add_co_ci_u32_e64 v9, null, v6, v9, vcc_lo
	v_add_co_u32 v12, s0, s10, v12
	v_add_co_u32 v4, vcc_lo, v4, 0
	global_load_dwordx2 v[8:9], v[8:9], off
	v_add_co_ci_u32_e64 v13, null, s11, v13, s0
	v_cmp_le_i32_e64 s0, s13, v0
	v_add_co_ci_u32_e64 v5, null, s15, v5, vcc_lo
	s_or_b32 s5, s0, s5
	s_waitcnt vmcnt(1)
	v_sub_co_u32 v1, s1, v10, s12
	v_subrev_co_ci_u32_e64 v10, null, 0, v11, s1
	v_mul_lo_u32 v16, v1, s3
	v_mul_lo_u32 v17, v10, s2
	v_mad_u64_u32 v[10:11], null, v1, s2, v[2:3]
	v_add3_u32 v11, v17, v11, v16
	s_waitcnt vmcnt(0)
	global_store_dwordx2 v[12:13], v[8:9], off
	global_store_dwordx2 v[14:15], v[10:11], off
	s_andn2_b32 exec_lo, exec_lo, s5
	s_cbranch_execnz .LBB190_5
.LBB190_6:
	s_endpgm
	.section	.rodata,"a",@progbits
	.p2align	6, 0x0
	.amdhsa_kernel _ZN9rocsparseL33bsr2csr_block_per_row_8_32_kernelILj1024ELj16E21rocsparse_complex_numIfEilEEv20rocsparse_direction_T3_S4_21rocsparse_index_base_PKT1_PKT2_PKS4_S4_S5_PS6_PS9_PS4_
		.amdhsa_group_segment_fixed_size 0
		.amdhsa_private_segment_fixed_size 0
		.amdhsa_kernarg_size 96
		.amdhsa_user_sgpr_count 6
		.amdhsa_user_sgpr_private_segment_buffer 1
		.amdhsa_user_sgpr_dispatch_ptr 0
		.amdhsa_user_sgpr_queue_ptr 0
		.amdhsa_user_sgpr_kernarg_segment_ptr 1
		.amdhsa_user_sgpr_dispatch_id 0
		.amdhsa_user_sgpr_flat_scratch_init 0
		.amdhsa_user_sgpr_private_segment_size 0
		.amdhsa_wavefront_size32 1
		.amdhsa_uses_dynamic_stack 0
		.amdhsa_system_sgpr_private_segment_wavefront_offset 0
		.amdhsa_system_sgpr_workgroup_id_x 1
		.amdhsa_system_sgpr_workgroup_id_y 0
		.amdhsa_system_sgpr_workgroup_id_z 0
		.amdhsa_system_sgpr_workgroup_info 0
		.amdhsa_system_vgpr_workitem_id 0
		.amdhsa_next_free_vgpr 18
		.amdhsa_next_free_sgpr 20
		.amdhsa_reserve_vcc 1
		.amdhsa_reserve_flat_scratch 0
		.amdhsa_float_round_mode_32 0
		.amdhsa_float_round_mode_16_64 0
		.amdhsa_float_denorm_mode_32 3
		.amdhsa_float_denorm_mode_16_64 3
		.amdhsa_dx10_clamp 1
		.amdhsa_ieee_mode 1
		.amdhsa_fp16_overflow 0
		.amdhsa_workgroup_processor_mode 1
		.amdhsa_memory_ordered 1
		.amdhsa_forward_progress 1
		.amdhsa_shared_vgpr_count 0
		.amdhsa_exception_fp_ieee_invalid_op 0
		.amdhsa_exception_fp_denorm_src 0
		.amdhsa_exception_fp_ieee_div_zero 0
		.amdhsa_exception_fp_ieee_overflow 0
		.amdhsa_exception_fp_ieee_underflow 0
		.amdhsa_exception_fp_ieee_inexact 0
		.amdhsa_exception_int_div_zero 0
	.end_amdhsa_kernel
	.section	.text._ZN9rocsparseL33bsr2csr_block_per_row_8_32_kernelILj1024ELj16E21rocsparse_complex_numIfEilEEv20rocsparse_direction_T3_S4_21rocsparse_index_base_PKT1_PKT2_PKS4_S4_S5_PS6_PS9_PS4_,"axG",@progbits,_ZN9rocsparseL33bsr2csr_block_per_row_8_32_kernelILj1024ELj16E21rocsparse_complex_numIfEilEEv20rocsparse_direction_T3_S4_21rocsparse_index_base_PKT1_PKT2_PKS4_S4_S5_PS6_PS9_PS4_,comdat
.Lfunc_end190:
	.size	_ZN9rocsparseL33bsr2csr_block_per_row_8_32_kernelILj1024ELj16E21rocsparse_complex_numIfEilEEv20rocsparse_direction_T3_S4_21rocsparse_index_base_PKT1_PKT2_PKS4_S4_S5_PS6_PS9_PS4_, .Lfunc_end190-_ZN9rocsparseL33bsr2csr_block_per_row_8_32_kernelILj1024ELj16E21rocsparse_complex_numIfEilEEv20rocsparse_direction_T3_S4_21rocsparse_index_base_PKT1_PKT2_PKS4_S4_S5_PS6_PS9_PS4_
                                        ; -- End function
	.set _ZN9rocsparseL33bsr2csr_block_per_row_8_32_kernelILj1024ELj16E21rocsparse_complex_numIfEilEEv20rocsparse_direction_T3_S4_21rocsparse_index_base_PKT1_PKT2_PKS4_S4_S5_PS6_PS9_PS4_.num_vgpr, 18
	.set _ZN9rocsparseL33bsr2csr_block_per_row_8_32_kernelILj1024ELj16E21rocsparse_complex_numIfEilEEv20rocsparse_direction_T3_S4_21rocsparse_index_base_PKT1_PKT2_PKS4_S4_S5_PS6_PS9_PS4_.num_agpr, 0
	.set _ZN9rocsparseL33bsr2csr_block_per_row_8_32_kernelILj1024ELj16E21rocsparse_complex_numIfEilEEv20rocsparse_direction_T3_S4_21rocsparse_index_base_PKT1_PKT2_PKS4_S4_S5_PS6_PS9_PS4_.numbered_sgpr, 20
	.set _ZN9rocsparseL33bsr2csr_block_per_row_8_32_kernelILj1024ELj16E21rocsparse_complex_numIfEilEEv20rocsparse_direction_T3_S4_21rocsparse_index_base_PKT1_PKT2_PKS4_S4_S5_PS6_PS9_PS4_.num_named_barrier, 0
	.set _ZN9rocsparseL33bsr2csr_block_per_row_8_32_kernelILj1024ELj16E21rocsparse_complex_numIfEilEEv20rocsparse_direction_T3_S4_21rocsparse_index_base_PKT1_PKT2_PKS4_S4_S5_PS6_PS9_PS4_.private_seg_size, 0
	.set _ZN9rocsparseL33bsr2csr_block_per_row_8_32_kernelILj1024ELj16E21rocsparse_complex_numIfEilEEv20rocsparse_direction_T3_S4_21rocsparse_index_base_PKT1_PKT2_PKS4_S4_S5_PS6_PS9_PS4_.uses_vcc, 1
	.set _ZN9rocsparseL33bsr2csr_block_per_row_8_32_kernelILj1024ELj16E21rocsparse_complex_numIfEilEEv20rocsparse_direction_T3_S4_21rocsparse_index_base_PKT1_PKT2_PKS4_S4_S5_PS6_PS9_PS4_.uses_flat_scratch, 0
	.set _ZN9rocsparseL33bsr2csr_block_per_row_8_32_kernelILj1024ELj16E21rocsparse_complex_numIfEilEEv20rocsparse_direction_T3_S4_21rocsparse_index_base_PKT1_PKT2_PKS4_S4_S5_PS6_PS9_PS4_.has_dyn_sized_stack, 0
	.set _ZN9rocsparseL33bsr2csr_block_per_row_8_32_kernelILj1024ELj16E21rocsparse_complex_numIfEilEEv20rocsparse_direction_T3_S4_21rocsparse_index_base_PKT1_PKT2_PKS4_S4_S5_PS6_PS9_PS4_.has_recursion, 0
	.set _ZN9rocsparseL33bsr2csr_block_per_row_8_32_kernelILj1024ELj16E21rocsparse_complex_numIfEilEEv20rocsparse_direction_T3_S4_21rocsparse_index_base_PKT1_PKT2_PKS4_S4_S5_PS6_PS9_PS4_.has_indirect_call, 0
	.section	.AMDGPU.csdata,"",@progbits
; Kernel info:
; codeLenInByte = 780
; TotalNumSgprs: 22
; NumVgprs: 18
; ScratchSize: 0
; MemoryBound: 0
; FloatMode: 240
; IeeeMode: 1
; LDSByteSize: 0 bytes/workgroup (compile time only)
; SGPRBlocks: 0
; VGPRBlocks: 2
; NumSGPRsForWavesPerEU: 22
; NumVGPRsForWavesPerEU: 18
; Occupancy: 16
; WaveLimiterHint : 0
; COMPUTE_PGM_RSRC2:SCRATCH_EN: 0
; COMPUTE_PGM_RSRC2:USER_SGPR: 6
; COMPUTE_PGM_RSRC2:TRAP_HANDLER: 0
; COMPUTE_PGM_RSRC2:TGID_X_EN: 1
; COMPUTE_PGM_RSRC2:TGID_Y_EN: 0
; COMPUTE_PGM_RSRC2:TGID_Z_EN: 0
; COMPUTE_PGM_RSRC2:TIDIG_COMP_CNT: 0
	.section	.text._ZN9rocsparseL33bsr2csr_block_per_row_8_32_kernelILj1024ELj32E21rocsparse_complex_numIfEilEEv20rocsparse_direction_T3_S4_21rocsparse_index_base_PKT1_PKT2_PKS4_S4_S5_PS6_PS9_PS4_,"axG",@progbits,_ZN9rocsparseL33bsr2csr_block_per_row_8_32_kernelILj1024ELj32E21rocsparse_complex_numIfEilEEv20rocsparse_direction_T3_S4_21rocsparse_index_base_PKT1_PKT2_PKS4_S4_S5_PS6_PS9_PS4_,comdat
	.globl	_ZN9rocsparseL33bsr2csr_block_per_row_8_32_kernelILj1024ELj32E21rocsparse_complex_numIfEilEEv20rocsparse_direction_T3_S4_21rocsparse_index_base_PKT1_PKT2_PKS4_S4_S5_PS6_PS9_PS4_ ; -- Begin function _ZN9rocsparseL33bsr2csr_block_per_row_8_32_kernelILj1024ELj32E21rocsparse_complex_numIfEilEEv20rocsparse_direction_T3_S4_21rocsparse_index_base_PKT1_PKT2_PKS4_S4_S5_PS6_PS9_PS4_
	.p2align	8
	.type	_ZN9rocsparseL33bsr2csr_block_per_row_8_32_kernelILj1024ELj32E21rocsparse_complex_numIfEilEEv20rocsparse_direction_T3_S4_21rocsparse_index_base_PKT1_PKT2_PKS4_S4_S5_PS6_PS9_PS4_,@function
_ZN9rocsparseL33bsr2csr_block_per_row_8_32_kernelILj1024ELj32E21rocsparse_complex_numIfEilEEv20rocsparse_direction_T3_S4_21rocsparse_index_base_PKT1_PKT2_PKS4_S4_S5_PS6_PS9_PS4_: ; @_ZN9rocsparseL33bsr2csr_block_per_row_8_32_kernelILj1024ELj32E21rocsparse_complex_numIfEilEEv20rocsparse_direction_T3_S4_21rocsparse_index_base_PKT1_PKT2_PKS4_S4_S5_PS6_PS9_PS4_
; %bb.0:
	s_clause 0x2
	s_load_dwordx2 s[2:3], s[4:5], 0x28
	s_load_dword s1, s[4:5], 0x40
	s_load_dwordx2 s[10:11], s[4:5], 0x50
	s_mov_b32 s7, 0
	v_or_b32_e32 v1, s6, v0
	s_lshl_b64 s[8:9], s[6:7], 2
	s_mov_b32 s0, exec_lo
	s_waitcnt lgkmcnt(0)
	s_add_u32 s8, s2, s8
	s_addc_u32 s9, s3, s9
	v_cmpx_eq_u32_e32 0, v1
	s_cbranch_execz .LBB191_2
; %bb.1:
	v_mov_b32_e32 v1, 0
	v_mov_b32_e32 v2, s1
	global_store_dword v1, v2, s[10:11]
.LBB191_2:
	s_or_b32 exec_lo, exec_lo, s0
	s_load_dwordx2 s[2:3], s[4:5], 0x38
	v_mov_b32_e32 v1, 0
	v_lshrrev_b32_e32 v2, 5, v0
	v_and_b32_e32 v0, 31, v0
	v_mov_b32_e32 v3, v1
	s_waitcnt lgkmcnt(0)
	v_cmp_gt_i64_e32 vcc_lo, s[2:3], v[2:3]
	v_cmp_gt_i64_e64 s0, s[2:3], v[0:1]
	s_and_b32 s0, vcc_lo, s0
	s_and_saveexec_b32 s7, s0
	s_cbranch_execz .LBB191_6
; %bb.3:
	s_load_dwordx2 s[14:15], s[8:9], 0x0
	s_load_dword s12, s[4:5], 0x18
	s_mul_i32 s7, s3, s6
	s_mul_hi_u32 s17, s2, s6
	s_mul_i32 s8, s2, s2
	s_mul_i32 s6, s2, s6
	s_add_i32 s7, s17, s7
	v_lshlrev_b32_e32 v3, 2, v2
	s_lshl_b64 s[6:7], s[6:7], 2
	s_waitcnt lgkmcnt(0)
	s_sub_i32 s0, s14, s12
	s_sub_i32 s13, s15, s12
	s_mul_i32 s17, s8, s0
	s_sub_i32 s9, s13, s0
	s_mul_i32 s16, s2, s9
	v_mul_lo_u32 v1, s16, v2
	s_add_i32 s16, s1, s16
	s_add_u32 s6, s10, s6
	s_addc_u32 s7, s11, s7
	s_cmp_ge_i32 s14, s15
	v_add3_u32 v1, s16, s17, v1
	global_store_dword v3, v1, s[6:7] offset:4
	s_cbranch_scc1 .LBB191_6
; %bb.4:
	v_mad_u64_u32 v[3:4], null, s2, v0, 0
	v_mad_u64_u32 v[5:6], null, s2, v2, 0
	s_clause 0x3
	s_load_dwordx2 s[10:11], s[4:5], 0x30
	s_load_dwordx2 s[6:7], s[4:5], 0x48
	s_load_dword s16, s[4:5], 0x0
	s_load_dwordx2 s[14:15], s[4:5], 0x20
	v_lshlrev_b32_e32 v9, 3, v0
	s_mul_i32 s17, s2, s3
	s_mul_hi_u32 s18, s2, s2
	v_mov_b32_e32 v1, v4
	s_add_i32 s18, s18, s17
	v_mov_b32_e32 v4, v6
	s_load_dwordx2 s[4:5], s[4:5], 0x58
	v_mad_u64_u32 v[6:7], null, s3, v0, v[1:2]
	v_mad_u64_u32 v[7:8], null, s3, v2, v[4:5]
	v_lshlrev_b32_e32 v8, 3, v2
	v_mul_lo_u32 v1, v2, s9
	s_add_i32 s9, s18, s17
	v_mov_b32_e32 v4, v6
	v_mov_b32_e32 v6, v7
	s_waitcnt lgkmcnt(0)
	s_cmp_eq_u32 s16, 0
	v_lshlrev_b64 v[3:4], 3, v[3:4]
	v_lshlrev_b64 v[5:6], 3, v[5:6]
	v_add_co_u32 v2, vcc_lo, s14, v3
	v_add_co_ci_u32_e64 v3, null, s15, v4, vcc_lo
	v_add_co_u32 v4, vcc_lo, s14, v5
	v_add_co_ci_u32_e64 v5, null, s15, v6, vcc_lo
	;; [unrolled: 2-line block ×4, first 2 shown]
	v_mad_u64_u32 v[4:5], null, s2, s0, v[1:2]
	v_add_co_u32 v1, s1, v0, s1
	v_add_co_ci_u32_e64 v2, null, 0, 0, s1
	s_cselect_b32 vcc_lo, -1, 0
	s_ashr_i32 s1, s0, 31
	v_mad_u64_u32 v[4:5], null, s2, v4, v[0:1]
	s_lshl_b64 s[14:15], s[0:1], 3
	s_mul_i32 s1, s8, s1
	s_add_u32 s10, s10, s14
	s_mul_hi_u32 s14, s8, s0
	s_addc_u32 s11, s11, s15
	s_add_i32 s1, s14, s1
	s_mul_i32 s14, s9, s0
	v_cndmask_b32_e32 v0, v6, v8, vcc_lo
	s_add_i32 s15, s1, s14
	s_mul_i32 s14, s8, s0
	v_cndmask_b32_e32 v7, v7, v9, vcc_lo
	s_lshl_b64 s[14:15], s[14:15], 3
	v_mov_b32_e32 v3, 0
	v_add_co_u32 v5, vcc_lo, v0, s14
	v_add_co_ci_u32_e64 v6, null, s15, v7, vcc_lo
	s_mov_b32 s1, s2
	s_lshl_b64 s[8:9], s[8:9], 3
	s_inst_prefetch 0x1
	.p2align	6
.LBB191_5:                              ; =>This Inner Loop Header: Depth=1
	global_load_dwordx2 v[7:8], v[5:6], off
	s_load_dwordx2 s[14:15], s[10:11], 0x0
	v_ashrrev_i64 v[9:10], 29, v[3:4]
	v_add_co_u32 v3, vcc_lo, v3, 0
	v_add_co_ci_u32_e64 v4, null, s1, v4, vcc_lo
	v_add_co_u32 v5, vcc_lo, v5, s8
	v_add_co_ci_u32_e64 v6, null, s9, v6, vcc_lo
	v_add_co_u32 v11, vcc_lo, s4, v9
	v_add_co_ci_u32_e64 v12, null, s5, v10, vcc_lo
	v_add_co_u32 v9, vcc_lo, s6, v9
	v_add_co_ci_u32_e64 v10, null, s7, v10, vcc_lo
	s_waitcnt lgkmcnt(0)
	s_sub_u32 s14, s14, s12
	s_subb_u32 s15, s15, 0
	v_mad_u64_u32 v[13:14], null, s14, s2, v[1:2]
	s_mul_i32 s14, s14, s3
	s_mul_i32 s15, s15, s2
	s_add_i32 s0, s0, 1
	s_add_u32 s10, s10, 8
	s_addc_u32 s11, s11, 0
	s_cmp_lt_i32 s0, s13
	v_add3_u32 v14, s14, s15, v14
	global_store_dwordx2 v[11:12], v[13:14], off
	s_waitcnt vmcnt(0)
	global_store_dwordx2 v[9:10], v[7:8], off
	s_cbranch_scc1 .LBB191_5
.LBB191_6:
	s_inst_prefetch 0x2
	s_endpgm
	.section	.rodata,"a",@progbits
	.p2align	6, 0x0
	.amdhsa_kernel _ZN9rocsparseL33bsr2csr_block_per_row_8_32_kernelILj1024ELj32E21rocsparse_complex_numIfEilEEv20rocsparse_direction_T3_S4_21rocsparse_index_base_PKT1_PKT2_PKS4_S4_S5_PS6_PS9_PS4_
		.amdhsa_group_segment_fixed_size 0
		.amdhsa_private_segment_fixed_size 0
		.amdhsa_kernarg_size 96
		.amdhsa_user_sgpr_count 6
		.amdhsa_user_sgpr_private_segment_buffer 1
		.amdhsa_user_sgpr_dispatch_ptr 0
		.amdhsa_user_sgpr_queue_ptr 0
		.amdhsa_user_sgpr_kernarg_segment_ptr 1
		.amdhsa_user_sgpr_dispatch_id 0
		.amdhsa_user_sgpr_flat_scratch_init 0
		.amdhsa_user_sgpr_private_segment_size 0
		.amdhsa_wavefront_size32 1
		.amdhsa_uses_dynamic_stack 0
		.amdhsa_system_sgpr_private_segment_wavefront_offset 0
		.amdhsa_system_sgpr_workgroup_id_x 1
		.amdhsa_system_sgpr_workgroup_id_y 0
		.amdhsa_system_sgpr_workgroup_id_z 0
		.amdhsa_system_sgpr_workgroup_info 0
		.amdhsa_system_vgpr_workitem_id 0
		.amdhsa_next_free_vgpr 15
		.amdhsa_next_free_sgpr 19
		.amdhsa_reserve_vcc 1
		.amdhsa_reserve_flat_scratch 0
		.amdhsa_float_round_mode_32 0
		.amdhsa_float_round_mode_16_64 0
		.amdhsa_float_denorm_mode_32 3
		.amdhsa_float_denorm_mode_16_64 3
		.amdhsa_dx10_clamp 1
		.amdhsa_ieee_mode 1
		.amdhsa_fp16_overflow 0
		.amdhsa_workgroup_processor_mode 1
		.amdhsa_memory_ordered 1
		.amdhsa_forward_progress 1
		.amdhsa_shared_vgpr_count 0
		.amdhsa_exception_fp_ieee_invalid_op 0
		.amdhsa_exception_fp_denorm_src 0
		.amdhsa_exception_fp_ieee_div_zero 0
		.amdhsa_exception_fp_ieee_overflow 0
		.amdhsa_exception_fp_ieee_underflow 0
		.amdhsa_exception_fp_ieee_inexact 0
		.amdhsa_exception_int_div_zero 0
	.end_amdhsa_kernel
	.section	.text._ZN9rocsparseL33bsr2csr_block_per_row_8_32_kernelILj1024ELj32E21rocsparse_complex_numIfEilEEv20rocsparse_direction_T3_S4_21rocsparse_index_base_PKT1_PKT2_PKS4_S4_S5_PS6_PS9_PS4_,"axG",@progbits,_ZN9rocsparseL33bsr2csr_block_per_row_8_32_kernelILj1024ELj32E21rocsparse_complex_numIfEilEEv20rocsparse_direction_T3_S4_21rocsparse_index_base_PKT1_PKT2_PKS4_S4_S5_PS6_PS9_PS4_,comdat
.Lfunc_end191:
	.size	_ZN9rocsparseL33bsr2csr_block_per_row_8_32_kernelILj1024ELj32E21rocsparse_complex_numIfEilEEv20rocsparse_direction_T3_S4_21rocsparse_index_base_PKT1_PKT2_PKS4_S4_S5_PS6_PS9_PS4_, .Lfunc_end191-_ZN9rocsparseL33bsr2csr_block_per_row_8_32_kernelILj1024ELj32E21rocsparse_complex_numIfEilEEv20rocsparse_direction_T3_S4_21rocsparse_index_base_PKT1_PKT2_PKS4_S4_S5_PS6_PS9_PS4_
                                        ; -- End function
	.set _ZN9rocsparseL33bsr2csr_block_per_row_8_32_kernelILj1024ELj32E21rocsparse_complex_numIfEilEEv20rocsparse_direction_T3_S4_21rocsparse_index_base_PKT1_PKT2_PKS4_S4_S5_PS6_PS9_PS4_.num_vgpr, 15
	.set _ZN9rocsparseL33bsr2csr_block_per_row_8_32_kernelILj1024ELj32E21rocsparse_complex_numIfEilEEv20rocsparse_direction_T3_S4_21rocsparse_index_base_PKT1_PKT2_PKS4_S4_S5_PS6_PS9_PS4_.num_agpr, 0
	.set _ZN9rocsparseL33bsr2csr_block_per_row_8_32_kernelILj1024ELj32E21rocsparse_complex_numIfEilEEv20rocsparse_direction_T3_S4_21rocsparse_index_base_PKT1_PKT2_PKS4_S4_S5_PS6_PS9_PS4_.numbered_sgpr, 19
	.set _ZN9rocsparseL33bsr2csr_block_per_row_8_32_kernelILj1024ELj32E21rocsparse_complex_numIfEilEEv20rocsparse_direction_T3_S4_21rocsparse_index_base_PKT1_PKT2_PKS4_S4_S5_PS6_PS9_PS4_.num_named_barrier, 0
	.set _ZN9rocsparseL33bsr2csr_block_per_row_8_32_kernelILj1024ELj32E21rocsparse_complex_numIfEilEEv20rocsparse_direction_T3_S4_21rocsparse_index_base_PKT1_PKT2_PKS4_S4_S5_PS6_PS9_PS4_.private_seg_size, 0
	.set _ZN9rocsparseL33bsr2csr_block_per_row_8_32_kernelILj1024ELj32E21rocsparse_complex_numIfEilEEv20rocsparse_direction_T3_S4_21rocsparse_index_base_PKT1_PKT2_PKS4_S4_S5_PS6_PS9_PS4_.uses_vcc, 1
	.set _ZN9rocsparseL33bsr2csr_block_per_row_8_32_kernelILj1024ELj32E21rocsparse_complex_numIfEilEEv20rocsparse_direction_T3_S4_21rocsparse_index_base_PKT1_PKT2_PKS4_S4_S5_PS6_PS9_PS4_.uses_flat_scratch, 0
	.set _ZN9rocsparseL33bsr2csr_block_per_row_8_32_kernelILj1024ELj32E21rocsparse_complex_numIfEilEEv20rocsparse_direction_T3_S4_21rocsparse_index_base_PKT1_PKT2_PKS4_S4_S5_PS6_PS9_PS4_.has_dyn_sized_stack, 0
	.set _ZN9rocsparseL33bsr2csr_block_per_row_8_32_kernelILj1024ELj32E21rocsparse_complex_numIfEilEEv20rocsparse_direction_T3_S4_21rocsparse_index_base_PKT1_PKT2_PKS4_S4_S5_PS6_PS9_PS4_.has_recursion, 0
	.set _ZN9rocsparseL33bsr2csr_block_per_row_8_32_kernelILj1024ELj32E21rocsparse_complex_numIfEilEEv20rocsparse_direction_T3_S4_21rocsparse_index_base_PKT1_PKT2_PKS4_S4_S5_PS6_PS9_PS4_.has_indirect_call, 0
	.section	.AMDGPU.csdata,"",@progbits
; Kernel info:
; codeLenInByte = 812
; TotalNumSgprs: 21
; NumVgprs: 15
; ScratchSize: 0
; MemoryBound: 0
; FloatMode: 240
; IeeeMode: 1
; LDSByteSize: 0 bytes/workgroup (compile time only)
; SGPRBlocks: 0
; VGPRBlocks: 1
; NumSGPRsForWavesPerEU: 21
; NumVGPRsForWavesPerEU: 15
; Occupancy: 16
; WaveLimiterHint : 0
; COMPUTE_PGM_RSRC2:SCRATCH_EN: 0
; COMPUTE_PGM_RSRC2:USER_SGPR: 6
; COMPUTE_PGM_RSRC2:TRAP_HANDLER: 0
; COMPUTE_PGM_RSRC2:TGID_X_EN: 1
; COMPUTE_PGM_RSRC2:TGID_Y_EN: 0
; COMPUTE_PGM_RSRC2:TGID_Z_EN: 0
; COMPUTE_PGM_RSRC2:TIDIG_COMP_CNT: 0
	.section	.text._ZN9rocsparseL35bsr2csr_block_per_row_33_256_kernelILj1024ELj64ELj32E21rocsparse_complex_numIfEilEEv20rocsparse_direction_T4_S4_21rocsparse_index_base_PKT2_PKT3_PKS4_S4_S5_PS6_PS9_PS4_,"axG",@progbits,_ZN9rocsparseL35bsr2csr_block_per_row_33_256_kernelILj1024ELj64ELj32E21rocsparse_complex_numIfEilEEv20rocsparse_direction_T4_S4_21rocsparse_index_base_PKT2_PKT3_PKS4_S4_S5_PS6_PS9_PS4_,comdat
	.globl	_ZN9rocsparseL35bsr2csr_block_per_row_33_256_kernelILj1024ELj64ELj32E21rocsparse_complex_numIfEilEEv20rocsparse_direction_T4_S4_21rocsparse_index_base_PKT2_PKT3_PKS4_S4_S5_PS6_PS9_PS4_ ; -- Begin function _ZN9rocsparseL35bsr2csr_block_per_row_33_256_kernelILj1024ELj64ELj32E21rocsparse_complex_numIfEilEEv20rocsparse_direction_T4_S4_21rocsparse_index_base_PKT2_PKT3_PKS4_S4_S5_PS6_PS9_PS4_
	.p2align	8
	.type	_ZN9rocsparseL35bsr2csr_block_per_row_33_256_kernelILj1024ELj64ELj32E21rocsparse_complex_numIfEilEEv20rocsparse_direction_T4_S4_21rocsparse_index_base_PKT2_PKT3_PKS4_S4_S5_PS6_PS9_PS4_,@function
_ZN9rocsparseL35bsr2csr_block_per_row_33_256_kernelILj1024ELj64ELj32E21rocsparse_complex_numIfEilEEv20rocsparse_direction_T4_S4_21rocsparse_index_base_PKT2_PKT3_PKS4_S4_S5_PS6_PS9_PS4_: ; @_ZN9rocsparseL35bsr2csr_block_per_row_33_256_kernelILj1024ELj64ELj32E21rocsparse_complex_numIfEilEEv20rocsparse_direction_T4_S4_21rocsparse_index_base_PKT2_PKT3_PKS4_S4_S5_PS6_PS9_PS4_
; %bb.0:
	s_load_dwordx2 s[0:1], s[4:5], 0x28
	s_mov_b32 s7, 0
	s_clause 0x1
	s_load_dword s16, s[4:5], 0x40
	s_load_dwordx2 s[12:13], s[4:5], 0x50
	s_lshl_b64 s[2:3], s[6:7], 2
	v_or_b32_e32 v1, s6, v0
	s_waitcnt lgkmcnt(0)
	s_add_u32 s0, s0, s2
	s_addc_u32 s1, s1, s3
	s_load_dwordx2 s[2:3], s[0:1], 0x0
	s_mov_b32 s0, exec_lo
	v_cmpx_eq_u32_e32 0, v1
	s_cbranch_execz .LBB192_2
; %bb.1:
	v_mov_b32_e32 v1, 0
	v_mov_b32_e32 v2, s16
	global_store_dword v1, v2, s[12:13]
.LBB192_2:
	s_or_b32 exec_lo, exec_lo, s0
	s_clause 0x1
	s_load_dword s17, s[4:5], 0x18
	s_load_dwordx2 s[8:9], s[4:5], 0x38
	v_mov_b32_e32 v5, 0
	v_lshrrev_b32_e32 v4, 5, v0
	v_lshlrev_b32_e32 v1, 2, v4
	s_waitcnt lgkmcnt(0)
	s_sub_i32 s10, s2, s17
	s_sub_i32 s18, s3, s17
	s_mul_i32 s7, s8, s9
	s_mul_hi_u32 s1, s8, s8
	s_mul_i32 s15, s9, s6
	s_mul_hi_u32 s19, s8, s6
	s_mul_i32 s0, s8, s6
	s_add_i32 s6, s1, s7
	s_sub_i32 s22, s18, s10
	s_add_i32 s1, s19, s15
	s_add_i32 s15, s6, s7
	s_mul_i32 s19, s8, s22
	s_lshl_b64 s[6:7], s[0:1], 2
	v_cmp_gt_i64_e64 s0, s[8:9], v[4:5]
	s_mul_i32 s14, s8, s8
	s_add_i32 s20, s16, s19
	s_add_u32 s6, s12, s6
	s_mul_i32 s11, s14, s10
	s_addc_u32 s7, s13, s7
	s_and_saveexec_b32 s1, s0
	s_cbranch_execz .LBB192_4
; %bb.3:
	v_mul_lo_u32 v2, v4, s19
	v_add3_u32 v2, s20, s11, v2
	global_store_dword v1, v2, s[6:7] offset:4
.LBB192_4:
	s_or_b32 exec_lo, exec_lo, s1
	v_or_b32_e32 v6, 32, v4
	v_mov_b32_e32 v7, v5
	v_cmp_gt_i64_e64 s1, s[8:9], v[6:7]
	s_and_saveexec_b32 s12, s1
	s_cbranch_execz .LBB192_6
; %bb.5:
	v_mul_lo_u32 v2, v6, s19
	v_add3_u32 v2, s20, s11, v2
	global_store_dword v1, v2, s[6:7] offset:132
.LBB192_6:
	s_or_b32 exec_lo, exec_lo, s12
	s_cmp_lt_i32 s2, s3
	s_cbranch_scc0 .LBB192_17
; %bb.7:
	s_clause 0x2
	s_load_dwordx2 s[12:13], s[4:5], 0x30
	s_load_dwordx2 s[6:7], s[4:5], 0x48
	s_load_dword s11, s[4:5], 0x0
	v_and_b32_e32 v0, 31, v0
	v_mov_b32_e32 v1, 0
	s_mul_hi_u32 s23, s8, s10
	s_mul_i32 s24, s8, s10
	s_mul_i32 s25, s9, s10
	v_or_b32_e32 v2, 32, v0
	v_mov_b32_e32 v3, v1
	v_cmp_gt_i64_e64 s2, s[8:9], v[0:1]
	v_lshlrev_b32_e32 v9, 3, v4
	v_mad_u64_u32 v[11:12], null, v6, s22, s[24:25]
	v_cmp_gt_i64_e64 s3, s[8:9], v[2:3]
	v_mad_u64_u32 v[13:14], null, v4, s22, s[24:25]
	v_lshlrev_b32_e32 v5, 3, v0
	v_mov_b32_e32 v10, v1
	v_mov_b32_e32 v6, v1
	v_mul_lo_u32 v11, s8, v11
	s_waitcnt lgkmcnt(0)
	s_cmp_eq_u32 s11, 0
	v_mul_lo_u32 v13, s8, v13
	s_cselect_b32 vcc_lo, -1, 0
	s_ashr_i32 s11, s10, 31
	s_and_b32 s19, s0, s2
	s_and_b32 s20, s0, s3
	;; [unrolled: 1-line block ×4, first 2 shown]
	s_lshl_b64 s[2:3], s[10:11], 3
	s_mul_i32 s0, s8, s11
	s_add_u32 s2, s12, s2
	s_addc_u32 s3, s13, s3
	s_add_i32 s0, s23, s0
	s_load_dwordx2 s[12:13], s[4:5], 0x20
	s_add_i32 s25, s0, s25
	s_load_dwordx2 s[4:5], s[4:5], 0x58
	s_lshl_b64 s[22:23], s[24:25], 3
	s_mov_b32 s11, s8
	v_add_co_u32 v7, s0, s22, v9
	v_add_co_ci_u32_e64 v8, null, s23, 0, s0
	s_lshl_b64 s[14:15], s[14:15], 3
	v_add_co_u32 v3, s0, 0x100, v7
	v_add_co_ci_u32_e64 v4, null, 0, v8, s0
	v_add_co_u32 v12, s0, s22, v5
	v_add_co_ci_u32_e64 v16, null, s23, 0, s0
	v_mul_lo_u32 v14, s8, v4
	v_add_co_u32 v17, s0, 0x100, v12
	v_add_co_ci_u32_e64 v18, null, 0, v16, s0
	v_mul_lo_u32 v15, s9, v3
	v_mad_u64_u32 v[3:4], null, s8, v3, v[5:6]
	v_mul_lo_u32 v19, s8, v8
	v_mul_lo_u32 v20, s9, v7
	v_mad_u64_u32 v[5:6], null, s8, v7, v[5:6]
	v_mul_lo_u32 v18, s8, v18
	;; [unrolled: 3-line block ×3, first 2 shown]
	v_mul_lo_u32 v17, s9, v12
	v_mad_u64_u32 v[9:10], null, s8, v12, v[9:10]
	v_mov_b32_e32 v12, v0
	v_add3_u32 v4, v15, v4, v14
	v_add3_u32 v6, v20, v6, v19
	;; [unrolled: 1-line block ×4, first 2 shown]
	s_branch .LBB192_9
.LBB192_8:                              ;   in Loop: Header=BB192_9 Depth=1
	s_or_b32 exec_lo, exec_lo, s24
	s_add_i32 s10, s10, 1
	v_add_co_u32 v1, s0, v1, 0
	s_add_u32 s2, s2, 8
	v_add_co_ci_u32_e64 v12, null, s11, v12, s0
	s_addc_u32 s3, s3, 0
	s_add_u32 s12, s12, s14
	s_addc_u32 s13, s13, s15
	s_cmp_ge_i32 s10, s18
	s_cbranch_scc1 .LBB192_17
.LBB192_9:                              ; =>This Inner Loop Header: Depth=1
	s_load_dwordx2 s[22:23], s[2:3], 0x0
	s_waitcnt lgkmcnt(0)
	s_sub_u32 s0, s22, s17
	s_subb_u32 s23, s23, 0
	s_mul_i32 s22, s0, s9
	s_mul_hi_u32 s24, s0, s8
	s_mul_i32 s23, s23, s8
	s_add_i32 s22, s24, s22
	s_mul_i32 s0, s0, s8
	s_add_i32 s23, s22, s23
	s_add_u32 s22, s0, s16
	s_addc_u32 s23, s23, 0
	s_and_saveexec_b32 s24, s19
	s_cbranch_execnz .LBB192_13
; %bb.10:                               ;   in Loop: Header=BB192_9 Depth=1
	s_or_b32 exec_lo, exec_lo, s24
	s_and_saveexec_b32 s24, s20
	s_cbranch_execnz .LBB192_14
.LBB192_11:                             ;   in Loop: Header=BB192_9 Depth=1
	s_or_b32 exec_lo, exec_lo, s24
	s_and_saveexec_b32 s24, s21
	s_cbranch_execnz .LBB192_15
.LBB192_12:                             ;   in Loop: Header=BB192_9 Depth=1
	s_or_b32 exec_lo, exec_lo, s24
	s_and_saveexec_b32 s24, s1
	s_cbranch_execz .LBB192_8
	s_branch .LBB192_16
.LBB192_13:                             ;   in Loop: Header=BB192_9 Depth=1
	v_add_co_u32 v14, s0, s12, v5
	v_add_co_ci_u32_e64 v15, null, s13, v6, s0
	v_add_co_u32 v16, s0, s12, v9
	v_add_co_ci_u32_e64 v17, null, s13, v10, s0
	v_cndmask_b32_e32 v14, v16, v14, vcc_lo
	v_add_co_u32 v16, s0, 0, v1
	v_cndmask_b32_e32 v15, v17, v15, vcc_lo
	v_add_co_ci_u32_e64 v17, null, v13, v12, s0
	v_add_co_u32 v18, s0, s22, v0
	global_load_dwordx2 v[14:15], v[14:15], off
	v_ashrrev_i64 v[16:17], 29, v[16:17]
	v_add_co_ci_u32_e64 v19, null, s23, 0, s0
	v_add_co_u32 v20, s0, s4, v16
	v_add_co_ci_u32_e64 v21, null, s5, v17, s0
	v_add_co_u32 v16, s0, s6, v16
	v_add_co_ci_u32_e64 v17, null, s7, v17, s0
	global_store_dwordx2 v[20:21], v[18:19], off
	s_waitcnt vmcnt(0)
	global_store_dwordx2 v[16:17], v[14:15], off
	s_or_b32 exec_lo, exec_lo, s24
	s_and_saveexec_b32 s24, s20
	s_cbranch_execz .LBB192_11
.LBB192_14:                             ;   in Loop: Header=BB192_9 Depth=1
	v_add_co_u32 v14, s0, s12, v5
	v_add_co_ci_u32_e64 v15, null, s13, v6, s0
	v_add_co_u32 v14, s0, 0x100, v14
	v_add_co_ci_u32_e64 v15, null, 0, v15, s0
	;; [unrolled: 2-line block ×3, first 2 shown]
	v_cndmask_b32_e32 v14, v16, v14, vcc_lo
	v_add_co_u32 v16, s0, 0, v1
	v_cndmask_b32_e32 v15, v17, v15, vcc_lo
	v_add_co_ci_u32_e64 v17, null, v13, v12, s0
	v_add_co_u32 v18, s0, s22, v2
	global_load_dwordx2 v[14:15], v[14:15], off
	v_add_nc_u32_e32 v17, 32, v17
	v_add_co_ci_u32_e64 v19, null, s23, 0, s0
	v_ashrrev_i64 v[16:17], 29, v[16:17]
	v_add_co_u32 v20, s0, s4, v16
	v_add_co_ci_u32_e64 v21, null, s5, v17, s0
	v_add_co_u32 v16, s0, s6, v16
	v_add_co_ci_u32_e64 v17, null, s7, v17, s0
	global_store_dwordx2 v[20:21], v[18:19], off
	s_waitcnt vmcnt(0)
	global_store_dwordx2 v[16:17], v[14:15], off
	s_or_b32 exec_lo, exec_lo, s24
	s_and_saveexec_b32 s24, s21
	s_cbranch_execz .LBB192_12
.LBB192_15:                             ;   in Loop: Header=BB192_9 Depth=1
	v_add_co_u32 v14, s0, s12, v9
	v_add_co_ci_u32_e64 v15, null, s13, v10, s0
	v_add_co_u32 v16, s0, s12, v3
	v_add_co_ci_u32_e64 v17, null, s13, v4, s0
	;; [unrolled: 2-line block ×3, first 2 shown]
	v_cndmask_b32_e32 v14, v14, v16, vcc_lo
	v_add_co_u32 v16, s0, 0, v1
	v_cndmask_b32_e32 v15, v15, v17, vcc_lo
	v_add_co_ci_u32_e64 v17, null, v11, v12, s0
	v_add_co_u32 v18, s0, s22, v0
	global_load_dwordx2 v[14:15], v[14:15], off
	v_ashrrev_i64 v[16:17], 29, v[16:17]
	v_add_co_ci_u32_e64 v19, null, s23, 0, s0
	v_add_co_u32 v20, s0, s4, v16
	v_add_co_ci_u32_e64 v21, null, s5, v17, s0
	v_add_co_u32 v16, s0, s6, v16
	v_add_co_ci_u32_e64 v17, null, s7, v17, s0
	global_store_dwordx2 v[20:21], v[18:19], off
	s_waitcnt vmcnt(0)
	global_store_dwordx2 v[16:17], v[14:15], off
	s_or_b32 exec_lo, exec_lo, s24
	s_and_saveexec_b32 s24, s1
	s_cbranch_execz .LBB192_8
.LBB192_16:                             ;   in Loop: Header=BB192_9 Depth=1
	v_add_co_u32 v14, s0, s12, v3
	v_add_co_ci_u32_e64 v15, null, s13, v4, s0
	v_add_co_u32 v16, s0, s12, v7
	v_add_co_ci_u32_e64 v17, null, s13, v8, s0
	v_cndmask_b32_e32 v14, v16, v14, vcc_lo
	v_add_co_u32 v16, s0, 0, v1
	v_cndmask_b32_e32 v15, v17, v15, vcc_lo
	v_add_co_ci_u32_e64 v17, null, v11, v12, s0
	v_add_co_u32 v18, s0, s22, v2
	global_load_dwordx2 v[14:15], v[14:15], off offset:256
	v_add_nc_u32_e32 v17, 32, v17
	v_add_co_ci_u32_e64 v19, null, s23, 0, s0
	v_ashrrev_i64 v[16:17], 29, v[16:17]
	v_add_co_u32 v20, s0, s4, v16
	v_add_co_ci_u32_e64 v21, null, s5, v17, s0
	v_add_co_u32 v16, s0, s6, v16
	v_add_co_ci_u32_e64 v17, null, s7, v17, s0
	global_store_dwordx2 v[20:21], v[18:19], off
	s_waitcnt vmcnt(0)
	global_store_dwordx2 v[16:17], v[14:15], off
	s_branch .LBB192_8
.LBB192_17:
	s_endpgm
	.section	.rodata,"a",@progbits
	.p2align	6, 0x0
	.amdhsa_kernel _ZN9rocsparseL35bsr2csr_block_per_row_33_256_kernelILj1024ELj64ELj32E21rocsparse_complex_numIfEilEEv20rocsparse_direction_T4_S4_21rocsparse_index_base_PKT2_PKT3_PKS4_S4_S5_PS6_PS9_PS4_
		.amdhsa_group_segment_fixed_size 0
		.amdhsa_private_segment_fixed_size 0
		.amdhsa_kernarg_size 96
		.amdhsa_user_sgpr_count 6
		.amdhsa_user_sgpr_private_segment_buffer 1
		.amdhsa_user_sgpr_dispatch_ptr 0
		.amdhsa_user_sgpr_queue_ptr 0
		.amdhsa_user_sgpr_kernarg_segment_ptr 1
		.amdhsa_user_sgpr_dispatch_id 0
		.amdhsa_user_sgpr_flat_scratch_init 0
		.amdhsa_user_sgpr_private_segment_size 0
		.amdhsa_wavefront_size32 1
		.amdhsa_uses_dynamic_stack 0
		.amdhsa_system_sgpr_private_segment_wavefront_offset 0
		.amdhsa_system_sgpr_workgroup_id_x 1
		.amdhsa_system_sgpr_workgroup_id_y 0
		.amdhsa_system_sgpr_workgroup_id_z 0
		.amdhsa_system_sgpr_workgroup_info 0
		.amdhsa_system_vgpr_workitem_id 0
		.amdhsa_next_free_vgpr 22
		.amdhsa_next_free_sgpr 26
		.amdhsa_reserve_vcc 1
		.amdhsa_reserve_flat_scratch 0
		.amdhsa_float_round_mode_32 0
		.amdhsa_float_round_mode_16_64 0
		.amdhsa_float_denorm_mode_32 3
		.amdhsa_float_denorm_mode_16_64 3
		.amdhsa_dx10_clamp 1
		.amdhsa_ieee_mode 1
		.amdhsa_fp16_overflow 0
		.amdhsa_workgroup_processor_mode 1
		.amdhsa_memory_ordered 1
		.amdhsa_forward_progress 1
		.amdhsa_shared_vgpr_count 0
		.amdhsa_exception_fp_ieee_invalid_op 0
		.amdhsa_exception_fp_denorm_src 0
		.amdhsa_exception_fp_ieee_div_zero 0
		.amdhsa_exception_fp_ieee_overflow 0
		.amdhsa_exception_fp_ieee_underflow 0
		.amdhsa_exception_fp_ieee_inexact 0
		.amdhsa_exception_int_div_zero 0
	.end_amdhsa_kernel
	.section	.text._ZN9rocsparseL35bsr2csr_block_per_row_33_256_kernelILj1024ELj64ELj32E21rocsparse_complex_numIfEilEEv20rocsparse_direction_T4_S4_21rocsparse_index_base_PKT2_PKT3_PKS4_S4_S5_PS6_PS9_PS4_,"axG",@progbits,_ZN9rocsparseL35bsr2csr_block_per_row_33_256_kernelILj1024ELj64ELj32E21rocsparse_complex_numIfEilEEv20rocsparse_direction_T4_S4_21rocsparse_index_base_PKT2_PKT3_PKS4_S4_S5_PS6_PS9_PS4_,comdat
.Lfunc_end192:
	.size	_ZN9rocsparseL35bsr2csr_block_per_row_33_256_kernelILj1024ELj64ELj32E21rocsparse_complex_numIfEilEEv20rocsparse_direction_T4_S4_21rocsparse_index_base_PKT2_PKT3_PKS4_S4_S5_PS6_PS9_PS4_, .Lfunc_end192-_ZN9rocsparseL35bsr2csr_block_per_row_33_256_kernelILj1024ELj64ELj32E21rocsparse_complex_numIfEilEEv20rocsparse_direction_T4_S4_21rocsparse_index_base_PKT2_PKT3_PKS4_S4_S5_PS6_PS9_PS4_
                                        ; -- End function
	.set _ZN9rocsparseL35bsr2csr_block_per_row_33_256_kernelILj1024ELj64ELj32E21rocsparse_complex_numIfEilEEv20rocsparse_direction_T4_S4_21rocsparse_index_base_PKT2_PKT3_PKS4_S4_S5_PS6_PS9_PS4_.num_vgpr, 22
	.set _ZN9rocsparseL35bsr2csr_block_per_row_33_256_kernelILj1024ELj64ELj32E21rocsparse_complex_numIfEilEEv20rocsparse_direction_T4_S4_21rocsparse_index_base_PKT2_PKT3_PKS4_S4_S5_PS6_PS9_PS4_.num_agpr, 0
	.set _ZN9rocsparseL35bsr2csr_block_per_row_33_256_kernelILj1024ELj64ELj32E21rocsparse_complex_numIfEilEEv20rocsparse_direction_T4_S4_21rocsparse_index_base_PKT2_PKT3_PKS4_S4_S5_PS6_PS9_PS4_.numbered_sgpr, 26
	.set _ZN9rocsparseL35bsr2csr_block_per_row_33_256_kernelILj1024ELj64ELj32E21rocsparse_complex_numIfEilEEv20rocsparse_direction_T4_S4_21rocsparse_index_base_PKT2_PKT3_PKS4_S4_S5_PS6_PS9_PS4_.num_named_barrier, 0
	.set _ZN9rocsparseL35bsr2csr_block_per_row_33_256_kernelILj1024ELj64ELj32E21rocsparse_complex_numIfEilEEv20rocsparse_direction_T4_S4_21rocsparse_index_base_PKT2_PKT3_PKS4_S4_S5_PS6_PS9_PS4_.private_seg_size, 0
	.set _ZN9rocsparseL35bsr2csr_block_per_row_33_256_kernelILj1024ELj64ELj32E21rocsparse_complex_numIfEilEEv20rocsparse_direction_T4_S4_21rocsparse_index_base_PKT2_PKT3_PKS4_S4_S5_PS6_PS9_PS4_.uses_vcc, 1
	.set _ZN9rocsparseL35bsr2csr_block_per_row_33_256_kernelILj1024ELj64ELj32E21rocsparse_complex_numIfEilEEv20rocsparse_direction_T4_S4_21rocsparse_index_base_PKT2_PKT3_PKS4_S4_S5_PS6_PS9_PS4_.uses_flat_scratch, 0
	.set _ZN9rocsparseL35bsr2csr_block_per_row_33_256_kernelILj1024ELj64ELj32E21rocsparse_complex_numIfEilEEv20rocsparse_direction_T4_S4_21rocsparse_index_base_PKT2_PKT3_PKS4_S4_S5_PS6_PS9_PS4_.has_dyn_sized_stack, 0
	.set _ZN9rocsparseL35bsr2csr_block_per_row_33_256_kernelILj1024ELj64ELj32E21rocsparse_complex_numIfEilEEv20rocsparse_direction_T4_S4_21rocsparse_index_base_PKT2_PKT3_PKS4_S4_S5_PS6_PS9_PS4_.has_recursion, 0
	.set _ZN9rocsparseL35bsr2csr_block_per_row_33_256_kernelILj1024ELj64ELj32E21rocsparse_complex_numIfEilEEv20rocsparse_direction_T4_S4_21rocsparse_index_base_PKT2_PKT3_PKS4_S4_S5_PS6_PS9_PS4_.has_indirect_call, 0
	.section	.AMDGPU.csdata,"",@progbits
; Kernel info:
; codeLenInByte = 1516
; TotalNumSgprs: 28
; NumVgprs: 22
; ScratchSize: 0
; MemoryBound: 0
; FloatMode: 240
; IeeeMode: 1
; LDSByteSize: 0 bytes/workgroup (compile time only)
; SGPRBlocks: 0
; VGPRBlocks: 2
; NumSGPRsForWavesPerEU: 28
; NumVGPRsForWavesPerEU: 22
; Occupancy: 16
; WaveLimiterHint : 1
; COMPUTE_PGM_RSRC2:SCRATCH_EN: 0
; COMPUTE_PGM_RSRC2:USER_SGPR: 6
; COMPUTE_PGM_RSRC2:TRAP_HANDLER: 0
; COMPUTE_PGM_RSRC2:TGID_X_EN: 1
; COMPUTE_PGM_RSRC2:TGID_Y_EN: 0
; COMPUTE_PGM_RSRC2:TGID_Z_EN: 0
; COMPUTE_PGM_RSRC2:TIDIG_COMP_CNT: 0
	.section	.text._ZN9rocsparseL35bsr2csr_block_per_row_33_256_kernelILj1024ELj128ELj32E21rocsparse_complex_numIfEilEEv20rocsparse_direction_T4_S4_21rocsparse_index_base_PKT2_PKT3_PKS4_S4_S5_PS6_PS9_PS4_,"axG",@progbits,_ZN9rocsparseL35bsr2csr_block_per_row_33_256_kernelILj1024ELj128ELj32E21rocsparse_complex_numIfEilEEv20rocsparse_direction_T4_S4_21rocsparse_index_base_PKT2_PKT3_PKS4_S4_S5_PS6_PS9_PS4_,comdat
	.globl	_ZN9rocsparseL35bsr2csr_block_per_row_33_256_kernelILj1024ELj128ELj32E21rocsparse_complex_numIfEilEEv20rocsparse_direction_T4_S4_21rocsparse_index_base_PKT2_PKT3_PKS4_S4_S5_PS6_PS9_PS4_ ; -- Begin function _ZN9rocsparseL35bsr2csr_block_per_row_33_256_kernelILj1024ELj128ELj32E21rocsparse_complex_numIfEilEEv20rocsparse_direction_T4_S4_21rocsparse_index_base_PKT2_PKT3_PKS4_S4_S5_PS6_PS9_PS4_
	.p2align	8
	.type	_ZN9rocsparseL35bsr2csr_block_per_row_33_256_kernelILj1024ELj128ELj32E21rocsparse_complex_numIfEilEEv20rocsparse_direction_T4_S4_21rocsparse_index_base_PKT2_PKT3_PKS4_S4_S5_PS6_PS9_PS4_,@function
_ZN9rocsparseL35bsr2csr_block_per_row_33_256_kernelILj1024ELj128ELj32E21rocsparse_complex_numIfEilEEv20rocsparse_direction_T4_S4_21rocsparse_index_base_PKT2_PKT3_PKS4_S4_S5_PS6_PS9_PS4_: ; @_ZN9rocsparseL35bsr2csr_block_per_row_33_256_kernelILj1024ELj128ELj32E21rocsparse_complex_numIfEilEEv20rocsparse_direction_T4_S4_21rocsparse_index_base_PKT2_PKT3_PKS4_S4_S5_PS6_PS9_PS4_
; %bb.0:
	s_load_dwordx2 s[0:1], s[4:5], 0x28
	s_mov_b32 s7, 0
	s_clause 0x1
	s_load_dword s22, s[4:5], 0x40
	s_load_dwordx2 s[2:3], s[4:5], 0x50
	s_lshl_b64 s[8:9], s[6:7], 2
	v_or_b32_e32 v1, s6, v0
	s_waitcnt lgkmcnt(0)
	s_add_u32 s0, s0, s8
	s_addc_u32 s1, s1, s9
	s_load_dwordx2 s[8:9], s[0:1], 0x0
	s_mov_b32 s0, exec_lo
	v_cmpx_eq_u32_e32 0, v1
	s_cbranch_execz .LBB193_2
; %bb.1:
	v_mov_b32_e32 v1, 0
	v_mov_b32_e32 v2, s22
	global_store_dword v1, v2, s[2:3]
.LBB193_2:
	s_or_b32 exec_lo, exec_lo, s0
	s_clause 0x1
	s_load_dword s23, s[4:5], 0x18
	s_load_dwordx2 s[10:11], s[4:5], 0x38
	v_mov_b32_e32 v9, 0
	v_lshrrev_b32_e32 v8, 5, v0
	v_lshlrev_b32_e32 v1, 2, v8
	s_waitcnt lgkmcnt(0)
	s_sub_i32 s12, s8, s23
	s_sub_i32 s24, s9, s23
	s_mul_i32 s7, s10, s11
	s_mul_hi_u32 s1, s10, s10
	s_mul_i32 s14, s11, s6
	s_mul_hi_u32 s15, s10, s6
	s_mul_i32 s0, s10, s6
	s_add_i32 s6, s1, s7
	s_sub_i32 s39, s24, s12
	s_add_i32 s1, s15, s14
	s_add_i32 s19, s6, s7
	s_mul_i32 s14, s10, s39
	s_lshl_b64 s[6:7], s[0:1], 2
	v_cmp_gt_i64_e64 s0, s[10:11], v[8:9]
	s_mul_i32 s18, s10, s10
	s_add_i32 s15, s22, s14
	s_add_u32 s6, s2, s6
	s_mul_i32 s13, s18, s12
	s_addc_u32 s7, s3, s7
	s_and_saveexec_b32 s1, s0
	s_cbranch_execz .LBB193_4
; %bb.3:
	v_mul_lo_u32 v2, v8, s14
	v_add3_u32 v2, s15, s13, v2
	global_store_dword v1, v2, s[6:7] offset:4
.LBB193_4:
	s_or_b32 exec_lo, exec_lo, s1
	v_or_b32_e32 v10, 32, v8
	v_mov_b32_e32 v11, v9
	v_cmp_gt_i64_e64 s3, s[10:11], v[10:11]
	s_and_saveexec_b32 s1, s3
	s_cbranch_execz .LBB193_6
; %bb.5:
	v_mul_lo_u32 v2, v10, s14
	v_add3_u32 v2, s15, s13, v2
	global_store_dword v1, v2, s[6:7] offset:132
.LBB193_6:
	s_or_b32 exec_lo, exec_lo, s1
	v_or_b32_e32 v11, 64, v8
	v_mov_b32_e32 v12, v9
	v_cmp_gt_i64_e64 s1, s[10:11], v[11:12]
	;; [unrolled: 11-line block ×3, first 2 shown]
	s_and_saveexec_b32 s16, s2
	s_cbranch_execz .LBB193_10
; %bb.9:
	v_mul_lo_u32 v2, v12, s14
	v_add3_u32 v2, s15, s13, v2
	global_store_dword v1, v2, s[6:7] offset:388
.LBB193_10:
	s_or_b32 exec_lo, exec_lo, s16
	s_cmp_lt_i32 s8, s9
	s_cbranch_scc0 .LBB193_45
; %bb.11:
	s_clause 0x2
	s_load_dwordx2 s[20:21], s[4:5], 0x30
	s_load_dwordx2 s[14:15], s[4:5], 0x48
	s_load_dword s13, s[4:5], 0x0
	v_and_b32_e32 v0, 31, v0
	v_mov_b32_e32 v1, 0
	s_mul_i32 s40, s10, s12
	v_lshlrev_b32_e32 v21, 3, v8
	v_mad_u64_u32 v[12:13], null, v12, s39, s[40:41]
	v_or_b32_e32 v2, 32, v0
	v_mov_b32_e32 v3, v1
	v_or_b32_e32 v4, 64, v0
	v_mov_b32_e32 v5, v1
	v_or_b32_e32 v6, 0x60, v0
	v_mov_b32_e32 v7, v1
	v_cmp_gt_i64_e64 s6, s[10:11], v[0:1]
	v_cmp_gt_i64_e64 s7, s[10:11], v[2:3]
	;; [unrolled: 1-line block ×3, first 2 shown]
	v_mad_u64_u32 v[9:10], null, v10, s39, s[40:41]
	v_cmp_gt_i64_e64 s9, s[10:11], v[6:7]
	v_mad_u64_u32 v[12:13], null, s10, v12, 0x60
	s_waitcnt lgkmcnt(0)
	s_cmp_eq_u32 s13, 0
	v_mad_u64_u32 v[13:14], null, v11, s39, s[40:41]
	s_cselect_b32 vcc_lo, -1, 0
	s_ashr_i32 s13, s12, 31
	s_and_b32 s27, s0, s8
	s_and_b32 s28, s0, s9
	;; [unrolled: 1-line block ×14, first 2 shown]
	s_lshl_b64 s[2:3], s[12:13], 3
	s_and_b32 s25, s0, s6
	s_and_b32 s26, s0, s7
	s_mul_hi_u32 s0, s10, s12
	s_mul_i32 s6, s10, s13
	s_add_u32 s2, s20, s2
	s_addc_u32 s3, s21, s3
	s_add_i32 s0, s0, s6
	s_mul_i32 s6, s11, s12
	v_mul_lo_u32 v26, s10, v9
	v_mad_u64_u32 v[9:10], null, v8, s39, s[40:41]
	s_add_i32 s41, s0, s6
	v_mul_lo_u32 v24, s10, v13
	s_lshl_b64 s[6:7], s[40:41], 3
	v_lshlrev_b32_e32 v13, 3, v0
	v_add_co_u32 v15, s0, s6, v21
	v_add_co_ci_u32_e64 v16, null, s7, 0, s0
	v_mul_lo_u32 v28, s10, v9
	v_add_co_u32 v7, s0, 0x300, v15
	v_add_co_ci_u32_e64 v8, null, 0, v16, s0
	v_add_co_u32 v9, s0, 0x200, v15
	v_add_co_ci_u32_e64 v10, null, 0, v16, s0
	v_add_co_u32 v11, s0, 0x100, v15
	v_mov_b32_e32 v23, v12
	v_add_co_ci_u32_e64 v12, null, 0, v16, s0
	v_add_co_u32 v35, s0, s6, v13
	v_add_co_ci_u32_e64 v36, null, s7, 0, s0
	v_mov_b32_e32 v14, v1
	v_mov_b32_e32 v22, v1
	v_add_co_u32 v17, s0, 0x300, v35
	v_add_co_ci_u32_e64 v18, null, 0, v36, s0
	v_mov_b32_e32 v25, v1
	v_mov_b32_e32 v27, v1
	v_mov_b32_e32 v29, v1
	v_mul_lo_u32 v1, s10, v8
	v_mul_lo_u32 v30, s11, v7
	v_mad_u64_u32 v[7:8], null, s10, v7, v[13:14]
	v_mul_lo_u32 v31, s10, v10
	v_mul_lo_u32 v32, s11, v9
	v_mad_u64_u32 v[9:10], null, s10, v9, v[13:14]
	;; [unrolled: 3-line block ×4, first 2 shown]
	v_mul_lo_u32 v40, s11, v17
	v_mad_u64_u32 v[15:16], null, s10, v17, v[21:22]
	v_add_co_u32 v17, s0, 0x200, v35
	s_clause 0x1
	s_load_dwordx2 s[16:17], s[4:5], 0x20
	s_load_dwordx2 s[4:5], s[4:5], 0x58
	v_mul_lo_u32 v39, s10, v18
	v_add_co_ci_u32_e64 v18, null, 0, v36, s0
	v_add_co_u32 v19, s0, 0x100, v35
	v_add_co_ci_u32_e64 v20, null, 0, v36, s0
	v_mul_lo_u32 v41, s10, v18
	v_mul_lo_u32 v42, s11, v17
	v_mad_u64_u32 v[17:18], null, s10, v17, v[21:22]
	v_mul_lo_u32 v43, s10, v20
	v_mul_lo_u32 v44, s11, v19
	v_mad_u64_u32 v[19:20], null, s10, v19, v[21:22]
	v_mul_lo_u32 v36, s10, v36
	v_mul_lo_u32 v45, s11, v35
	v_mad_u64_u32 v[21:22], null, s10, v35, v[21:22]
	v_mov_b32_e32 v3, v0
	v_add3_u32 v8, v30, v8, v1
	v_add3_u32 v10, v32, v10, v31
	;; [unrolled: 1-line block ×8, first 2 shown]
	s_mov_b32 s13, s10
	s_lshl_b64 s[6:7], s[18:19], 3
	s_branch .LBB193_13
.LBB193_12:                             ;   in Loop: Header=BB193_13 Depth=1
	s_or_b32 exec_lo, exec_lo, s20
	v_add_co_u32 v5, s0, v5, 0
	v_add_co_ci_u32_e64 v23, null, s13, v23, s0
	v_add_co_u32 v25, s0, v25, 0
	v_add_co_ci_u32_e64 v24, null, s13, v24, s0
	v_add_co_u32 v27, s0, v27, 0
	s_add_i32 s12, s12, 1
	v_add_co_ci_u32_e64 v26, null, s13, v26, s0
	v_add_co_u32 v29, s0, v29, 0
	s_add_u32 s2, s2, 8
	v_add_co_ci_u32_e64 v28, null, s13, v28, s0
	s_addc_u32 s3, s3, 0
	s_add_u32 s16, s16, s6
	s_addc_u32 s17, s17, s7
	s_cmp_ge_i32 s12, s24
	s_cbranch_scc1 .LBB193_45
.LBB193_13:                             ; =>This Inner Loop Header: Depth=1
	s_load_dwordx2 s[18:19], s[2:3], 0x0
	s_waitcnt lgkmcnt(0)
	s_sub_u32 s0, s18, s23
	s_subb_u32 s19, s19, 0
	s_mul_i32 s18, s0, s11
	s_mul_hi_u32 s20, s0, s10
	s_mul_i32 s19, s19, s10
	s_add_i32 s18, s20, s18
	s_mul_i32 s0, s0, s10
	s_add_i32 s19, s18, s19
	s_add_u32 s18, s0, s22
	s_addc_u32 s19, s19, 0
	s_and_saveexec_b32 s20, s25
	s_cbranch_execnz .LBB193_29
; %bb.14:                               ;   in Loop: Header=BB193_13 Depth=1
	s_or_b32 exec_lo, exec_lo, s20
	s_and_saveexec_b32 s20, s26
	s_cbranch_execnz .LBB193_30
.LBB193_15:                             ;   in Loop: Header=BB193_13 Depth=1
	s_or_b32 exec_lo, exec_lo, s20
	s_and_saveexec_b32 s20, s27
	s_cbranch_execnz .LBB193_31
.LBB193_16:                             ;   in Loop: Header=BB193_13 Depth=1
	s_or_b32 exec_lo, exec_lo, s20
	s_and_saveexec_b32 s20, s28
	s_cbranch_execnz .LBB193_32
.LBB193_17:                             ;   in Loop: Header=BB193_13 Depth=1
	s_or_b32 exec_lo, exec_lo, s20
	s_and_saveexec_b32 s20, s29
	s_cbranch_execnz .LBB193_33
.LBB193_18:                             ;   in Loop: Header=BB193_13 Depth=1
	s_or_b32 exec_lo, exec_lo, s20
	s_and_saveexec_b32 s20, s30
	s_cbranch_execnz .LBB193_34
.LBB193_19:                             ;   in Loop: Header=BB193_13 Depth=1
	s_or_b32 exec_lo, exec_lo, s20
	s_and_saveexec_b32 s20, s31
	s_cbranch_execnz .LBB193_35
.LBB193_20:                             ;   in Loop: Header=BB193_13 Depth=1
	s_or_b32 exec_lo, exec_lo, s20
	s_and_saveexec_b32 s20, s33
	s_cbranch_execnz .LBB193_36
.LBB193_21:                             ;   in Loop: Header=BB193_13 Depth=1
	s_or_b32 exec_lo, exec_lo, s20
	s_and_saveexec_b32 s20, s34
	s_cbranch_execnz .LBB193_37
.LBB193_22:                             ;   in Loop: Header=BB193_13 Depth=1
	s_or_b32 exec_lo, exec_lo, s20
	s_and_saveexec_b32 s20, s35
	s_cbranch_execnz .LBB193_38
.LBB193_23:                             ;   in Loop: Header=BB193_13 Depth=1
	s_or_b32 exec_lo, exec_lo, s20
	s_and_saveexec_b32 s20, s36
	s_cbranch_execnz .LBB193_39
.LBB193_24:                             ;   in Loop: Header=BB193_13 Depth=1
	s_or_b32 exec_lo, exec_lo, s20
	s_and_saveexec_b32 s20, s1
	s_cbranch_execnz .LBB193_40
.LBB193_25:                             ;   in Loop: Header=BB193_13 Depth=1
	s_or_b32 exec_lo, exec_lo, s20
	s_and_saveexec_b32 s20, s37
	s_cbranch_execnz .LBB193_41
.LBB193_26:                             ;   in Loop: Header=BB193_13 Depth=1
	s_or_b32 exec_lo, exec_lo, s20
	s_and_saveexec_b32 s20, s38
	s_cbranch_execnz .LBB193_42
.LBB193_27:                             ;   in Loop: Header=BB193_13 Depth=1
	s_or_b32 exec_lo, exec_lo, s20
	s_and_saveexec_b32 s20, s8
	s_cbranch_execnz .LBB193_43
.LBB193_28:                             ;   in Loop: Header=BB193_13 Depth=1
	s_or_b32 exec_lo, exec_lo, s20
	s_and_saveexec_b32 s20, s9
	s_cbranch_execz .LBB193_12
	s_branch .LBB193_44
.LBB193_29:                             ;   in Loop: Header=BB193_13 Depth=1
	v_add_co_u32 v1, s0, s16, v13
	v_add_co_ci_u32_e64 v30, null, s17, v14, s0
	v_add_co_u32 v32, s0, s16, v21
	v_add_co_ci_u32_e64 v31, null, s17, v22, s0
	v_cndmask_b32_e32 v31, v31, v30, vcc_lo
	v_cndmask_b32_e32 v30, v32, v1, vcc_lo
	v_add_co_u32 v32, s0, 0, v29
	v_add_co_ci_u32_e64 v33, null, v3, v28, s0
	global_load_dwordx2 v[30:31], v[30:31], off
	v_add_co_u32 v34, s0, s18, v0
	v_ashrrev_i64 v[32:33], 29, v[32:33]
	v_add_co_ci_u32_e64 v35, null, s19, 0, s0
	v_add_co_u32 v36, s0, s4, v32
	v_add_co_ci_u32_e64 v37, null, s5, v33, s0
	v_add_co_u32 v32, s0, s14, v32
	v_add_co_ci_u32_e64 v33, null, s15, v33, s0
	global_store_dwordx2 v[36:37], v[34:35], off
	s_waitcnt vmcnt(0)
	global_store_dwordx2 v[32:33], v[30:31], off
	s_or_b32 exec_lo, exec_lo, s20
	s_and_saveexec_b32 s20, s26
	s_cbranch_execz .LBB193_15
.LBB193_30:                             ;   in Loop: Header=BB193_13 Depth=1
	v_add_co_u32 v1, s0, s16, v13
	v_add_co_ci_u32_e64 v30, null, s17, v14, s0
	v_add_co_u32 v1, s0, 0x100, v1
	v_add_co_ci_u32_e64 v30, null, 0, v30, s0
	;; [unrolled: 2-line block ×3, first 2 shown]
	v_cndmask_b32_e32 v31, v31, v30, vcc_lo
	v_cndmask_b32_e32 v30, v32, v1, vcc_lo
	v_add_co_u32 v32, s0, 0, v29
	v_add_co_ci_u32_e64 v1, null, v3, v28, s0
	global_load_dwordx2 v[30:31], v[30:31], off
	v_add_co_u32 v34, s0, s18, v2
	v_add_nc_u32_e32 v33, 32, v1
	v_add_co_ci_u32_e64 v35, null, s19, 0, s0
	v_ashrrev_i64 v[32:33], 29, v[32:33]
	v_add_co_u32 v36, s0, s4, v32
	v_add_co_ci_u32_e64 v37, null, s5, v33, s0
	v_add_co_u32 v32, s0, s14, v32
	v_add_co_ci_u32_e64 v33, null, s15, v33, s0
	global_store_dwordx2 v[36:37], v[34:35], off
	s_waitcnt vmcnt(0)
	global_store_dwordx2 v[32:33], v[30:31], off
	s_or_b32 exec_lo, exec_lo, s20
	s_and_saveexec_b32 s20, s27
	s_cbranch_execz .LBB193_16
.LBB193_31:                             ;   in Loop: Header=BB193_13 Depth=1
	v_add_co_u32 v1, s0, s16, v13
	v_add_co_ci_u32_e64 v30, null, s17, v14, s0
	v_add_co_u32 v1, s0, 0x200, v1
	v_add_co_ci_u32_e64 v30, null, 0, v30, s0
	v_add_co_u32 v32, s0, s16, v17
	v_add_co_ci_u32_e64 v31, null, s17, v18, s0
	v_cndmask_b32_e32 v31, v31, v30, vcc_lo
	v_cndmask_b32_e32 v30, v32, v1, vcc_lo
	v_add_co_u32 v32, s0, 0, v29
	v_add_co_ci_u32_e64 v1, null, v3, v28, s0
	global_load_dwordx2 v[30:31], v[30:31], off
	v_add_co_u32 v34, s0, s18, v4
	v_add_nc_u32_e32 v33, 64, v1
	v_add_co_ci_u32_e64 v35, null, s19, 0, s0
	v_ashrrev_i64 v[32:33], 29, v[32:33]
	v_add_co_u32 v36, s0, s4, v32
	v_add_co_ci_u32_e64 v37, null, s5, v33, s0
	v_add_co_u32 v32, s0, s14, v32
	v_add_co_ci_u32_e64 v33, null, s15, v33, s0
	global_store_dwordx2 v[36:37], v[34:35], off
	s_waitcnt vmcnt(0)
	global_store_dwordx2 v[32:33], v[30:31], off
	s_or_b32 exec_lo, exec_lo, s20
	s_and_saveexec_b32 s20, s28
	s_cbranch_execz .LBB193_17
.LBB193_32:                             ;   in Loop: Header=BB193_13 Depth=1
	v_add_co_u32 v1, s0, s16, v13
	v_add_co_ci_u32_e64 v30, null, s17, v14, s0
	v_add_co_u32 v1, s0, 0x300, v1
	v_add_co_ci_u32_e64 v30, null, 0, v30, s0
	v_add_co_u32 v32, s0, s16, v15
	v_add_co_ci_u32_e64 v31, null, s17, v16, s0
	v_cndmask_b32_e32 v31, v31, v30, vcc_lo
	v_cndmask_b32_e32 v30, v32, v1, vcc_lo
	v_add_co_u32 v32, s0, 0, v29
	v_add_co_ci_u32_e64 v1, null, v3, v28, s0
	global_load_dwordx2 v[30:31], v[30:31], off
	v_add_co_u32 v34, s0, s18, v6
	v_add_nc_u32_e32 v33, 0x60, v1
	v_add_co_ci_u32_e64 v35, null, s19, 0, s0
	v_ashrrev_i64 v[32:33], 29, v[32:33]
	v_add_co_u32 v36, s0, s4, v32
	v_add_co_ci_u32_e64 v37, null, s5, v33, s0
	v_add_co_u32 v32, s0, s14, v32
	v_add_co_ci_u32_e64 v33, null, s15, v33, s0
	global_store_dwordx2 v[36:37], v[34:35], off
	s_waitcnt vmcnt(0)
	global_store_dwordx2 v[32:33], v[30:31], off
	s_or_b32 exec_lo, exec_lo, s20
	s_and_saveexec_b32 s20, s29
	s_cbranch_execz .LBB193_18
.LBB193_33:                             ;   in Loop: Header=BB193_13 Depth=1
	v_add_co_u32 v1, s0, s16, v21
	v_add_co_ci_u32_e64 v30, null, s17, v22, s0
	v_add_co_u32 v32, s0, s16, v11
	v_add_co_ci_u32_e64 v31, null, s17, v12, s0
	;; [unrolled: 2-line block ×3, first 2 shown]
	v_cndmask_b32_e32 v31, v30, v31, vcc_lo
	v_cndmask_b32_e32 v30, v1, v32, vcc_lo
	v_add_co_u32 v32, s0, 0, v27
	v_add_co_ci_u32_e64 v33, null, v3, v26, s0
	global_load_dwordx2 v[30:31], v[30:31], off
	v_add_co_u32 v34, s0, s18, v0
	v_ashrrev_i64 v[32:33], 29, v[32:33]
	v_add_co_ci_u32_e64 v35, null, s19, 0, s0
	v_add_co_u32 v36, s0, s4, v32
	v_add_co_ci_u32_e64 v37, null, s5, v33, s0
	v_add_co_u32 v32, s0, s14, v32
	v_add_co_ci_u32_e64 v33, null, s15, v33, s0
	global_store_dwordx2 v[36:37], v[34:35], off
	s_waitcnt vmcnt(0)
	global_store_dwordx2 v[32:33], v[30:31], off
	s_or_b32 exec_lo, exec_lo, s20
	s_and_saveexec_b32 s20, s30
	s_cbranch_execz .LBB193_19
.LBB193_34:                             ;   in Loop: Header=BB193_13 Depth=1
	v_add_co_u32 v1, s0, s16, v11
	v_add_co_ci_u32_e64 v30, null, s17, v12, s0
	v_add_co_u32 v32, s0, s16, v19
	v_add_co_ci_u32_e64 v31, null, s17, v20, s0
	v_cndmask_b32_e32 v31, v31, v30, vcc_lo
	v_cndmask_b32_e32 v30, v32, v1, vcc_lo
	v_add_co_u32 v32, s0, 0, v27
	v_add_co_ci_u32_e64 v1, null, v3, v26, s0
	global_load_dwordx2 v[30:31], v[30:31], off offset:256
	v_add_co_u32 v34, s0, s18, v2
	v_add_nc_u32_e32 v33, 32, v1
	v_add_co_ci_u32_e64 v35, null, s19, 0, s0
	v_ashrrev_i64 v[32:33], 29, v[32:33]
	v_add_co_u32 v36, s0, s4, v32
	v_add_co_ci_u32_e64 v37, null, s5, v33, s0
	v_add_co_u32 v32, s0, s14, v32
	v_add_co_ci_u32_e64 v33, null, s15, v33, s0
	global_store_dwordx2 v[36:37], v[34:35], off
	s_waitcnt vmcnt(0)
	global_store_dwordx2 v[32:33], v[30:31], off
	s_or_b32 exec_lo, exec_lo, s20
	s_and_saveexec_b32 s20, s31
	s_cbranch_execz .LBB193_20
.LBB193_35:                             ;   in Loop: Header=BB193_13 Depth=1
	v_add_co_u32 v1, s0, s16, v11
	v_add_co_ci_u32_e64 v30, null, s17, v12, s0
	v_add_co_u32 v31, s0, s16, v17
	v_add_co_ci_u32_e64 v32, null, s17, v18, s0
	;; [unrolled: 2-line block ×4, first 2 shown]
	v_add_co_u32 v32, s0, 0, v27
	v_cndmask_b32_e32 v31, v31, v30, vcc_lo
	v_cndmask_b32_e32 v30, v33, v1, vcc_lo
	v_add_co_ci_u32_e64 v1, null, v3, v26, s0
	v_add_co_u32 v34, s0, s18, v4
	global_load_dwordx2 v[30:31], v[30:31], off
	v_add_nc_u32_e32 v33, 64, v1
	v_add_co_ci_u32_e64 v35, null, s19, 0, s0
	v_ashrrev_i64 v[32:33], 29, v[32:33]
	v_add_co_u32 v36, s0, s4, v32
	v_add_co_ci_u32_e64 v37, null, s5, v33, s0
	v_add_co_u32 v32, s0, s14, v32
	v_add_co_ci_u32_e64 v33, null, s15, v33, s0
	global_store_dwordx2 v[36:37], v[34:35], off
	s_waitcnt vmcnt(0)
	global_store_dwordx2 v[32:33], v[30:31], off
	s_or_b32 exec_lo, exec_lo, s20
	s_and_saveexec_b32 s20, s33
	s_cbranch_execz .LBB193_21
.LBB193_36:                             ;   in Loop: Header=BB193_13 Depth=1
	v_add_co_u32 v1, s0, s16, v11
	v_add_co_ci_u32_e64 v30, null, s17, v12, s0
	v_add_co_u32 v31, s0, s16, v15
	v_add_co_ci_u32_e64 v32, null, s17, v16, s0
	;; [unrolled: 2-line block ×4, first 2 shown]
	v_add_co_u32 v32, s0, 0, v27
	v_cndmask_b32_e32 v31, v31, v30, vcc_lo
	v_cndmask_b32_e32 v30, v33, v1, vcc_lo
	v_add_co_ci_u32_e64 v1, null, v3, v26, s0
	v_add_co_u32 v34, s0, s18, v6
	global_load_dwordx2 v[30:31], v[30:31], off
	v_add_nc_u32_e32 v33, 0x60, v1
	v_add_co_ci_u32_e64 v35, null, s19, 0, s0
	v_ashrrev_i64 v[32:33], 29, v[32:33]
	v_add_co_u32 v36, s0, s4, v32
	v_add_co_ci_u32_e64 v37, null, s5, v33, s0
	v_add_co_u32 v32, s0, s14, v32
	v_add_co_ci_u32_e64 v33, null, s15, v33, s0
	global_store_dwordx2 v[36:37], v[34:35], off
	s_waitcnt vmcnt(0)
	global_store_dwordx2 v[32:33], v[30:31], off
	s_or_b32 exec_lo, exec_lo, s20
	s_and_saveexec_b32 s20, s34
	s_cbranch_execz .LBB193_22
.LBB193_37:                             ;   in Loop: Header=BB193_13 Depth=1
	v_add_co_u32 v1, s0, s16, v21
	v_add_co_ci_u32_e64 v30, null, s17, v22, s0
	v_add_co_u32 v32, s0, s16, v9
	v_add_co_ci_u32_e64 v31, null, s17, v10, s0
	;; [unrolled: 2-line block ×3, first 2 shown]
	v_cndmask_b32_e32 v31, v30, v31, vcc_lo
	v_cndmask_b32_e32 v30, v1, v32, vcc_lo
	v_add_co_u32 v32, s0, 0, v25
	v_add_co_ci_u32_e64 v33, null, v3, v24, s0
	global_load_dwordx2 v[30:31], v[30:31], off
	v_add_co_u32 v34, s0, s18, v0
	v_ashrrev_i64 v[32:33], 29, v[32:33]
	v_add_co_ci_u32_e64 v35, null, s19, 0, s0
	v_add_co_u32 v36, s0, s4, v32
	v_add_co_ci_u32_e64 v37, null, s5, v33, s0
	v_add_co_u32 v32, s0, s14, v32
	v_add_co_ci_u32_e64 v33, null, s15, v33, s0
	global_store_dwordx2 v[36:37], v[34:35], off
	s_waitcnt vmcnt(0)
	global_store_dwordx2 v[32:33], v[30:31], off
	s_or_b32 exec_lo, exec_lo, s20
	s_and_saveexec_b32 s20, s35
	s_cbranch_execz .LBB193_23
.LBB193_38:                             ;   in Loop: Header=BB193_13 Depth=1
	v_add_co_u32 v1, s0, s16, v9
	v_add_co_ci_u32_e64 v30, null, s17, v10, s0
	v_add_co_u32 v31, s0, s16, v19
	v_add_co_ci_u32_e64 v32, null, s17, v20, s0
	;; [unrolled: 2-line block ×4, first 2 shown]
	v_add_co_u32 v32, s0, 0, v25
	v_cndmask_b32_e32 v31, v31, v30, vcc_lo
	v_cndmask_b32_e32 v30, v33, v1, vcc_lo
	v_add_co_ci_u32_e64 v1, null, v3, v24, s0
	v_add_co_u32 v34, s0, s18, v2
	global_load_dwordx2 v[30:31], v[30:31], off
	v_add_nc_u32_e32 v33, 32, v1
	v_add_co_ci_u32_e64 v35, null, s19, 0, s0
	v_ashrrev_i64 v[32:33], 29, v[32:33]
	v_add_co_u32 v36, s0, s4, v32
	v_add_co_ci_u32_e64 v37, null, s5, v33, s0
	v_add_co_u32 v32, s0, s14, v32
	v_add_co_ci_u32_e64 v33, null, s15, v33, s0
	global_store_dwordx2 v[36:37], v[34:35], off
	s_waitcnt vmcnt(0)
	global_store_dwordx2 v[32:33], v[30:31], off
	s_or_b32 exec_lo, exec_lo, s20
	s_and_saveexec_b32 s20, s36
	s_cbranch_execz .LBB193_24
.LBB193_39:                             ;   in Loop: Header=BB193_13 Depth=1
	v_add_co_u32 v1, s0, s16, v9
	v_add_co_ci_u32_e64 v30, null, s17, v10, s0
	v_add_co_u32 v32, s0, s16, v17
	v_add_co_ci_u32_e64 v31, null, s17, v18, s0
	v_cndmask_b32_e32 v31, v31, v30, vcc_lo
	v_cndmask_b32_e32 v30, v32, v1, vcc_lo
	v_add_co_u32 v32, s0, 0, v25
	v_add_co_ci_u32_e64 v1, null, v3, v24, s0
	global_load_dwordx2 v[30:31], v[30:31], off offset:512
	v_add_co_u32 v34, s0, s18, v4
	v_add_nc_u32_e32 v33, 64, v1
	v_add_co_ci_u32_e64 v35, null, s19, 0, s0
	v_ashrrev_i64 v[32:33], 29, v[32:33]
	v_add_co_u32 v36, s0, s4, v32
	v_add_co_ci_u32_e64 v37, null, s5, v33, s0
	v_add_co_u32 v32, s0, s14, v32
	v_add_co_ci_u32_e64 v33, null, s15, v33, s0
	global_store_dwordx2 v[36:37], v[34:35], off
	s_waitcnt vmcnt(0)
	global_store_dwordx2 v[32:33], v[30:31], off
	s_or_b32 exec_lo, exec_lo, s20
	s_and_saveexec_b32 s20, s1
	s_cbranch_execz .LBB193_25
.LBB193_40:                             ;   in Loop: Header=BB193_13 Depth=1
	v_add_co_u32 v1, s0, s16, v9
	v_add_co_ci_u32_e64 v30, null, s17, v10, s0
	v_add_co_u32 v31, s0, s16, v15
	v_add_co_ci_u32_e64 v32, null, s17, v16, s0
	;; [unrolled: 2-line block ×4, first 2 shown]
	v_add_co_u32 v32, s0, 0, v25
	v_cndmask_b32_e32 v31, v31, v30, vcc_lo
	v_cndmask_b32_e32 v30, v33, v1, vcc_lo
	v_add_co_ci_u32_e64 v1, null, v3, v24, s0
	v_add_co_u32 v34, s0, s18, v6
	global_load_dwordx2 v[30:31], v[30:31], off
	v_add_nc_u32_e32 v33, 0x60, v1
	v_add_co_ci_u32_e64 v35, null, s19, 0, s0
	v_ashrrev_i64 v[32:33], 29, v[32:33]
	v_add_co_u32 v36, s0, s4, v32
	v_add_co_ci_u32_e64 v37, null, s5, v33, s0
	v_add_co_u32 v32, s0, s14, v32
	v_add_co_ci_u32_e64 v33, null, s15, v33, s0
	global_store_dwordx2 v[36:37], v[34:35], off
	s_waitcnt vmcnt(0)
	global_store_dwordx2 v[32:33], v[30:31], off
	s_or_b32 exec_lo, exec_lo, s20
	s_and_saveexec_b32 s20, s37
	s_cbranch_execz .LBB193_26
.LBB193_41:                             ;   in Loop: Header=BB193_13 Depth=1
	v_add_co_u32 v1, s0, s16, v21
	v_add_co_ci_u32_e64 v30, null, s17, v22, s0
	v_add_co_u32 v32, s0, s16, v7
	v_add_co_ci_u32_e64 v31, null, s17, v8, s0
	;; [unrolled: 2-line block ×3, first 2 shown]
	v_cndmask_b32_e32 v31, v30, v31, vcc_lo
	v_cndmask_b32_e32 v30, v1, v32, vcc_lo
	v_add_co_u32 v32, s0, 0, v5
	v_add_co_ci_u32_e64 v1, null, v3, v23, s0
	global_load_dwordx2 v[30:31], v[30:31], off
	v_add_co_u32 v34, s0, s18, v0
	v_add_nc_u32_e32 v33, 0xffffffa0, v1
	v_add_co_ci_u32_e64 v35, null, s19, 0, s0
	v_ashrrev_i64 v[32:33], 29, v[32:33]
	v_add_co_u32 v36, s0, s4, v32
	v_add_co_ci_u32_e64 v37, null, s5, v33, s0
	v_add_co_u32 v32, s0, s14, v32
	v_add_co_ci_u32_e64 v33, null, s15, v33, s0
	global_store_dwordx2 v[36:37], v[34:35], off
	s_waitcnt vmcnt(0)
	global_store_dwordx2 v[32:33], v[30:31], off
	s_or_b32 exec_lo, exec_lo, s20
	s_and_saveexec_b32 s20, s38
	s_cbranch_execz .LBB193_27
.LBB193_42:                             ;   in Loop: Header=BB193_13 Depth=1
	v_add_co_u32 v1, s0, s16, v7
	v_add_co_ci_u32_e64 v30, null, s17, v8, s0
	v_add_co_u32 v31, s0, s16, v19
	v_add_co_ci_u32_e64 v32, null, s17, v20, s0
	;; [unrolled: 2-line block ×4, first 2 shown]
	v_add_co_u32 v32, s0, 0, v5
	v_cndmask_b32_e32 v31, v31, v30, vcc_lo
	v_cndmask_b32_e32 v30, v33, v1, vcc_lo
	v_add_co_ci_u32_e64 v1, null, v3, v23, s0
	v_add_co_u32 v34, s0, s18, v2
	global_load_dwordx2 v[30:31], v[30:31], off
	v_subrev_nc_u32_e32 v33, 64, v1
	v_add_co_ci_u32_e64 v35, null, s19, 0, s0
	v_ashrrev_i64 v[32:33], 29, v[32:33]
	v_add_co_u32 v36, s0, s4, v32
	v_add_co_ci_u32_e64 v37, null, s5, v33, s0
	v_add_co_u32 v32, s0, s14, v32
	v_add_co_ci_u32_e64 v33, null, s15, v33, s0
	global_store_dwordx2 v[36:37], v[34:35], off
	s_waitcnt vmcnt(0)
	global_store_dwordx2 v[32:33], v[30:31], off
	s_or_b32 exec_lo, exec_lo, s20
	s_and_saveexec_b32 s20, s8
	s_cbranch_execz .LBB193_28
.LBB193_43:                             ;   in Loop: Header=BB193_13 Depth=1
	v_add_co_u32 v1, s0, s16, v7
	v_add_co_ci_u32_e64 v30, null, s17, v8, s0
	v_add_co_u32 v31, s0, s16, v17
	v_add_co_ci_u32_e64 v32, null, s17, v18, s0
	;; [unrolled: 2-line block ×4, first 2 shown]
	v_add_co_u32 v32, s0, 0, v5
	v_cndmask_b32_e32 v31, v31, v30, vcc_lo
	v_cndmask_b32_e32 v30, v33, v1, vcc_lo
	v_add_co_ci_u32_e64 v1, null, v3, v23, s0
	v_add_co_u32 v34, s0, s18, v4
	global_load_dwordx2 v[30:31], v[30:31], off
	v_subrev_nc_u32_e32 v33, 32, v1
	v_add_co_ci_u32_e64 v35, null, s19, 0, s0
	v_ashrrev_i64 v[32:33], 29, v[32:33]
	v_add_co_u32 v36, s0, s4, v32
	v_add_co_ci_u32_e64 v37, null, s5, v33, s0
	v_add_co_u32 v32, s0, s14, v32
	v_add_co_ci_u32_e64 v33, null, s15, v33, s0
	global_store_dwordx2 v[36:37], v[34:35], off
	s_waitcnt vmcnt(0)
	global_store_dwordx2 v[32:33], v[30:31], off
	s_or_b32 exec_lo, exec_lo, s20
	s_and_saveexec_b32 s20, s9
	s_cbranch_execz .LBB193_12
.LBB193_44:                             ;   in Loop: Header=BB193_13 Depth=1
	v_add_co_u32 v1, s0, s16, v7
	v_add_co_ci_u32_e64 v30, null, s17, v8, s0
	v_add_co_u32 v32, s0, s16, v15
	v_add_co_ci_u32_e64 v31, null, s17, v16, s0
	v_cndmask_b32_e32 v31, v31, v30, vcc_lo
	v_cndmask_b32_e32 v30, v32, v1, vcc_lo
	v_add_co_u32 v32, s0, 0, v5
	v_add_co_ci_u32_e64 v33, null, v3, v23, s0
	global_load_dwordx2 v[30:31], v[30:31], off offset:768
	v_add_co_u32 v34, s0, s18, v6
	v_ashrrev_i64 v[32:33], 29, v[32:33]
	v_add_co_ci_u32_e64 v35, null, s19, 0, s0
	v_add_co_u32 v36, s0, s4, v32
	v_add_co_ci_u32_e64 v37, null, s5, v33, s0
	v_add_co_u32 v32, s0, s14, v32
	v_add_co_ci_u32_e64 v33, null, s15, v33, s0
	global_store_dwordx2 v[36:37], v[34:35], off
	s_waitcnt vmcnt(0)
	global_store_dwordx2 v[32:33], v[30:31], off
	s_branch .LBB193_12
.LBB193_45:
	s_endpgm
	.section	.rodata,"a",@progbits
	.p2align	6, 0x0
	.amdhsa_kernel _ZN9rocsparseL35bsr2csr_block_per_row_33_256_kernelILj1024ELj128ELj32E21rocsparse_complex_numIfEilEEv20rocsparse_direction_T4_S4_21rocsparse_index_base_PKT2_PKT3_PKS4_S4_S5_PS6_PS9_PS4_
		.amdhsa_group_segment_fixed_size 0
		.amdhsa_private_segment_fixed_size 0
		.amdhsa_kernarg_size 96
		.amdhsa_user_sgpr_count 6
		.amdhsa_user_sgpr_private_segment_buffer 1
		.amdhsa_user_sgpr_dispatch_ptr 0
		.amdhsa_user_sgpr_queue_ptr 0
		.amdhsa_user_sgpr_kernarg_segment_ptr 1
		.amdhsa_user_sgpr_dispatch_id 0
		.amdhsa_user_sgpr_flat_scratch_init 0
		.amdhsa_user_sgpr_private_segment_size 0
		.amdhsa_wavefront_size32 1
		.amdhsa_uses_dynamic_stack 0
		.amdhsa_system_sgpr_private_segment_wavefront_offset 0
		.amdhsa_system_sgpr_workgroup_id_x 1
		.amdhsa_system_sgpr_workgroup_id_y 0
		.amdhsa_system_sgpr_workgroup_id_z 0
		.amdhsa_system_sgpr_workgroup_info 0
		.amdhsa_system_vgpr_workitem_id 0
		.amdhsa_next_free_vgpr 46
		.amdhsa_next_free_sgpr 42
		.amdhsa_reserve_vcc 1
		.amdhsa_reserve_flat_scratch 0
		.amdhsa_float_round_mode_32 0
		.amdhsa_float_round_mode_16_64 0
		.amdhsa_float_denorm_mode_32 3
		.amdhsa_float_denorm_mode_16_64 3
		.amdhsa_dx10_clamp 1
		.amdhsa_ieee_mode 1
		.amdhsa_fp16_overflow 0
		.amdhsa_workgroup_processor_mode 1
		.amdhsa_memory_ordered 1
		.amdhsa_forward_progress 1
		.amdhsa_shared_vgpr_count 0
		.amdhsa_exception_fp_ieee_invalid_op 0
		.amdhsa_exception_fp_denorm_src 0
		.amdhsa_exception_fp_ieee_div_zero 0
		.amdhsa_exception_fp_ieee_overflow 0
		.amdhsa_exception_fp_ieee_underflow 0
		.amdhsa_exception_fp_ieee_inexact 0
		.amdhsa_exception_int_div_zero 0
	.end_amdhsa_kernel
	.section	.text._ZN9rocsparseL35bsr2csr_block_per_row_33_256_kernelILj1024ELj128ELj32E21rocsparse_complex_numIfEilEEv20rocsparse_direction_T4_S4_21rocsparse_index_base_PKT2_PKT3_PKS4_S4_S5_PS6_PS9_PS4_,"axG",@progbits,_ZN9rocsparseL35bsr2csr_block_per_row_33_256_kernelILj1024ELj128ELj32E21rocsparse_complex_numIfEilEEv20rocsparse_direction_T4_S4_21rocsparse_index_base_PKT2_PKT3_PKS4_S4_S5_PS6_PS9_PS4_,comdat
.Lfunc_end193:
	.size	_ZN9rocsparseL35bsr2csr_block_per_row_33_256_kernelILj1024ELj128ELj32E21rocsparse_complex_numIfEilEEv20rocsparse_direction_T4_S4_21rocsparse_index_base_PKT2_PKT3_PKS4_S4_S5_PS6_PS9_PS4_, .Lfunc_end193-_ZN9rocsparseL35bsr2csr_block_per_row_33_256_kernelILj1024ELj128ELj32E21rocsparse_complex_numIfEilEEv20rocsparse_direction_T4_S4_21rocsparse_index_base_PKT2_PKT3_PKS4_S4_S5_PS6_PS9_PS4_
                                        ; -- End function
	.set _ZN9rocsparseL35bsr2csr_block_per_row_33_256_kernelILj1024ELj128ELj32E21rocsparse_complex_numIfEilEEv20rocsparse_direction_T4_S4_21rocsparse_index_base_PKT2_PKT3_PKS4_S4_S5_PS6_PS9_PS4_.num_vgpr, 46
	.set _ZN9rocsparseL35bsr2csr_block_per_row_33_256_kernelILj1024ELj128ELj32E21rocsparse_complex_numIfEilEEv20rocsparse_direction_T4_S4_21rocsparse_index_base_PKT2_PKT3_PKS4_S4_S5_PS6_PS9_PS4_.num_agpr, 0
	.set _ZN9rocsparseL35bsr2csr_block_per_row_33_256_kernelILj1024ELj128ELj32E21rocsparse_complex_numIfEilEEv20rocsparse_direction_T4_S4_21rocsparse_index_base_PKT2_PKT3_PKS4_S4_S5_PS6_PS9_PS4_.numbered_sgpr, 42
	.set _ZN9rocsparseL35bsr2csr_block_per_row_33_256_kernelILj1024ELj128ELj32E21rocsparse_complex_numIfEilEEv20rocsparse_direction_T4_S4_21rocsparse_index_base_PKT2_PKT3_PKS4_S4_S5_PS6_PS9_PS4_.num_named_barrier, 0
	.set _ZN9rocsparseL35bsr2csr_block_per_row_33_256_kernelILj1024ELj128ELj32E21rocsparse_complex_numIfEilEEv20rocsparse_direction_T4_S4_21rocsparse_index_base_PKT2_PKT3_PKS4_S4_S5_PS6_PS9_PS4_.private_seg_size, 0
	.set _ZN9rocsparseL35bsr2csr_block_per_row_33_256_kernelILj1024ELj128ELj32E21rocsparse_complex_numIfEilEEv20rocsparse_direction_T4_S4_21rocsparse_index_base_PKT2_PKT3_PKS4_S4_S5_PS6_PS9_PS4_.uses_vcc, 1
	.set _ZN9rocsparseL35bsr2csr_block_per_row_33_256_kernelILj1024ELj128ELj32E21rocsparse_complex_numIfEilEEv20rocsparse_direction_T4_S4_21rocsparse_index_base_PKT2_PKT3_PKS4_S4_S5_PS6_PS9_PS4_.uses_flat_scratch, 0
	.set _ZN9rocsparseL35bsr2csr_block_per_row_33_256_kernelILj1024ELj128ELj32E21rocsparse_complex_numIfEilEEv20rocsparse_direction_T4_S4_21rocsparse_index_base_PKT2_PKT3_PKS4_S4_S5_PS6_PS9_PS4_.has_dyn_sized_stack, 0
	.set _ZN9rocsparseL35bsr2csr_block_per_row_33_256_kernelILj1024ELj128ELj32E21rocsparse_complex_numIfEilEEv20rocsparse_direction_T4_S4_21rocsparse_index_base_PKT2_PKT3_PKS4_S4_S5_PS6_PS9_PS4_.has_recursion, 0
	.set _ZN9rocsparseL35bsr2csr_block_per_row_33_256_kernelILj1024ELj128ELj32E21rocsparse_complex_numIfEilEEv20rocsparse_direction_T4_S4_21rocsparse_index_base_PKT2_PKT3_PKS4_S4_S5_PS6_PS9_PS4_.has_indirect_call, 0
	.section	.AMDGPU.csdata,"",@progbits
; Kernel info:
; codeLenInByte = 4364
; TotalNumSgprs: 44
; NumVgprs: 46
; ScratchSize: 0
; MemoryBound: 0
; FloatMode: 240
; IeeeMode: 1
; LDSByteSize: 0 bytes/workgroup (compile time only)
; SGPRBlocks: 0
; VGPRBlocks: 5
; NumSGPRsForWavesPerEU: 44
; NumVGPRsForWavesPerEU: 46
; Occupancy: 16
; WaveLimiterHint : 1
; COMPUTE_PGM_RSRC2:SCRATCH_EN: 0
; COMPUTE_PGM_RSRC2:USER_SGPR: 6
; COMPUTE_PGM_RSRC2:TRAP_HANDLER: 0
; COMPUTE_PGM_RSRC2:TGID_X_EN: 1
; COMPUTE_PGM_RSRC2:TGID_Y_EN: 0
; COMPUTE_PGM_RSRC2:TGID_Z_EN: 0
; COMPUTE_PGM_RSRC2:TIDIG_COMP_CNT: 0
	.section	.text._ZN9rocsparseL35bsr2csr_block_per_row_33_256_kernelILj1024ELj256ELj32E21rocsparse_complex_numIfEilEEv20rocsparse_direction_T4_S4_21rocsparse_index_base_PKT2_PKT3_PKS4_S4_S5_PS6_PS9_PS4_,"axG",@progbits,_ZN9rocsparseL35bsr2csr_block_per_row_33_256_kernelILj1024ELj256ELj32E21rocsparse_complex_numIfEilEEv20rocsparse_direction_T4_S4_21rocsparse_index_base_PKT2_PKT3_PKS4_S4_S5_PS6_PS9_PS4_,comdat
	.globl	_ZN9rocsparseL35bsr2csr_block_per_row_33_256_kernelILj1024ELj256ELj32E21rocsparse_complex_numIfEilEEv20rocsparse_direction_T4_S4_21rocsparse_index_base_PKT2_PKT3_PKS4_S4_S5_PS6_PS9_PS4_ ; -- Begin function _ZN9rocsparseL35bsr2csr_block_per_row_33_256_kernelILj1024ELj256ELj32E21rocsparse_complex_numIfEilEEv20rocsparse_direction_T4_S4_21rocsparse_index_base_PKT2_PKT3_PKS4_S4_S5_PS6_PS9_PS4_
	.p2align	8
	.type	_ZN9rocsparseL35bsr2csr_block_per_row_33_256_kernelILj1024ELj256ELj32E21rocsparse_complex_numIfEilEEv20rocsparse_direction_T4_S4_21rocsparse_index_base_PKT2_PKT3_PKS4_S4_S5_PS6_PS9_PS4_,@function
_ZN9rocsparseL35bsr2csr_block_per_row_33_256_kernelILj1024ELj256ELj32E21rocsparse_complex_numIfEilEEv20rocsparse_direction_T4_S4_21rocsparse_index_base_PKT2_PKT3_PKS4_S4_S5_PS6_PS9_PS4_: ; @_ZN9rocsparseL35bsr2csr_block_per_row_33_256_kernelILj1024ELj256ELj32E21rocsparse_complex_numIfEilEEv20rocsparse_direction_T4_S4_21rocsparse_index_base_PKT2_PKT3_PKS4_S4_S5_PS6_PS9_PS4_
; %bb.0:
	s_load_dwordx2 s[0:1], s[4:5], 0x28
	s_mov_b32 s7, 0
	s_clause 0x1
	s_load_dword s30, s[4:5], 0x40
	s_load_dwordx2 s[2:3], s[4:5], 0x50
	s_lshl_b64 s[8:9], s[6:7], 2
	v_or_b32_e32 v1, s6, v0
	s_waitcnt lgkmcnt(0)
	s_add_u32 s0, s0, s8
	s_addc_u32 s1, s1, s9
	s_load_dwordx2 s[10:11], s[0:1], 0x0
	s_mov_b32 s0, exec_lo
	v_cmpx_eq_u32_e32 0, v1
	s_cbranch_execz .LBB194_2
; %bb.1:
	v_mov_b32_e32 v1, 0
	v_mov_b32_e32 v2, s30
	global_store_dword v1, v2, s[2:3]
.LBB194_2:
	s_or_b32 exec_lo, exec_lo, s0
	s_clause 0x1
	s_load_dword s31, s[4:5], 0x18
	s_load_dwordx2 s[18:19], s[4:5], 0x38
	v_mov_b32_e32 v17, 0
	v_lshrrev_b32_e32 v16, 5, v0
	v_lshlrev_b32_e32 v1, 2, v16
	s_waitcnt lgkmcnt(0)
	s_sub_i32 s20, s10, s31
	s_sub_i32 s33, s11, s31
	s_mul_i32 s7, s18, s19
	s_mul_hi_u32 s1, s18, s18
	s_mul_i32 s8, s19, s6
	s_mul_hi_u32 s9, s18, s6
	s_mul_i32 s0, s18, s6
	s_add_i32 s6, s1, s7
	s_sub_i32 s88, s33, s20
	s_add_i32 s1, s9, s8
	s_add_i32 s27, s6, s7
	s_mul_i32 s15, s18, s88
	s_lshl_b64 s[6:7], s[0:1], 2
	v_cmp_gt_i64_e64 s0, s[18:19], v[16:17]
	s_mul_i32 s26, s18, s18
	s_add_i32 s16, s30, s15
	s_add_u32 s12, s2, s6
	s_mul_i32 s14, s26, s20
	s_addc_u32 s13, s3, s7
	s_and_saveexec_b32 s1, s0
	s_cbranch_execz .LBB194_4
; %bb.3:
	v_mul_lo_u32 v2, v16, s15
	v_add3_u32 v2, s16, s14, v2
	global_store_dword v1, v2, s[12:13] offset:4
.LBB194_4:
	s_or_b32 exec_lo, exec_lo, s1
	v_or_b32_e32 v18, 32, v16
	v_mov_b32_e32 v19, v17
	v_cmp_gt_i64_e64 s1, s[18:19], v[18:19]
	s_and_saveexec_b32 s2, s1
	s_cbranch_execz .LBB194_6
; %bb.5:
	v_mul_lo_u32 v2, v18, s15
	v_add3_u32 v2, s16, s14, v2
	global_store_dword v1, v2, s[12:13] offset:132
.LBB194_6:
	s_or_b32 exec_lo, exec_lo, s2
	v_or_b32_e32 v19, 64, v16
	v_mov_b32_e32 v20, v17
	v_cmp_gt_i64_e64 s2, s[18:19], v[19:20]
	s_and_saveexec_b32 s3, s2
	s_cbranch_execz .LBB194_8
; %bb.7:
	v_mul_lo_u32 v2, v19, s15
	v_add3_u32 v2, s16, s14, v2
	global_store_dword v1, v2, s[12:13] offset:260
.LBB194_8:
	s_or_b32 exec_lo, exec_lo, s3
	v_or_b32_e32 v20, 0x60, v16
	v_mov_b32_e32 v21, v17
	v_cmp_gt_i64_e64 s3, s[18:19], v[20:21]
	s_and_saveexec_b32 s6, s3
	s_cbranch_execz .LBB194_10
; %bb.9:
	v_mul_lo_u32 v2, v20, s15
	v_add3_u32 v2, s16, s14, v2
	global_store_dword v1, v2, s[12:13] offset:388
.LBB194_10:
	s_or_b32 exec_lo, exec_lo, s6
	v_or_b32_e32 v21, 0x80, v16
	v_mov_b32_e32 v22, v17
	v_cmp_gt_i64_e64 s6, s[18:19], v[21:22]
	s_and_saveexec_b32 s7, s6
	s_cbranch_execz .LBB194_12
; %bb.11:
	v_mul_lo_u32 v2, v21, s15
	v_add3_u32 v2, s16, s14, v2
	global_store_dword v1, v2, s[12:13] offset:516
.LBB194_12:
	s_or_b32 exec_lo, exec_lo, s7
	v_or_b32_e32 v22, 0xa0, v16
	v_mov_b32_e32 v23, v17
	v_cmp_gt_i64_e64 s7, s[18:19], v[22:23]
	s_and_saveexec_b32 s8, s7
	s_cbranch_execz .LBB194_14
; %bb.13:
	v_mul_lo_u32 v2, v22, s15
	v_add3_u32 v2, s16, s14, v2
	global_store_dword v1, v2, s[12:13] offset:644
.LBB194_14:
	s_or_b32 exec_lo, exec_lo, s8
	v_or_b32_e32 v23, 0xc0, v16
	v_mov_b32_e32 v24, v17
	v_cmp_gt_i64_e64 s8, s[18:19], v[23:24]
	s_and_saveexec_b32 s9, s8
	s_cbranch_execz .LBB194_16
; %bb.15:
	v_mul_lo_u32 v2, v23, s15
	v_add3_u32 v2, s16, s14, v2
	global_store_dword v1, v2, s[12:13] offset:772
.LBB194_16:
	s_or_b32 exec_lo, exec_lo, s9
	v_or_b32_e32 v24, 0xe0, v16
	v_mov_b32_e32 v25, v17
	v_cmp_gt_i64_e64 s9, s[18:19], v[24:25]
	s_and_saveexec_b32 s17, s9
	s_cbranch_execz .LBB194_18
; %bb.17:
	v_mul_lo_u32 v2, v24, s15
	v_add3_u32 v2, s16, s14, v2
	global_store_dword v1, v2, s[12:13] offset:900
.LBB194_18:
	s_or_b32 exec_lo, exec_lo, s17
	s_cmp_lt_i32 s10, s11
	s_cbranch_scc0 .LBB194_149
; %bb.19:
	s_load_dword s12, s[4:5], 0x0
	v_and_b32_e32 v0, 31, v0
	v_mov_b32_e32 v1, 0
	s_clause 0x2
	s_load_dwordx2 s[28:29], s[4:5], 0x30
	s_load_dwordx2 s[22:23], s[4:5], 0x48
	;; [unrolled: 1-line block ×3, first 2 shown]
	v_lshlrev_b32_e32 v45, 3, v16
	s_load_dwordx2 s[4:5], s[4:5], 0x58
	v_or_b32_e32 v2, 32, v0
	v_mov_b32_e32 v3, v1
	v_or_b32_e32 v4, 64, v0
	v_mov_b32_e32 v5, v1
	;; [unrolled: 2-line block ×7, first 2 shown]
	v_cmp_gt_i64_e64 s10, s[18:19], v[0:1]
	v_cmp_gt_i64_e64 s11, s[18:19], v[2:3]
	s_waitcnt lgkmcnt(0)
	s_cmp_eq_u32 s12, 0
	v_cmp_gt_i64_e64 s12, s[18:19], v[4:5]
	v_cmp_gt_i64_e64 s13, s[18:19], v[6:7]
	;; [unrolled: 1-line block ×6, first 2 shown]
	s_cselect_b32 vcc_lo, -1, 0
	s_and_b32 s65, s6, s10
	s_and_b32 s66, s6, s11
	s_and_b32 s67, s6, s12
	s_and_b32 s68, s6, s13
	s_and_b32 s69, s6, s14
	s_and_b32 s70, s6, s15
	s_and_b32 s71, s6, s16
	s_and_b32 s72, s6, s17
	s_mul_i32 s6, s18, s20
	s_ashr_i32 s21, s20, 31
	v_mad_u64_u32 v[47:48], null, v24, s88, s[6:7]
	v_mad_u64_u32 v[48:49], null, v23, s88, s[6:7]
	;; [unrolled: 1-line block ×6, first 2 shown]
	s_and_b32 s49, s2, s10
	s_and_b32 s50, s2, s11
	s_and_b32 s51, s2, s12
	s_and_b32 s52, s2, s13
	s_and_b32 s53, s2, s14
	s_and_b32 s54, s2, s15
	s_and_b32 s55, s2, s16
	s_and_b32 s56, s2, s17
	s_and_b32 s57, s3, s10
	s_and_b32 s58, s3, s11
	s_and_b32 s59, s3, s12
	s_and_b32 s60, s3, s13
	s_and_b32 s61, s3, s14
	s_and_b32 s62, s3, s15
	s_and_b32 s63, s3, s16
	s_and_b32 s64, s3, s17
	v_mad_u64_u32 v[53:54], null, v18, s88, s[6:7]
	s_lshl_b64 s[2:3], s[20:21], 3
	s_and_b32 s34, s0, s10
	s_and_b32 s35, s0, s11
	s_and_b32 s36, s0, s12
	s_and_b32 s37, s0, s13
	s_and_b32 s38, s0, s14
	s_and_b32 s39, s0, s15
	s_and_b32 s40, s0, s16
	s_and_b32 s41, s0, s17
	s_and_b32 s42, s1, s10
	s_and_b32 s43, s1, s11
	s_and_b32 s44, s1, s12
	s_and_b32 s45, s1, s13
	s_and_b32 s46, s1, s14
	s_and_b32 s47, s1, s15
	s_and_b32 s48, s1, s16
	s_and_b32 s1, s1, s17
	s_and_b32 s73, s7, s10
	s_and_b32 s74, s7, s11
	s_and_b32 s75, s7, s12
	s_and_b32 s76, s7, s13
	s_and_b32 s77, s7, s14
	s_and_b32 s78, s7, s15
	s_and_b32 s79, s7, s16
	s_and_b32 s80, s7, s17
	s_and_b32 s81, s8, s10
	s_and_b32 s82, s8, s11
	s_and_b32 s83, s8, s12
	s_and_b32 s84, s8, s13
	s_and_b32 s85, s8, s14
	s_and_b32 s86, s8, s15
	s_and_b32 s87, s8, s16
	s_and_b32 s8, s8, s17
	s_and_b32 s10, s9, s10
	s_and_b32 s11, s9, s11
	s_and_b32 s12, s9, s12
	s_and_b32 s13, s9, s13
	s_and_b32 s14, s9, s14
	s_and_b32 s15, s9, s15
	s_and_b32 s16, s9, s16
	s_and_b32 s9, s9, s17
	v_mad_u64_u32 v[54:55], null, v16, s88, s[6:7]
	s_mul_hi_u32 s0, s18, s20
	s_mul_i32 s7, s18, s21
	s_add_u32 s2, s28, s2
	s_addc_u32 s3, s29, s3
	s_add_i32 s0, s0, s7
	s_mul_i32 s7, s19, s20
	v_lshlrev_b32_e32 v29, 3, v0
	s_add_i32 s7, s0, s7
	v_mov_b32_e32 v30, v1
	s_lshl_b64 s[6:7], s[6:7], 3
	v_mov_b32_e32 v46, v1
	v_add_co_u32 v3, s0, s6, v45
	v_add_co_ci_u32_e64 v5, null, s7, 0, s0
	v_mul_lo_u32 v63, s18, v52
	v_add_co_u32 v7, s0, 0x700, v3
	v_add_co_ci_u32_e64 v9, null, 0, v5, s0
	v_mul_lo_u32 v65, s18, v53
	v_mul_lo_u32 v11, s19, v7
	v_mad_u64_u32 v[15:16], null, s18, v7, v[29:30]
	v_add_co_u32 v7, s0, 0x600, v3
	v_add_co_ci_u32_e64 v13, null, 0, v5, s0
	v_add_co_u32 v19, s0, 0x500, v3
	v_add_co_ci_u32_e64 v20, null, 0, v5, s0
	v_mul_lo_u32 v21, s19, v7
	v_mad_u64_u32 v[17:18], null, s18, v7, v[29:30]
	v_mul_lo_u32 v7, s18, v20
	v_mul_lo_u32 v22, s19, v19
	v_mad_u64_u32 v[19:20], null, s18, v19, v[29:30]
	v_mul_lo_u32 v9, s18, v9
	v_mul_lo_u32 v13, s18, v13
	;; [unrolled: 1-line block ×3, first 2 shown]
	v_mov_b32_e32 v64, v1
	v_mov_b32_e32 v66, v1
	;; [unrolled: 1-line block ×3, first 2 shown]
	v_add3_u32 v20, v22, v20, v7
	v_add_co_u32 v7, s0, 0x400, v3
	v_add3_u32 v16, v11, v16, v9
	v_add_co_ci_u32_e64 v9, null, 0, v5, s0
	v_add_co_u32 v11, s0, 0x300, v3
	v_add3_u32 v18, v21, v18, v13
	v_add_co_ci_u32_e64 v13, null, 0, v5, s0
	v_mul_lo_u32 v31, s19, v7
	v_mad_u64_u32 v[21:22], null, s18, v7, v[29:30]
	v_mul_lo_u32 v7, s18, v13
	v_mul_lo_u32 v13, s19, v11
	v_mad_u64_u32 v[23:24], null, s18, v11, v[29:30]
	v_mul_lo_u32 v9, s18, v9
	v_add_co_u32 v11, s0, 0x200, v3
	v_add_co_ci_u32_e64 v25, null, 0, v5, s0
	v_add_co_u32 v27, s0, 0x100, v3
	v_add_co_ci_u32_e64 v28, null, 0, v5, s0
	v_add3_u32 v24, v13, v24, v7
	v_add_co_u32 v7, s0, s6, v29
	v_add3_u32 v22, v31, v22, v9
	v_add_co_ci_u32_e64 v9, null, s7, 0, s0
	v_mul_lo_u32 v33, s18, v25
	v_mul_lo_u32 v34, s19, v11
	v_mad_u64_u32 v[25:26], null, s18, v11, v[29:30]
	v_mul_lo_u32 v11, s18, v28
	v_mul_lo_u32 v35, s19, v27
	v_mad_u64_u32 v[27:28], null, s18, v27, v[29:30]
	v_mul_lo_u32 v13, s19, v3
	v_mad_u64_u32 v[29:30], null, s18, v3, v[29:30]
	v_mul_lo_u32 v3, s18, v9
	v_mul_lo_u32 v38, s19, v7
	v_mad_u64_u32 v[31:32], null, s18, v7, v[45:46]
	v_mul_lo_u32 v5, s18, v5
	v_add_co_u32 v36, s0, 0x100, v7
	v_add_co_ci_u32_e64 v37, null, 0, v9, s0
	v_add3_u32 v26, v34, v26, v33
	v_add3_u32 v32, v38, v32, v3
	v_add_co_u32 v3, s0, 0x200, v7
	v_mul_lo_u32 v37, s18, v37
	v_mul_lo_u32 v39, s19, v36
	v_mad_u64_u32 v[33:34], null, s18, v36, v[45:46]
	v_add3_u32 v28, v35, v28, v11
	v_add3_u32 v30, v13, v30, v5
	v_add_co_ci_u32_e64 v5, null, 0, v9, s0
	v_add_co_u32 v11, s0, 0x300, v7
	v_add_co_ci_u32_e64 v13, null, 0, v9, s0
	v_add3_u32 v34, v39, v34, v37
	v_mul_lo_u32 v55, s19, v3
	v_mad_u64_u32 v[35:36], null, s18, v3, v[45:46]
	v_mul_lo_u32 v3, s18, v13
	v_mul_lo_u32 v13, s19, v11
	v_mad_u64_u32 v[37:38], null, s18, v11, v[45:46]
	v_add_co_u32 v11, s0, 0x400, v7
	v_add_co_ci_u32_e64 v39, null, 0, v9, s0
	v_add_co_u32 v41, s0, 0x500, v7
	v_add_co_ci_u32_e64 v42, null, 0, v9, s0
	;; [unrolled: 2-line block ×4, first 2 shown]
	v_mul_lo_u32 v5, s18, v5
	v_mul_lo_u32 v56, s18, v39
	;; [unrolled: 1-line block ×3, first 2 shown]
	v_mad_u64_u32 v[39:40], null, s18, v11, v[45:46]
	v_mul_lo_u32 v11, s18, v42
	v_mul_lo_u32 v58, s19, v41
	v_mad_u64_u32 v[41:42], null, s18, v41, v[45:46]
	v_mul_lo_u32 v59, s18, v44
	v_mul_lo_u32 v60, s19, v43
	v_mad_u64_u32 v[43:44], null, s18, v43, v[45:46]
	v_mul_lo_u32 v9, s18, v9
	v_mad_u64_u32 v[45:46], null, s18, v7, v[45:46]
	v_mul_lo_u32 v7, s19, v7
	v_add3_u32 v36, v55, v36, v5
	v_add3_u32 v38, v13, v38, v3
	;; [unrolled: 1-line block ×3, first 2 shown]
	v_mul_lo_u32 v3, s18, v47
	v_mul_lo_u32 v5, s18, v48
	;; [unrolled: 1-line block ×3, first 2 shown]
	v_add3_u32 v40, v57, v40, v56
	v_add3_u32 v46, v7, v46, v9
	v_mul_lo_u32 v7, s18, v49
	v_mul_lo_u32 v9, s18, v50
	v_add3_u32 v44, v60, v44, v59
	v_mov_b32_e32 v13, v0
	v_mov_b32_e32 v69, v1
	;; [unrolled: 1-line block ×5, first 2 shown]
	s_mov_b32 s17, s18
	s_lshl_b64 s[6:7], s[26:27], 3
	s_branch .LBB194_21
.LBB194_20:                             ;   in Loop: Header=BB194_21 Depth=1
	s_or_b32 exec_lo, exec_lo, s21
	v_add_co_u32 v64, s0, v64, 0
	v_add_co_ci_u32_e64 v3, null, s17, v3, s0
	v_add_co_u32 v66, s0, v66, 0
	v_add_co_ci_u32_e64 v5, null, s17, v5, s0
	;; [unrolled: 2-line block ×6, first 2 shown]
	v_add_co_u32 v72, s0, v72, 0
	s_add_i32 s20, s20, 1
	v_add_co_ci_u32_e64 v65, null, s17, v65, s0
	v_add_co_u32 v1, s0, v1, 0
	s_add_u32 s2, s2, 8
	v_add_co_ci_u32_e64 v67, null, s17, v67, s0
	s_addc_u32 s3, s3, 0
	s_add_u32 s24, s24, s6
	s_addc_u32 s25, s25, s7
	s_cmp_ge_i32 s20, s33
	s_cbranch_scc1 .LBB194_149
.LBB194_21:                             ; =>This Inner Loop Header: Depth=1
	s_load_dwordx2 s[26:27], s[2:3], 0x0
	s_waitcnt lgkmcnt(0)
	s_sub_u32 s0, s26, s31
	s_subb_u32 s21, s27, 0
	s_mul_i32 s26, s0, s19
	s_mul_hi_u32 s27, s0, s18
	s_mul_i32 s21, s21, s18
	s_add_i32 s26, s27, s26
	s_mul_i32 s0, s0, s18
	s_add_i32 s26, s26, s21
	s_add_u32 s21, s0, s30
	s_addc_u32 s26, s26, 0
	v_add_co_u32 v59, s0, s21, v0
	v_add_co_ci_u32_e64 v60, null, s26, 0, s0
	s_and_saveexec_b32 s27, s34
	s_cbranch_execz .LBB194_23
; %bb.22:                               ;   in Loop: Header=BB194_21 Depth=1
	v_add_co_u32 v47, s0, s24, v29
	v_add_co_ci_u32_e64 v48, null, s25, v30, s0
	v_add_co_u32 v49, s0, s24, v31
	v_add_co_ci_u32_e64 v50, null, s25, v32, s0
	v_cndmask_b32_e32 v47, v49, v47, vcc_lo
	v_add_co_u32 v49, s0, 0, v1
	v_cndmask_b32_e32 v48, v50, v48, vcc_lo
	v_add_co_ci_u32_e64 v50, null, v13, v67, s0
	global_load_dwordx2 v[47:48], v[47:48], off
	v_ashrrev_i64 v[49:50], 29, v[49:50]
	v_add_co_u32 v51, s0, s4, v49
	v_add_co_ci_u32_e64 v52, null, s5, v50, s0
	v_add_co_u32 v49, s0, s22, v49
	v_add_co_ci_u32_e64 v50, null, s23, v50, s0
	global_store_dwordx2 v[51:52], v[59:60], off
	s_waitcnt vmcnt(0)
	global_store_dwordx2 v[49:50], v[47:48], off
.LBB194_23:                             ;   in Loop: Header=BB194_21 Depth=1
	s_or_b32 exec_lo, exec_lo, s27
	v_add_co_u32 v47, s0, s21, v2
	v_add_co_ci_u32_e64 v48, null, s26, 0, s0
	s_and_saveexec_b32 s27, s35
	s_cbranch_execz .LBB194_25
; %bb.24:                               ;   in Loop: Header=BB194_21 Depth=1
	v_add_co_u32 v49, s0, s24, v29
	v_add_co_ci_u32_e64 v50, null, s25, v30, s0
	v_add_co_u32 v49, s0, 0x100, v49
	v_add_co_ci_u32_e64 v50, null, 0, v50, s0
	v_add_co_u32 v51, s0, s24, v33
	v_add_co_ci_u32_e64 v52, null, s25, v34, s0
	v_cndmask_b32_e32 v49, v51, v49, vcc_lo
	v_add_co_u32 v51, s0, 0, v1
	v_cndmask_b32_e32 v50, v52, v50, vcc_lo
	v_add_co_ci_u32_e64 v52, null, v13, v67, s0
	global_load_dwordx2 v[49:50], v[49:50], off
	v_add_nc_u32_e32 v52, 32, v52
	v_ashrrev_i64 v[51:52], 29, v[51:52]
	v_add_co_u32 v53, s0, s4, v51
	v_add_co_ci_u32_e64 v54, null, s5, v52, s0
	v_add_co_u32 v51, s0, s22, v51
	v_add_co_ci_u32_e64 v52, null, s23, v52, s0
	global_store_dwordx2 v[53:54], v[47:48], off
	s_waitcnt vmcnt(0)
	global_store_dwordx2 v[51:52], v[49:50], off
.LBB194_25:                             ;   in Loop: Header=BB194_21 Depth=1
	s_or_b32 exec_lo, exec_lo, s27
	v_add_co_u32 v49, s0, s21, v4
	v_add_co_ci_u32_e64 v50, null, s26, 0, s0
	s_and_saveexec_b32 s27, s36
	s_cbranch_execz .LBB194_27
; %bb.26:                               ;   in Loop: Header=BB194_21 Depth=1
	v_add_co_u32 v51, s0, s24, v29
	v_add_co_ci_u32_e64 v52, null, s25, v30, s0
	v_add_co_u32 v51, s0, 0x200, v51
	v_add_co_ci_u32_e64 v52, null, 0, v52, s0
	v_add_co_u32 v53, s0, s24, v35
	v_add_co_ci_u32_e64 v54, null, s25, v36, s0
	v_cndmask_b32_e32 v51, v53, v51, vcc_lo
	v_add_co_u32 v53, s0, 0, v1
	v_cndmask_b32_e32 v52, v54, v52, vcc_lo
	v_add_co_ci_u32_e64 v54, null, v13, v67, s0
	global_load_dwordx2 v[51:52], v[51:52], off
	v_add_nc_u32_e32 v54, 64, v54
	v_ashrrev_i64 v[53:54], 29, v[53:54]
	v_add_co_u32 v55, s0, s4, v53
	v_add_co_ci_u32_e64 v56, null, s5, v54, s0
	v_add_co_u32 v53, s0, s22, v53
	v_add_co_ci_u32_e64 v54, null, s23, v54, s0
	global_store_dwordx2 v[55:56], v[49:50], off
	s_waitcnt vmcnt(0)
	global_store_dwordx2 v[53:54], v[51:52], off
.LBB194_27:                             ;   in Loop: Header=BB194_21 Depth=1
	;; [unrolled: 27-line block ×6, first 2 shown]
	s_or_b32 exec_lo, exec_lo, s27
	v_add_co_u32 v61, s0, s21, v14
	v_add_co_ci_u32_e64 v62, null, s26, 0, s0
	s_and_saveexec_b32 s21, s41
	s_cbranch_execnz .LBB194_92
; %bb.36:                               ;   in Loop: Header=BB194_21 Depth=1
	s_or_b32 exec_lo, exec_lo, s21
	s_and_saveexec_b32 s21, s42
	s_cbranch_execnz .LBB194_93
.LBB194_37:                             ;   in Loop: Header=BB194_21 Depth=1
	s_or_b32 exec_lo, exec_lo, s21
	s_and_saveexec_b32 s21, s43
	s_cbranch_execnz .LBB194_94
.LBB194_38:                             ;   in Loop: Header=BB194_21 Depth=1
	s_or_b32 exec_lo, exec_lo, s21
	s_and_saveexec_b32 s21, s44
	s_cbranch_execnz .LBB194_95
.LBB194_39:                             ;   in Loop: Header=BB194_21 Depth=1
	s_or_b32 exec_lo, exec_lo, s21
	s_and_saveexec_b32 s21, s45
	s_cbranch_execnz .LBB194_96
.LBB194_40:                             ;   in Loop: Header=BB194_21 Depth=1
	s_or_b32 exec_lo, exec_lo, s21
	s_and_saveexec_b32 s21, s46
	s_cbranch_execnz .LBB194_97
.LBB194_41:                             ;   in Loop: Header=BB194_21 Depth=1
	s_or_b32 exec_lo, exec_lo, s21
	s_and_saveexec_b32 s21, s47
	s_cbranch_execnz .LBB194_98
.LBB194_42:                             ;   in Loop: Header=BB194_21 Depth=1
	s_or_b32 exec_lo, exec_lo, s21
	s_and_saveexec_b32 s21, s48
	s_cbranch_execnz .LBB194_99
.LBB194_43:                             ;   in Loop: Header=BB194_21 Depth=1
	s_or_b32 exec_lo, exec_lo, s21
	s_and_saveexec_b32 s21, s1
	s_cbranch_execnz .LBB194_100
.LBB194_44:                             ;   in Loop: Header=BB194_21 Depth=1
	s_or_b32 exec_lo, exec_lo, s21
	s_and_saveexec_b32 s21, s49
	s_cbranch_execnz .LBB194_101
.LBB194_45:                             ;   in Loop: Header=BB194_21 Depth=1
	s_or_b32 exec_lo, exec_lo, s21
	s_and_saveexec_b32 s21, s50
	s_cbranch_execnz .LBB194_102
.LBB194_46:                             ;   in Loop: Header=BB194_21 Depth=1
	s_or_b32 exec_lo, exec_lo, s21
	s_and_saveexec_b32 s21, s51
	s_cbranch_execnz .LBB194_103
.LBB194_47:                             ;   in Loop: Header=BB194_21 Depth=1
	s_or_b32 exec_lo, exec_lo, s21
	s_and_saveexec_b32 s21, s52
	s_cbranch_execnz .LBB194_104
.LBB194_48:                             ;   in Loop: Header=BB194_21 Depth=1
	s_or_b32 exec_lo, exec_lo, s21
	s_and_saveexec_b32 s21, s53
	s_cbranch_execnz .LBB194_105
.LBB194_49:                             ;   in Loop: Header=BB194_21 Depth=1
	s_or_b32 exec_lo, exec_lo, s21
	s_and_saveexec_b32 s21, s54
	s_cbranch_execnz .LBB194_106
.LBB194_50:                             ;   in Loop: Header=BB194_21 Depth=1
	s_or_b32 exec_lo, exec_lo, s21
	s_and_saveexec_b32 s21, s55
	s_cbranch_execnz .LBB194_107
.LBB194_51:                             ;   in Loop: Header=BB194_21 Depth=1
	s_or_b32 exec_lo, exec_lo, s21
	s_and_saveexec_b32 s21, s56
	s_cbranch_execnz .LBB194_108
.LBB194_52:                             ;   in Loop: Header=BB194_21 Depth=1
	s_or_b32 exec_lo, exec_lo, s21
	s_and_saveexec_b32 s21, s57
	s_cbranch_execnz .LBB194_109
.LBB194_53:                             ;   in Loop: Header=BB194_21 Depth=1
	s_or_b32 exec_lo, exec_lo, s21
	s_and_saveexec_b32 s21, s58
	s_cbranch_execnz .LBB194_110
.LBB194_54:                             ;   in Loop: Header=BB194_21 Depth=1
	s_or_b32 exec_lo, exec_lo, s21
	s_and_saveexec_b32 s21, s59
	s_cbranch_execnz .LBB194_111
.LBB194_55:                             ;   in Loop: Header=BB194_21 Depth=1
	s_or_b32 exec_lo, exec_lo, s21
	s_and_saveexec_b32 s21, s60
	s_cbranch_execnz .LBB194_112
.LBB194_56:                             ;   in Loop: Header=BB194_21 Depth=1
	s_or_b32 exec_lo, exec_lo, s21
	s_and_saveexec_b32 s21, s61
	s_cbranch_execnz .LBB194_113
.LBB194_57:                             ;   in Loop: Header=BB194_21 Depth=1
	s_or_b32 exec_lo, exec_lo, s21
	s_and_saveexec_b32 s21, s62
	s_cbranch_execnz .LBB194_114
.LBB194_58:                             ;   in Loop: Header=BB194_21 Depth=1
	s_or_b32 exec_lo, exec_lo, s21
	s_and_saveexec_b32 s21, s63
	s_cbranch_execnz .LBB194_115
.LBB194_59:                             ;   in Loop: Header=BB194_21 Depth=1
	s_or_b32 exec_lo, exec_lo, s21
	s_and_saveexec_b32 s21, s64
	s_cbranch_execnz .LBB194_116
.LBB194_60:                             ;   in Loop: Header=BB194_21 Depth=1
	s_or_b32 exec_lo, exec_lo, s21
	s_and_saveexec_b32 s21, s65
	s_cbranch_execnz .LBB194_117
.LBB194_61:                             ;   in Loop: Header=BB194_21 Depth=1
	s_or_b32 exec_lo, exec_lo, s21
	s_and_saveexec_b32 s21, s66
	s_cbranch_execnz .LBB194_118
.LBB194_62:                             ;   in Loop: Header=BB194_21 Depth=1
	s_or_b32 exec_lo, exec_lo, s21
	s_and_saveexec_b32 s21, s67
	s_cbranch_execnz .LBB194_119
.LBB194_63:                             ;   in Loop: Header=BB194_21 Depth=1
	s_or_b32 exec_lo, exec_lo, s21
	s_and_saveexec_b32 s21, s68
	s_cbranch_execnz .LBB194_120
.LBB194_64:                             ;   in Loop: Header=BB194_21 Depth=1
	s_or_b32 exec_lo, exec_lo, s21
	s_and_saveexec_b32 s21, s69
	s_cbranch_execnz .LBB194_121
.LBB194_65:                             ;   in Loop: Header=BB194_21 Depth=1
	s_or_b32 exec_lo, exec_lo, s21
	s_and_saveexec_b32 s21, s70
	s_cbranch_execnz .LBB194_122
.LBB194_66:                             ;   in Loop: Header=BB194_21 Depth=1
	s_or_b32 exec_lo, exec_lo, s21
	s_and_saveexec_b32 s21, s71
	s_cbranch_execnz .LBB194_123
.LBB194_67:                             ;   in Loop: Header=BB194_21 Depth=1
	s_or_b32 exec_lo, exec_lo, s21
	s_and_saveexec_b32 s21, s72
	s_cbranch_execnz .LBB194_124
.LBB194_68:                             ;   in Loop: Header=BB194_21 Depth=1
	s_or_b32 exec_lo, exec_lo, s21
	s_and_saveexec_b32 s21, s73
	s_cbranch_execnz .LBB194_125
.LBB194_69:                             ;   in Loop: Header=BB194_21 Depth=1
	s_or_b32 exec_lo, exec_lo, s21
	s_and_saveexec_b32 s21, s74
	s_cbranch_execnz .LBB194_126
.LBB194_70:                             ;   in Loop: Header=BB194_21 Depth=1
	s_or_b32 exec_lo, exec_lo, s21
	s_and_saveexec_b32 s21, s75
	s_cbranch_execnz .LBB194_127
.LBB194_71:                             ;   in Loop: Header=BB194_21 Depth=1
	s_or_b32 exec_lo, exec_lo, s21
	s_and_saveexec_b32 s21, s76
	s_cbranch_execnz .LBB194_128
.LBB194_72:                             ;   in Loop: Header=BB194_21 Depth=1
	s_or_b32 exec_lo, exec_lo, s21
	s_and_saveexec_b32 s21, s77
	s_cbranch_execnz .LBB194_129
.LBB194_73:                             ;   in Loop: Header=BB194_21 Depth=1
	s_or_b32 exec_lo, exec_lo, s21
	s_and_saveexec_b32 s21, s78
	s_cbranch_execnz .LBB194_130
.LBB194_74:                             ;   in Loop: Header=BB194_21 Depth=1
	s_or_b32 exec_lo, exec_lo, s21
	s_and_saveexec_b32 s21, s79
	s_cbranch_execnz .LBB194_131
.LBB194_75:                             ;   in Loop: Header=BB194_21 Depth=1
	s_or_b32 exec_lo, exec_lo, s21
	s_and_saveexec_b32 s21, s80
	s_cbranch_execnz .LBB194_132
.LBB194_76:                             ;   in Loop: Header=BB194_21 Depth=1
	s_or_b32 exec_lo, exec_lo, s21
	s_and_saveexec_b32 s21, s81
	s_cbranch_execnz .LBB194_133
.LBB194_77:                             ;   in Loop: Header=BB194_21 Depth=1
	s_or_b32 exec_lo, exec_lo, s21
	s_and_saveexec_b32 s21, s82
	s_cbranch_execnz .LBB194_134
.LBB194_78:                             ;   in Loop: Header=BB194_21 Depth=1
	s_or_b32 exec_lo, exec_lo, s21
	s_and_saveexec_b32 s21, s83
	s_cbranch_execnz .LBB194_135
.LBB194_79:                             ;   in Loop: Header=BB194_21 Depth=1
	s_or_b32 exec_lo, exec_lo, s21
	s_and_saveexec_b32 s21, s84
	s_cbranch_execnz .LBB194_136
.LBB194_80:                             ;   in Loop: Header=BB194_21 Depth=1
	s_or_b32 exec_lo, exec_lo, s21
	s_and_saveexec_b32 s21, s85
	s_cbranch_execnz .LBB194_137
.LBB194_81:                             ;   in Loop: Header=BB194_21 Depth=1
	s_or_b32 exec_lo, exec_lo, s21
	s_and_saveexec_b32 s21, s86
	s_cbranch_execnz .LBB194_138
.LBB194_82:                             ;   in Loop: Header=BB194_21 Depth=1
	s_or_b32 exec_lo, exec_lo, s21
	s_and_saveexec_b32 s21, s87
	s_cbranch_execnz .LBB194_139
.LBB194_83:                             ;   in Loop: Header=BB194_21 Depth=1
	s_or_b32 exec_lo, exec_lo, s21
	s_and_saveexec_b32 s21, s8
	s_cbranch_execnz .LBB194_140
.LBB194_84:                             ;   in Loop: Header=BB194_21 Depth=1
	s_or_b32 exec_lo, exec_lo, s21
	s_and_saveexec_b32 s21, s10
	s_cbranch_execnz .LBB194_141
.LBB194_85:                             ;   in Loop: Header=BB194_21 Depth=1
	s_or_b32 exec_lo, exec_lo, s21
	s_and_saveexec_b32 s21, s11
	s_cbranch_execnz .LBB194_142
.LBB194_86:                             ;   in Loop: Header=BB194_21 Depth=1
	s_or_b32 exec_lo, exec_lo, s21
	s_and_saveexec_b32 s21, s12
	s_cbranch_execnz .LBB194_143
.LBB194_87:                             ;   in Loop: Header=BB194_21 Depth=1
	s_or_b32 exec_lo, exec_lo, s21
	s_and_saveexec_b32 s21, s13
	s_cbranch_execnz .LBB194_144
.LBB194_88:                             ;   in Loop: Header=BB194_21 Depth=1
	s_or_b32 exec_lo, exec_lo, s21
	s_and_saveexec_b32 s21, s14
	s_cbranch_execnz .LBB194_145
.LBB194_89:                             ;   in Loop: Header=BB194_21 Depth=1
	s_or_b32 exec_lo, exec_lo, s21
	s_and_saveexec_b32 s21, s15
	s_cbranch_execnz .LBB194_146
.LBB194_90:                             ;   in Loop: Header=BB194_21 Depth=1
	s_or_b32 exec_lo, exec_lo, s21
	s_and_saveexec_b32 s21, s16
	s_cbranch_execnz .LBB194_147
.LBB194_91:                             ;   in Loop: Header=BB194_21 Depth=1
	s_or_b32 exec_lo, exec_lo, s21
	s_and_saveexec_b32 s21, s9
	s_cbranch_execz .LBB194_20
	s_branch .LBB194_148
.LBB194_92:                             ;   in Loop: Header=BB194_21 Depth=1
	v_add_co_u32 v73, s0, s24, v29
	v_add_co_ci_u32_e64 v74, null, s25, v30, s0
	v_add_co_u32 v73, s0, 0x700, v73
	v_add_co_ci_u32_e64 v74, null, 0, v74, s0
	;; [unrolled: 2-line block ×3, first 2 shown]
	v_cndmask_b32_e32 v73, v75, v73, vcc_lo
	v_add_co_u32 v75, s0, 0, v1
	v_cndmask_b32_e32 v74, v76, v74, vcc_lo
	v_add_co_ci_u32_e64 v76, null, v13, v67, s0
	global_load_dwordx2 v[73:74], v[73:74], off
	v_add_nc_u32_e32 v76, 0xe0, v76
	v_ashrrev_i64 v[75:76], 29, v[75:76]
	v_add_co_u32 v77, s0, s4, v75
	v_add_co_ci_u32_e64 v78, null, s5, v76, s0
	v_add_co_u32 v75, s0, s22, v75
	v_add_co_ci_u32_e64 v76, null, s23, v76, s0
	global_store_dwordx2 v[77:78], v[61:62], off
	s_waitcnt vmcnt(0)
	global_store_dwordx2 v[75:76], v[73:74], off
	s_or_b32 exec_lo, exec_lo, s21
	s_and_saveexec_b32 s21, s42
	s_cbranch_execz .LBB194_37
.LBB194_93:                             ;   in Loop: Header=BB194_21 Depth=1
	v_add_co_u32 v73, s0, s24, v31
	v_add_co_ci_u32_e64 v74, null, s25, v32, s0
	v_add_co_u32 v75, s0, s24, v27
	v_add_co_ci_u32_e64 v76, null, s25, v28, s0
	;; [unrolled: 2-line block ×3, first 2 shown]
	v_cndmask_b32_e32 v73, v73, v75, vcc_lo
	v_add_co_u32 v75, s0, 0, v72
	v_cndmask_b32_e32 v74, v74, v76, vcc_lo
	v_add_co_ci_u32_e64 v76, null, v13, v65, s0
	global_load_dwordx2 v[73:74], v[73:74], off
	v_ashrrev_i64 v[75:76], 29, v[75:76]
	v_add_co_u32 v77, s0, s4, v75
	v_add_co_ci_u32_e64 v78, null, s5, v76, s0
	v_add_co_u32 v75, s0, s22, v75
	v_add_co_ci_u32_e64 v76, null, s23, v76, s0
	global_store_dwordx2 v[77:78], v[59:60], off
	s_waitcnt vmcnt(0)
	global_store_dwordx2 v[75:76], v[73:74], off
	s_or_b32 exec_lo, exec_lo, s21
	s_and_saveexec_b32 s21, s43
	s_cbranch_execz .LBB194_38
.LBB194_94:                             ;   in Loop: Header=BB194_21 Depth=1
	v_add_co_u32 v73, s0, s24, v27
	v_add_co_ci_u32_e64 v74, null, s25, v28, s0
	v_add_co_u32 v75, s0, s24, v33
	v_add_co_ci_u32_e64 v76, null, s25, v34, s0
	v_cndmask_b32_e32 v73, v75, v73, vcc_lo
	v_add_co_u32 v75, s0, 0, v72
	v_cndmask_b32_e32 v74, v76, v74, vcc_lo
	v_add_co_ci_u32_e64 v76, null, v13, v65, s0
	global_load_dwordx2 v[73:74], v[73:74], off offset:256
	v_add_nc_u32_e32 v76, 32, v76
	v_ashrrev_i64 v[75:76], 29, v[75:76]
	v_add_co_u32 v77, s0, s4, v75
	v_add_co_ci_u32_e64 v78, null, s5, v76, s0
	v_add_co_u32 v75, s0, s22, v75
	v_add_co_ci_u32_e64 v76, null, s23, v76, s0
	global_store_dwordx2 v[77:78], v[47:48], off
	s_waitcnt vmcnt(0)
	global_store_dwordx2 v[75:76], v[73:74], off
	s_or_b32 exec_lo, exec_lo, s21
	s_and_saveexec_b32 s21, s44
	s_cbranch_execz .LBB194_39
.LBB194_95:                             ;   in Loop: Header=BB194_21 Depth=1
	v_add_co_u32 v73, s0, s24, v27
	v_add_co_ci_u32_e64 v74, null, s25, v28, s0
	v_add_co_u32 v75, s0, s24, v35
	v_add_co_ci_u32_e64 v76, null, s25, v36, s0
	;; [unrolled: 2-line block ×4, first 2 shown]
	v_cndmask_b32_e32 v73, v75, v73, vcc_lo
	v_add_co_u32 v75, s0, 0, v72
	v_cndmask_b32_e32 v74, v76, v74, vcc_lo
	v_add_co_ci_u32_e64 v76, null, v13, v65, s0
	global_load_dwordx2 v[73:74], v[73:74], off
	v_add_nc_u32_e32 v76, 64, v76
	v_ashrrev_i64 v[75:76], 29, v[75:76]
	v_add_co_u32 v77, s0, s4, v75
	v_add_co_ci_u32_e64 v78, null, s5, v76, s0
	v_add_co_u32 v75, s0, s22, v75
	v_add_co_ci_u32_e64 v76, null, s23, v76, s0
	global_store_dwordx2 v[77:78], v[49:50], off
	s_waitcnt vmcnt(0)
	global_store_dwordx2 v[75:76], v[73:74], off
	s_or_b32 exec_lo, exec_lo, s21
	s_and_saveexec_b32 s21, s45
	s_cbranch_execz .LBB194_40
.LBB194_96:                             ;   in Loop: Header=BB194_21 Depth=1
	v_add_co_u32 v73, s0, s24, v27
	v_add_co_ci_u32_e64 v74, null, s25, v28, s0
	v_add_co_u32 v75, s0, s24, v37
	v_add_co_ci_u32_e64 v76, null, s25, v38, s0
	;; [unrolled: 2-line block ×4, first 2 shown]
	v_cndmask_b32_e32 v73, v75, v73, vcc_lo
	v_add_co_u32 v75, s0, 0, v72
	v_cndmask_b32_e32 v74, v76, v74, vcc_lo
	v_add_co_ci_u32_e64 v76, null, v13, v65, s0
	global_load_dwordx2 v[73:74], v[73:74], off
	v_add_nc_u32_e32 v76, 0x60, v76
	v_ashrrev_i64 v[75:76], 29, v[75:76]
	v_add_co_u32 v77, s0, s4, v75
	v_add_co_ci_u32_e64 v78, null, s5, v76, s0
	v_add_co_u32 v75, s0, s22, v75
	v_add_co_ci_u32_e64 v76, null, s23, v76, s0
	global_store_dwordx2 v[77:78], v[51:52], off
	s_waitcnt vmcnt(0)
	global_store_dwordx2 v[75:76], v[73:74], off
	s_or_b32 exec_lo, exec_lo, s21
	s_and_saveexec_b32 s21, s46
	s_cbranch_execz .LBB194_41
.LBB194_97:                             ;   in Loop: Header=BB194_21 Depth=1
	v_add_co_u32 v73, s0, s24, v27
	v_add_co_ci_u32_e64 v74, null, s25, v28, s0
	v_add_co_u32 v75, s0, s24, v39
	v_add_co_ci_u32_e64 v76, null, s25, v40, s0
	;; [unrolled: 2-line block ×4, first 2 shown]
	v_cndmask_b32_e32 v73, v75, v73, vcc_lo
	v_add_co_u32 v75, s0, 0, v72
	v_cndmask_b32_e32 v74, v76, v74, vcc_lo
	v_add_co_ci_u32_e64 v76, null, v13, v65, s0
	global_load_dwordx2 v[73:74], v[73:74], off
	v_add_nc_u32_e32 v76, 0x80, v76
	v_ashrrev_i64 v[75:76], 29, v[75:76]
	v_add_co_u32 v77, s0, s4, v75
	v_add_co_ci_u32_e64 v78, null, s5, v76, s0
	v_add_co_u32 v75, s0, s22, v75
	v_add_co_ci_u32_e64 v76, null, s23, v76, s0
	global_store_dwordx2 v[77:78], v[53:54], off
	s_waitcnt vmcnt(0)
	global_store_dwordx2 v[75:76], v[73:74], off
	s_or_b32 exec_lo, exec_lo, s21
	s_and_saveexec_b32 s21, s47
	s_cbranch_execz .LBB194_42
.LBB194_98:                             ;   in Loop: Header=BB194_21 Depth=1
	v_add_co_u32 v73, s0, s24, v27
	v_add_co_ci_u32_e64 v74, null, s25, v28, s0
	v_add_co_u32 v75, s0, s24, v41
	v_add_co_ci_u32_e64 v76, null, s25, v42, s0
	;; [unrolled: 2-line block ×4, first 2 shown]
	v_cndmask_b32_e32 v73, v75, v73, vcc_lo
	v_add_co_u32 v75, s0, 0, v72
	v_cndmask_b32_e32 v74, v76, v74, vcc_lo
	v_add_co_ci_u32_e64 v76, null, v13, v65, s0
	global_load_dwordx2 v[73:74], v[73:74], off
	v_add_nc_u32_e32 v76, 0xa0, v76
	v_ashrrev_i64 v[75:76], 29, v[75:76]
	v_add_co_u32 v77, s0, s4, v75
	v_add_co_ci_u32_e64 v78, null, s5, v76, s0
	v_add_co_u32 v75, s0, s22, v75
	v_add_co_ci_u32_e64 v76, null, s23, v76, s0
	global_store_dwordx2 v[77:78], v[55:56], off
	s_waitcnt vmcnt(0)
	global_store_dwordx2 v[75:76], v[73:74], off
	s_or_b32 exec_lo, exec_lo, s21
	s_and_saveexec_b32 s21, s48
	s_cbranch_execz .LBB194_43
.LBB194_99:                             ;   in Loop: Header=BB194_21 Depth=1
	v_add_co_u32 v73, s0, s24, v27
	v_add_co_ci_u32_e64 v74, null, s25, v28, s0
	v_add_co_u32 v75, s0, s24, v43
	v_add_co_ci_u32_e64 v76, null, s25, v44, s0
	;; [unrolled: 2-line block ×4, first 2 shown]
	v_cndmask_b32_e32 v73, v75, v73, vcc_lo
	v_add_co_u32 v75, s0, 0, v72
	v_cndmask_b32_e32 v74, v76, v74, vcc_lo
	v_add_co_ci_u32_e64 v76, null, v13, v65, s0
	global_load_dwordx2 v[73:74], v[73:74], off
	v_add_nc_u32_e32 v76, 0xc0, v76
	v_ashrrev_i64 v[75:76], 29, v[75:76]
	v_add_co_u32 v77, s0, s4, v75
	v_add_co_ci_u32_e64 v78, null, s5, v76, s0
	v_add_co_u32 v75, s0, s22, v75
	v_add_co_ci_u32_e64 v76, null, s23, v76, s0
	global_store_dwordx2 v[77:78], v[57:58], off
	s_waitcnt vmcnt(0)
	global_store_dwordx2 v[75:76], v[73:74], off
	s_or_b32 exec_lo, exec_lo, s21
	s_and_saveexec_b32 s21, s1
	s_cbranch_execz .LBB194_44
.LBB194_100:                            ;   in Loop: Header=BB194_21 Depth=1
	v_add_co_u32 v73, s0, s24, v27
	v_add_co_ci_u32_e64 v74, null, s25, v28, s0
	v_add_co_u32 v75, s0, s24, v45
	v_add_co_ci_u32_e64 v76, null, s25, v46, s0
	;; [unrolled: 2-line block ×4, first 2 shown]
	v_cndmask_b32_e32 v73, v75, v73, vcc_lo
	v_add_co_u32 v75, s0, 0, v72
	v_cndmask_b32_e32 v74, v76, v74, vcc_lo
	v_add_co_ci_u32_e64 v76, null, v13, v65, s0
	global_load_dwordx2 v[73:74], v[73:74], off
	v_add_nc_u32_e32 v76, 0xe0, v76
	v_ashrrev_i64 v[75:76], 29, v[75:76]
	v_add_co_u32 v77, s0, s4, v75
	v_add_co_ci_u32_e64 v78, null, s5, v76, s0
	v_add_co_u32 v75, s0, s22, v75
	v_add_co_ci_u32_e64 v76, null, s23, v76, s0
	global_store_dwordx2 v[77:78], v[61:62], off
	s_waitcnt vmcnt(0)
	global_store_dwordx2 v[75:76], v[73:74], off
	s_or_b32 exec_lo, exec_lo, s21
	s_and_saveexec_b32 s21, s49
	s_cbranch_execz .LBB194_45
.LBB194_101:                            ;   in Loop: Header=BB194_21 Depth=1
	v_add_co_u32 v73, s0, s24, v31
	v_add_co_ci_u32_e64 v74, null, s25, v32, s0
	v_add_co_u32 v75, s0, s24, v25
	v_add_co_ci_u32_e64 v76, null, s25, v26, s0
	;; [unrolled: 2-line block ×3, first 2 shown]
	v_cndmask_b32_e32 v73, v73, v75, vcc_lo
	v_add_co_u32 v75, s0, 0, v71
	v_cndmask_b32_e32 v74, v74, v76, vcc_lo
	v_add_co_ci_u32_e64 v76, null, v13, v63, s0
	global_load_dwordx2 v[73:74], v[73:74], off
	v_ashrrev_i64 v[75:76], 29, v[75:76]
	v_add_co_u32 v77, s0, s4, v75
	v_add_co_ci_u32_e64 v78, null, s5, v76, s0
	v_add_co_u32 v75, s0, s22, v75
	v_add_co_ci_u32_e64 v76, null, s23, v76, s0
	global_store_dwordx2 v[77:78], v[59:60], off
	s_waitcnt vmcnt(0)
	global_store_dwordx2 v[75:76], v[73:74], off
	s_or_b32 exec_lo, exec_lo, s21
	s_and_saveexec_b32 s21, s50
	s_cbranch_execz .LBB194_46
.LBB194_102:                            ;   in Loop: Header=BB194_21 Depth=1
	v_add_co_u32 v73, s0, s24, v25
	v_add_co_ci_u32_e64 v74, null, s25, v26, s0
	v_add_co_u32 v75, s0, s24, v33
	v_add_co_ci_u32_e64 v76, null, s25, v34, s0
	;; [unrolled: 2-line block ×4, first 2 shown]
	v_cndmask_b32_e32 v73, v75, v73, vcc_lo
	v_add_co_u32 v75, s0, 0, v71
	v_cndmask_b32_e32 v74, v76, v74, vcc_lo
	v_add_co_ci_u32_e64 v76, null, v13, v63, s0
	global_load_dwordx2 v[73:74], v[73:74], off
	v_add_nc_u32_e32 v76, 32, v76
	v_ashrrev_i64 v[75:76], 29, v[75:76]
	v_add_co_u32 v77, s0, s4, v75
	v_add_co_ci_u32_e64 v78, null, s5, v76, s0
	v_add_co_u32 v75, s0, s22, v75
	v_add_co_ci_u32_e64 v76, null, s23, v76, s0
	global_store_dwordx2 v[77:78], v[47:48], off
	s_waitcnt vmcnt(0)
	global_store_dwordx2 v[75:76], v[73:74], off
	s_or_b32 exec_lo, exec_lo, s21
	s_and_saveexec_b32 s21, s51
	s_cbranch_execz .LBB194_47
.LBB194_103:                            ;   in Loop: Header=BB194_21 Depth=1
	v_add_co_u32 v73, s0, s24, v25
	v_add_co_ci_u32_e64 v74, null, s25, v26, s0
	v_add_co_u32 v75, s0, s24, v35
	v_add_co_ci_u32_e64 v76, null, s25, v36, s0
	v_cndmask_b32_e32 v73, v75, v73, vcc_lo
	v_add_co_u32 v75, s0, 0, v71
	v_cndmask_b32_e32 v74, v76, v74, vcc_lo
	v_add_co_ci_u32_e64 v76, null, v13, v63, s0
	global_load_dwordx2 v[73:74], v[73:74], off offset:512
	v_add_nc_u32_e32 v76, 64, v76
	v_ashrrev_i64 v[75:76], 29, v[75:76]
	v_add_co_u32 v77, s0, s4, v75
	v_add_co_ci_u32_e64 v78, null, s5, v76, s0
	v_add_co_u32 v75, s0, s22, v75
	v_add_co_ci_u32_e64 v76, null, s23, v76, s0
	global_store_dwordx2 v[77:78], v[49:50], off
	s_waitcnt vmcnt(0)
	global_store_dwordx2 v[75:76], v[73:74], off
	s_or_b32 exec_lo, exec_lo, s21
	s_and_saveexec_b32 s21, s52
	s_cbranch_execz .LBB194_48
.LBB194_104:                            ;   in Loop: Header=BB194_21 Depth=1
	v_add_co_u32 v73, s0, s24, v25
	v_add_co_ci_u32_e64 v74, null, s25, v26, s0
	v_add_co_u32 v75, s0, s24, v37
	v_add_co_ci_u32_e64 v76, null, s25, v38, s0
	;; [unrolled: 2-line block ×4, first 2 shown]
	v_cndmask_b32_e32 v73, v75, v73, vcc_lo
	v_add_co_u32 v75, s0, 0, v71
	v_cndmask_b32_e32 v74, v76, v74, vcc_lo
	v_add_co_ci_u32_e64 v76, null, v13, v63, s0
	global_load_dwordx2 v[73:74], v[73:74], off
	v_add_nc_u32_e32 v76, 0x60, v76
	v_ashrrev_i64 v[75:76], 29, v[75:76]
	v_add_co_u32 v77, s0, s4, v75
	v_add_co_ci_u32_e64 v78, null, s5, v76, s0
	v_add_co_u32 v75, s0, s22, v75
	v_add_co_ci_u32_e64 v76, null, s23, v76, s0
	global_store_dwordx2 v[77:78], v[51:52], off
	s_waitcnt vmcnt(0)
	global_store_dwordx2 v[75:76], v[73:74], off
	s_or_b32 exec_lo, exec_lo, s21
	s_and_saveexec_b32 s21, s53
	s_cbranch_execz .LBB194_49
.LBB194_105:                            ;   in Loop: Header=BB194_21 Depth=1
	v_add_co_u32 v73, s0, s24, v25
	v_add_co_ci_u32_e64 v74, null, s25, v26, s0
	v_add_co_u32 v75, s0, s24, v39
	v_add_co_ci_u32_e64 v76, null, s25, v40, s0
	;; [unrolled: 2-line block ×4, first 2 shown]
	v_cndmask_b32_e32 v73, v75, v73, vcc_lo
	v_add_co_u32 v75, s0, 0, v71
	v_cndmask_b32_e32 v74, v76, v74, vcc_lo
	v_add_co_ci_u32_e64 v76, null, v13, v63, s0
	global_load_dwordx2 v[73:74], v[73:74], off
	v_add_nc_u32_e32 v76, 0x80, v76
	v_ashrrev_i64 v[75:76], 29, v[75:76]
	v_add_co_u32 v77, s0, s4, v75
	v_add_co_ci_u32_e64 v78, null, s5, v76, s0
	v_add_co_u32 v75, s0, s22, v75
	v_add_co_ci_u32_e64 v76, null, s23, v76, s0
	global_store_dwordx2 v[77:78], v[53:54], off
	s_waitcnt vmcnt(0)
	global_store_dwordx2 v[75:76], v[73:74], off
	s_or_b32 exec_lo, exec_lo, s21
	s_and_saveexec_b32 s21, s54
	s_cbranch_execz .LBB194_50
.LBB194_106:                            ;   in Loop: Header=BB194_21 Depth=1
	v_add_co_u32 v73, s0, s24, v25
	v_add_co_ci_u32_e64 v74, null, s25, v26, s0
	v_add_co_u32 v75, s0, s24, v41
	v_add_co_ci_u32_e64 v76, null, s25, v42, s0
	;; [unrolled: 2-line block ×4, first 2 shown]
	v_cndmask_b32_e32 v73, v75, v73, vcc_lo
	v_add_co_u32 v75, s0, 0, v71
	v_cndmask_b32_e32 v74, v76, v74, vcc_lo
	v_add_co_ci_u32_e64 v76, null, v13, v63, s0
	global_load_dwordx2 v[73:74], v[73:74], off
	v_add_nc_u32_e32 v76, 0xa0, v76
	v_ashrrev_i64 v[75:76], 29, v[75:76]
	v_add_co_u32 v77, s0, s4, v75
	v_add_co_ci_u32_e64 v78, null, s5, v76, s0
	v_add_co_u32 v75, s0, s22, v75
	v_add_co_ci_u32_e64 v76, null, s23, v76, s0
	global_store_dwordx2 v[77:78], v[55:56], off
	s_waitcnt vmcnt(0)
	global_store_dwordx2 v[75:76], v[73:74], off
	s_or_b32 exec_lo, exec_lo, s21
	s_and_saveexec_b32 s21, s55
	s_cbranch_execz .LBB194_51
.LBB194_107:                            ;   in Loop: Header=BB194_21 Depth=1
	v_add_co_u32 v73, s0, s24, v25
	v_add_co_ci_u32_e64 v74, null, s25, v26, s0
	v_add_co_u32 v75, s0, s24, v43
	v_add_co_ci_u32_e64 v76, null, s25, v44, s0
	v_add_co_u32 v73, s0, 0x600, v73
	v_add_co_ci_u32_e64 v74, null, 0, v74, s0
	v_add_co_u32 v75, s0, 0x200, v75
	v_add_co_ci_u32_e64 v76, null, 0, v76, s0
	v_cndmask_b32_e32 v73, v75, v73, vcc_lo
	v_add_co_u32 v75, s0, 0, v71
	v_cndmask_b32_e32 v74, v76, v74, vcc_lo
	v_add_co_ci_u32_e64 v76, null, v13, v63, s0
	global_load_dwordx2 v[73:74], v[73:74], off
	v_add_nc_u32_e32 v76, 0xc0, v76
	v_ashrrev_i64 v[75:76], 29, v[75:76]
	v_add_co_u32 v77, s0, s4, v75
	v_add_co_ci_u32_e64 v78, null, s5, v76, s0
	v_add_co_u32 v75, s0, s22, v75
	v_add_co_ci_u32_e64 v76, null, s23, v76, s0
	global_store_dwordx2 v[77:78], v[57:58], off
	s_waitcnt vmcnt(0)
	global_store_dwordx2 v[75:76], v[73:74], off
	s_or_b32 exec_lo, exec_lo, s21
	s_and_saveexec_b32 s21, s56
	s_cbranch_execz .LBB194_52
.LBB194_108:                            ;   in Loop: Header=BB194_21 Depth=1
	v_add_co_u32 v73, s0, s24, v25
	v_add_co_ci_u32_e64 v74, null, s25, v26, s0
	v_add_co_u32 v75, s0, s24, v45
	v_add_co_ci_u32_e64 v76, null, s25, v46, s0
	v_add_co_u32 v73, s0, 0x700, v73
	v_add_co_ci_u32_e64 v74, null, 0, v74, s0
	v_add_co_u32 v75, s0, 0x200, v75
	v_add_co_ci_u32_e64 v76, null, 0, v76, s0
	v_cndmask_b32_e32 v73, v75, v73, vcc_lo
	v_add_co_u32 v75, s0, 0, v71
	v_cndmask_b32_e32 v74, v76, v74, vcc_lo
	v_add_co_ci_u32_e64 v76, null, v13, v63, s0
	global_load_dwordx2 v[73:74], v[73:74], off
	v_add_nc_u32_e32 v76, 0xe0, v76
	v_ashrrev_i64 v[75:76], 29, v[75:76]
	v_add_co_u32 v77, s0, s4, v75
	v_add_co_ci_u32_e64 v78, null, s5, v76, s0
	v_add_co_u32 v75, s0, s22, v75
	v_add_co_ci_u32_e64 v76, null, s23, v76, s0
	global_store_dwordx2 v[77:78], v[61:62], off
	s_waitcnt vmcnt(0)
	global_store_dwordx2 v[75:76], v[73:74], off
	s_or_b32 exec_lo, exec_lo, s21
	s_and_saveexec_b32 s21, s57
	s_cbranch_execz .LBB194_53
.LBB194_109:                            ;   in Loop: Header=BB194_21 Depth=1
	v_add_co_u32 v73, s0, s24, v31
	v_add_co_ci_u32_e64 v74, null, s25, v32, s0
	v_add_co_u32 v75, s0, s24, v23
	v_add_co_ci_u32_e64 v76, null, s25, v24, s0
	;; [unrolled: 2-line block ×3, first 2 shown]
	v_cndmask_b32_e32 v73, v73, v75, vcc_lo
	v_add_co_u32 v75, s0, 0, v70
	v_cndmask_b32_e32 v74, v74, v76, vcc_lo
	v_add_co_ci_u32_e64 v76, null, v13, v11, s0
	global_load_dwordx2 v[73:74], v[73:74], off
	v_ashrrev_i64 v[75:76], 29, v[75:76]
	v_add_co_u32 v77, s0, s4, v75
	v_add_co_ci_u32_e64 v78, null, s5, v76, s0
	v_add_co_u32 v75, s0, s22, v75
	v_add_co_ci_u32_e64 v76, null, s23, v76, s0
	global_store_dwordx2 v[77:78], v[59:60], off
	s_waitcnt vmcnt(0)
	global_store_dwordx2 v[75:76], v[73:74], off
	s_or_b32 exec_lo, exec_lo, s21
	s_and_saveexec_b32 s21, s58
	s_cbranch_execz .LBB194_54
.LBB194_110:                            ;   in Loop: Header=BB194_21 Depth=1
	v_add_co_u32 v73, s0, s24, v23
	v_add_co_ci_u32_e64 v74, null, s25, v24, s0
	v_add_co_u32 v75, s0, s24, v33
	v_add_co_ci_u32_e64 v76, null, s25, v34, s0
	v_add_co_u32 v73, s0, 0x100, v73
	v_add_co_ci_u32_e64 v74, null, 0, v74, s0
	v_add_co_u32 v75, s0, 0x300, v75
	v_add_co_ci_u32_e64 v76, null, 0, v76, s0
	v_cndmask_b32_e32 v73, v75, v73, vcc_lo
	v_add_co_u32 v75, s0, 0, v70
	v_cndmask_b32_e32 v74, v76, v74, vcc_lo
	v_add_co_ci_u32_e64 v76, null, v13, v11, s0
	global_load_dwordx2 v[73:74], v[73:74], off
	v_add_nc_u32_e32 v76, 32, v76
	v_ashrrev_i64 v[75:76], 29, v[75:76]
	v_add_co_u32 v77, s0, s4, v75
	v_add_co_ci_u32_e64 v78, null, s5, v76, s0
	v_add_co_u32 v75, s0, s22, v75
	v_add_co_ci_u32_e64 v76, null, s23, v76, s0
	global_store_dwordx2 v[77:78], v[47:48], off
	s_waitcnt vmcnt(0)
	global_store_dwordx2 v[75:76], v[73:74], off
	s_or_b32 exec_lo, exec_lo, s21
	s_and_saveexec_b32 s21, s59
	s_cbranch_execz .LBB194_55
.LBB194_111:                            ;   in Loop: Header=BB194_21 Depth=1
	v_add_co_u32 v73, s0, s24, v23
	v_add_co_ci_u32_e64 v74, null, s25, v24, s0
	v_add_co_u32 v75, s0, s24, v35
	v_add_co_ci_u32_e64 v76, null, s25, v36, s0
	v_add_co_u32 v73, s0, 0x200, v73
	v_add_co_ci_u32_e64 v74, null, 0, v74, s0
	v_add_co_u32 v75, s0, 0x300, v75
	v_add_co_ci_u32_e64 v76, null, 0, v76, s0
	v_cndmask_b32_e32 v73, v75, v73, vcc_lo
	v_add_co_u32 v75, s0, 0, v70
	v_cndmask_b32_e32 v74, v76, v74, vcc_lo
	v_add_co_ci_u32_e64 v76, null, v13, v11, s0
	global_load_dwordx2 v[73:74], v[73:74], off
	v_add_nc_u32_e32 v76, 64, v76
	v_ashrrev_i64 v[75:76], 29, v[75:76]
	v_add_co_u32 v77, s0, s4, v75
	v_add_co_ci_u32_e64 v78, null, s5, v76, s0
	v_add_co_u32 v75, s0, s22, v75
	v_add_co_ci_u32_e64 v76, null, s23, v76, s0
	global_store_dwordx2 v[77:78], v[49:50], off
	s_waitcnt vmcnt(0)
	global_store_dwordx2 v[75:76], v[73:74], off
	s_or_b32 exec_lo, exec_lo, s21
	s_and_saveexec_b32 s21, s60
	s_cbranch_execz .LBB194_56
.LBB194_112:                            ;   in Loop: Header=BB194_21 Depth=1
	v_add_co_u32 v73, s0, s24, v23
	v_add_co_ci_u32_e64 v74, null, s25, v24, s0
	v_add_co_u32 v75, s0, s24, v37
	v_add_co_ci_u32_e64 v76, null, s25, v38, s0
	v_cndmask_b32_e32 v73, v75, v73, vcc_lo
	v_add_co_u32 v75, s0, 0, v70
	v_cndmask_b32_e32 v74, v76, v74, vcc_lo
	v_add_co_ci_u32_e64 v76, null, v13, v11, s0
	global_load_dwordx2 v[73:74], v[73:74], off offset:768
	v_add_nc_u32_e32 v76, 0x60, v76
	v_ashrrev_i64 v[75:76], 29, v[75:76]
	v_add_co_u32 v77, s0, s4, v75
	v_add_co_ci_u32_e64 v78, null, s5, v76, s0
	v_add_co_u32 v75, s0, s22, v75
	v_add_co_ci_u32_e64 v76, null, s23, v76, s0
	global_store_dwordx2 v[77:78], v[51:52], off
	s_waitcnt vmcnt(0)
	global_store_dwordx2 v[75:76], v[73:74], off
	s_or_b32 exec_lo, exec_lo, s21
	s_and_saveexec_b32 s21, s61
	s_cbranch_execz .LBB194_57
.LBB194_113:                            ;   in Loop: Header=BB194_21 Depth=1
	v_add_co_u32 v73, s0, s24, v23
	v_add_co_ci_u32_e64 v74, null, s25, v24, s0
	v_add_co_u32 v75, s0, s24, v39
	v_add_co_ci_u32_e64 v76, null, s25, v40, s0
	;; [unrolled: 2-line block ×4, first 2 shown]
	v_cndmask_b32_e32 v73, v75, v73, vcc_lo
	v_add_co_u32 v75, s0, 0, v70
	v_cndmask_b32_e32 v74, v76, v74, vcc_lo
	v_add_co_ci_u32_e64 v76, null, v13, v11, s0
	global_load_dwordx2 v[73:74], v[73:74], off
	v_add_nc_u32_e32 v76, 0x80, v76
	v_ashrrev_i64 v[75:76], 29, v[75:76]
	v_add_co_u32 v77, s0, s4, v75
	v_add_co_ci_u32_e64 v78, null, s5, v76, s0
	v_add_co_u32 v75, s0, s22, v75
	v_add_co_ci_u32_e64 v76, null, s23, v76, s0
	global_store_dwordx2 v[77:78], v[53:54], off
	s_waitcnt vmcnt(0)
	global_store_dwordx2 v[75:76], v[73:74], off
	s_or_b32 exec_lo, exec_lo, s21
	s_and_saveexec_b32 s21, s62
	s_cbranch_execz .LBB194_58
.LBB194_114:                            ;   in Loop: Header=BB194_21 Depth=1
	v_add_co_u32 v73, s0, s24, v23
	v_add_co_ci_u32_e64 v74, null, s25, v24, s0
	v_add_co_u32 v75, s0, s24, v41
	v_add_co_ci_u32_e64 v76, null, s25, v42, s0
	;; [unrolled: 2-line block ×4, first 2 shown]
	v_cndmask_b32_e32 v73, v75, v73, vcc_lo
	v_add_co_u32 v75, s0, 0, v70
	v_cndmask_b32_e32 v74, v76, v74, vcc_lo
	v_add_co_ci_u32_e64 v76, null, v13, v11, s0
	global_load_dwordx2 v[73:74], v[73:74], off
	v_add_nc_u32_e32 v76, 0xa0, v76
	v_ashrrev_i64 v[75:76], 29, v[75:76]
	v_add_co_u32 v77, s0, s4, v75
	v_add_co_ci_u32_e64 v78, null, s5, v76, s0
	v_add_co_u32 v75, s0, s22, v75
	v_add_co_ci_u32_e64 v76, null, s23, v76, s0
	global_store_dwordx2 v[77:78], v[55:56], off
	s_waitcnt vmcnt(0)
	global_store_dwordx2 v[75:76], v[73:74], off
	s_or_b32 exec_lo, exec_lo, s21
	s_and_saveexec_b32 s21, s63
	s_cbranch_execz .LBB194_59
.LBB194_115:                            ;   in Loop: Header=BB194_21 Depth=1
	v_add_co_u32 v73, s0, s24, v23
	v_add_co_ci_u32_e64 v74, null, s25, v24, s0
	v_add_co_u32 v75, s0, s24, v43
	v_add_co_ci_u32_e64 v76, null, s25, v44, s0
	;; [unrolled: 2-line block ×4, first 2 shown]
	v_cndmask_b32_e32 v73, v75, v73, vcc_lo
	v_add_co_u32 v75, s0, 0, v70
	v_cndmask_b32_e32 v74, v76, v74, vcc_lo
	v_add_co_ci_u32_e64 v76, null, v13, v11, s0
	global_load_dwordx2 v[73:74], v[73:74], off
	v_add_nc_u32_e32 v76, 0xc0, v76
	v_ashrrev_i64 v[75:76], 29, v[75:76]
	v_add_co_u32 v77, s0, s4, v75
	v_add_co_ci_u32_e64 v78, null, s5, v76, s0
	v_add_co_u32 v75, s0, s22, v75
	v_add_co_ci_u32_e64 v76, null, s23, v76, s0
	global_store_dwordx2 v[77:78], v[57:58], off
	s_waitcnt vmcnt(0)
	global_store_dwordx2 v[75:76], v[73:74], off
	s_or_b32 exec_lo, exec_lo, s21
	s_and_saveexec_b32 s21, s64
	s_cbranch_execz .LBB194_60
.LBB194_116:                            ;   in Loop: Header=BB194_21 Depth=1
	v_add_co_u32 v73, s0, s24, v23
	v_add_co_ci_u32_e64 v74, null, s25, v24, s0
	v_add_co_u32 v75, s0, s24, v45
	v_add_co_ci_u32_e64 v76, null, s25, v46, s0
	;; [unrolled: 2-line block ×4, first 2 shown]
	v_cndmask_b32_e32 v73, v75, v73, vcc_lo
	v_add_co_u32 v75, s0, 0, v70
	v_cndmask_b32_e32 v74, v76, v74, vcc_lo
	v_add_co_ci_u32_e64 v76, null, v13, v11, s0
	global_load_dwordx2 v[73:74], v[73:74], off
	v_add_nc_u32_e32 v76, 0xe0, v76
	v_ashrrev_i64 v[75:76], 29, v[75:76]
	v_add_co_u32 v77, s0, s4, v75
	v_add_co_ci_u32_e64 v78, null, s5, v76, s0
	v_add_co_u32 v75, s0, s22, v75
	v_add_co_ci_u32_e64 v76, null, s23, v76, s0
	global_store_dwordx2 v[77:78], v[61:62], off
	s_waitcnt vmcnt(0)
	global_store_dwordx2 v[75:76], v[73:74], off
	s_or_b32 exec_lo, exec_lo, s21
	s_and_saveexec_b32 s21, s65
	s_cbranch_execz .LBB194_61
.LBB194_117:                            ;   in Loop: Header=BB194_21 Depth=1
	v_add_co_u32 v73, s0, s24, v31
	v_add_co_ci_u32_e64 v74, null, s25, v32, s0
	v_add_co_u32 v75, s0, s24, v21
	v_add_co_ci_u32_e64 v76, null, s25, v22, s0
	;; [unrolled: 2-line block ×3, first 2 shown]
	v_cndmask_b32_e32 v73, v73, v75, vcc_lo
	v_add_co_u32 v75, s0, 0, v69
	v_cndmask_b32_e32 v74, v74, v76, vcc_lo
	v_add_co_ci_u32_e64 v76, null, v13, v9, s0
	global_load_dwordx2 v[73:74], v[73:74], off
	v_ashrrev_i64 v[75:76], 29, v[75:76]
	v_add_co_u32 v77, s0, s4, v75
	v_add_co_ci_u32_e64 v78, null, s5, v76, s0
	v_add_co_u32 v75, s0, s22, v75
	v_add_co_ci_u32_e64 v76, null, s23, v76, s0
	global_store_dwordx2 v[77:78], v[59:60], off
	s_waitcnt vmcnt(0)
	global_store_dwordx2 v[75:76], v[73:74], off
	s_or_b32 exec_lo, exec_lo, s21
	s_and_saveexec_b32 s21, s66
	s_cbranch_execz .LBB194_62
.LBB194_118:                            ;   in Loop: Header=BB194_21 Depth=1
	v_add_co_u32 v73, s0, s24, v21
	v_add_co_ci_u32_e64 v74, null, s25, v22, s0
	v_add_co_u32 v75, s0, s24, v33
	v_add_co_ci_u32_e64 v76, null, s25, v34, s0
	;; [unrolled: 2-line block ×4, first 2 shown]
	v_cndmask_b32_e32 v73, v75, v73, vcc_lo
	v_add_co_u32 v75, s0, 0, v69
	v_cndmask_b32_e32 v74, v76, v74, vcc_lo
	v_add_co_ci_u32_e64 v76, null, v13, v9, s0
	global_load_dwordx2 v[73:74], v[73:74], off
	v_add_nc_u32_e32 v76, 32, v76
	v_ashrrev_i64 v[75:76], 29, v[75:76]
	v_add_co_u32 v77, s0, s4, v75
	v_add_co_ci_u32_e64 v78, null, s5, v76, s0
	v_add_co_u32 v75, s0, s22, v75
	v_add_co_ci_u32_e64 v76, null, s23, v76, s0
	global_store_dwordx2 v[77:78], v[47:48], off
	s_waitcnt vmcnt(0)
	global_store_dwordx2 v[75:76], v[73:74], off
	s_or_b32 exec_lo, exec_lo, s21
	s_and_saveexec_b32 s21, s67
	s_cbranch_execz .LBB194_63
.LBB194_119:                            ;   in Loop: Header=BB194_21 Depth=1
	v_add_co_u32 v73, s0, s24, v21
	v_add_co_ci_u32_e64 v74, null, s25, v22, s0
	v_add_co_u32 v75, s0, s24, v35
	v_add_co_ci_u32_e64 v76, null, s25, v36, s0
	v_add_co_u32 v73, s0, 0x200, v73
	v_add_co_ci_u32_e64 v74, null, 0, v74, s0
	v_add_co_u32 v75, s0, 0x400, v75
	v_add_co_ci_u32_e64 v76, null, 0, v76, s0
	v_cndmask_b32_e32 v73, v75, v73, vcc_lo
	v_add_co_u32 v75, s0, 0, v69
	v_cndmask_b32_e32 v74, v76, v74, vcc_lo
	v_add_co_ci_u32_e64 v76, null, v13, v9, s0
	global_load_dwordx2 v[73:74], v[73:74], off
	v_add_nc_u32_e32 v76, 64, v76
	v_ashrrev_i64 v[75:76], 29, v[75:76]
	v_add_co_u32 v77, s0, s4, v75
	v_add_co_ci_u32_e64 v78, null, s5, v76, s0
	v_add_co_u32 v75, s0, s22, v75
	v_add_co_ci_u32_e64 v76, null, s23, v76, s0
	global_store_dwordx2 v[77:78], v[49:50], off
	s_waitcnt vmcnt(0)
	global_store_dwordx2 v[75:76], v[73:74], off
	s_or_b32 exec_lo, exec_lo, s21
	s_and_saveexec_b32 s21, s68
	s_cbranch_execz .LBB194_64
.LBB194_120:                            ;   in Loop: Header=BB194_21 Depth=1
	v_add_co_u32 v73, s0, s24, v21
	v_add_co_ci_u32_e64 v74, null, s25, v22, s0
	v_add_co_u32 v75, s0, s24, v37
	v_add_co_ci_u32_e64 v76, null, s25, v38, s0
	;; [unrolled: 2-line block ×4, first 2 shown]
	v_cndmask_b32_e32 v73, v75, v73, vcc_lo
	v_add_co_u32 v75, s0, 0, v69
	v_cndmask_b32_e32 v74, v76, v74, vcc_lo
	v_add_co_ci_u32_e64 v76, null, v13, v9, s0
	global_load_dwordx2 v[73:74], v[73:74], off
	v_add_nc_u32_e32 v76, 0x60, v76
	v_ashrrev_i64 v[75:76], 29, v[75:76]
	v_add_co_u32 v77, s0, s4, v75
	v_add_co_ci_u32_e64 v78, null, s5, v76, s0
	v_add_co_u32 v75, s0, s22, v75
	v_add_co_ci_u32_e64 v76, null, s23, v76, s0
	global_store_dwordx2 v[77:78], v[51:52], off
	s_waitcnt vmcnt(0)
	global_store_dwordx2 v[75:76], v[73:74], off
	s_or_b32 exec_lo, exec_lo, s21
	s_and_saveexec_b32 s21, s69
	s_cbranch_execz .LBB194_65
.LBB194_121:                            ;   in Loop: Header=BB194_21 Depth=1
	v_add_co_u32 v73, s0, s24, v21
	v_add_co_ci_u32_e64 v74, null, s25, v22, s0
	v_add_co_u32 v75, s0, s24, v39
	v_add_co_ci_u32_e64 v76, null, s25, v40, s0
	v_cndmask_b32_e32 v73, v75, v73, vcc_lo
	v_add_co_u32 v75, s0, 0, v69
	v_cndmask_b32_e32 v74, v76, v74, vcc_lo
	v_add_co_ci_u32_e64 v76, null, v13, v9, s0
	global_load_dwordx2 v[73:74], v[73:74], off offset:1024
	v_add_nc_u32_e32 v76, 0x80, v76
	v_ashrrev_i64 v[75:76], 29, v[75:76]
	v_add_co_u32 v77, s0, s4, v75
	v_add_co_ci_u32_e64 v78, null, s5, v76, s0
	v_add_co_u32 v75, s0, s22, v75
	v_add_co_ci_u32_e64 v76, null, s23, v76, s0
	global_store_dwordx2 v[77:78], v[53:54], off
	s_waitcnt vmcnt(0)
	global_store_dwordx2 v[75:76], v[73:74], off
	s_or_b32 exec_lo, exec_lo, s21
	s_and_saveexec_b32 s21, s70
	s_cbranch_execz .LBB194_66
.LBB194_122:                            ;   in Loop: Header=BB194_21 Depth=1
	v_add_co_u32 v73, s0, s24, v21
	v_add_co_ci_u32_e64 v74, null, s25, v22, s0
	v_add_co_u32 v75, s0, s24, v41
	v_add_co_ci_u32_e64 v76, null, s25, v42, s0
	;; [unrolled: 2-line block ×4, first 2 shown]
	v_cndmask_b32_e32 v73, v75, v73, vcc_lo
	v_add_co_u32 v75, s0, 0, v69
	v_cndmask_b32_e32 v74, v76, v74, vcc_lo
	v_add_co_ci_u32_e64 v76, null, v13, v9, s0
	global_load_dwordx2 v[73:74], v[73:74], off
	v_add_nc_u32_e32 v76, 0xa0, v76
	v_ashrrev_i64 v[75:76], 29, v[75:76]
	v_add_co_u32 v77, s0, s4, v75
	v_add_co_ci_u32_e64 v78, null, s5, v76, s0
	v_add_co_u32 v75, s0, s22, v75
	v_add_co_ci_u32_e64 v76, null, s23, v76, s0
	global_store_dwordx2 v[77:78], v[55:56], off
	s_waitcnt vmcnt(0)
	global_store_dwordx2 v[75:76], v[73:74], off
	s_or_b32 exec_lo, exec_lo, s21
	s_and_saveexec_b32 s21, s71
	s_cbranch_execz .LBB194_67
.LBB194_123:                            ;   in Loop: Header=BB194_21 Depth=1
	v_add_co_u32 v73, s0, s24, v21
	v_add_co_ci_u32_e64 v74, null, s25, v22, s0
	v_add_co_u32 v75, s0, s24, v43
	v_add_co_ci_u32_e64 v76, null, s25, v44, s0
	;; [unrolled: 2-line block ×4, first 2 shown]
	v_cndmask_b32_e32 v73, v75, v73, vcc_lo
	v_add_co_u32 v75, s0, 0, v69
	v_cndmask_b32_e32 v74, v76, v74, vcc_lo
	v_add_co_ci_u32_e64 v76, null, v13, v9, s0
	global_load_dwordx2 v[73:74], v[73:74], off
	v_add_nc_u32_e32 v76, 0xc0, v76
	v_ashrrev_i64 v[75:76], 29, v[75:76]
	v_add_co_u32 v77, s0, s4, v75
	v_add_co_ci_u32_e64 v78, null, s5, v76, s0
	v_add_co_u32 v75, s0, s22, v75
	v_add_co_ci_u32_e64 v76, null, s23, v76, s0
	global_store_dwordx2 v[77:78], v[57:58], off
	s_waitcnt vmcnt(0)
	global_store_dwordx2 v[75:76], v[73:74], off
	s_or_b32 exec_lo, exec_lo, s21
	s_and_saveexec_b32 s21, s72
	s_cbranch_execz .LBB194_68
.LBB194_124:                            ;   in Loop: Header=BB194_21 Depth=1
	v_add_co_u32 v73, s0, s24, v21
	v_add_co_ci_u32_e64 v74, null, s25, v22, s0
	v_add_co_u32 v75, s0, s24, v45
	v_add_co_ci_u32_e64 v76, null, s25, v46, s0
	;; [unrolled: 2-line block ×4, first 2 shown]
	v_cndmask_b32_e32 v73, v75, v73, vcc_lo
	v_add_co_u32 v75, s0, 0, v69
	v_cndmask_b32_e32 v74, v76, v74, vcc_lo
	v_add_co_ci_u32_e64 v76, null, v13, v9, s0
	global_load_dwordx2 v[73:74], v[73:74], off
	v_add_nc_u32_e32 v76, 0xe0, v76
	v_ashrrev_i64 v[75:76], 29, v[75:76]
	v_add_co_u32 v77, s0, s4, v75
	v_add_co_ci_u32_e64 v78, null, s5, v76, s0
	v_add_co_u32 v75, s0, s22, v75
	v_add_co_ci_u32_e64 v76, null, s23, v76, s0
	global_store_dwordx2 v[77:78], v[61:62], off
	s_waitcnt vmcnt(0)
	global_store_dwordx2 v[75:76], v[73:74], off
	s_or_b32 exec_lo, exec_lo, s21
	s_and_saveexec_b32 s21, s73
	s_cbranch_execz .LBB194_69
.LBB194_125:                            ;   in Loop: Header=BB194_21 Depth=1
	v_add_co_u32 v73, s0, s24, v31
	v_add_co_ci_u32_e64 v74, null, s25, v32, s0
	v_add_co_u32 v75, s0, s24, v19
	v_add_co_ci_u32_e64 v76, null, s25, v20, s0
	;; [unrolled: 2-line block ×3, first 2 shown]
	v_cndmask_b32_e32 v73, v73, v75, vcc_lo
	v_add_co_u32 v75, s0, 0, v68
	v_cndmask_b32_e32 v74, v74, v76, vcc_lo
	v_add_co_ci_u32_e64 v76, null, v13, v7, s0
	global_load_dwordx2 v[73:74], v[73:74], off
	v_ashrrev_i64 v[75:76], 29, v[75:76]
	v_add_co_u32 v77, s0, s4, v75
	v_add_co_ci_u32_e64 v78, null, s5, v76, s0
	v_add_co_u32 v75, s0, s22, v75
	v_add_co_ci_u32_e64 v76, null, s23, v76, s0
	global_store_dwordx2 v[77:78], v[59:60], off
	s_waitcnt vmcnt(0)
	global_store_dwordx2 v[75:76], v[73:74], off
	s_or_b32 exec_lo, exec_lo, s21
	s_and_saveexec_b32 s21, s74
	s_cbranch_execz .LBB194_70
.LBB194_126:                            ;   in Loop: Header=BB194_21 Depth=1
	v_add_co_u32 v73, s0, s24, v19
	v_add_co_ci_u32_e64 v74, null, s25, v20, s0
	v_add_co_u32 v75, s0, s24, v33
	v_add_co_ci_u32_e64 v76, null, s25, v34, s0
	;; [unrolled: 2-line block ×4, first 2 shown]
	v_cndmask_b32_e32 v73, v75, v73, vcc_lo
	v_add_co_u32 v75, s0, 0, v68
	v_cndmask_b32_e32 v74, v76, v74, vcc_lo
	v_add_co_ci_u32_e64 v76, null, v13, v7, s0
	global_load_dwordx2 v[73:74], v[73:74], off
	v_add_nc_u32_e32 v76, 32, v76
	v_ashrrev_i64 v[75:76], 29, v[75:76]
	v_add_co_u32 v77, s0, s4, v75
	v_add_co_ci_u32_e64 v78, null, s5, v76, s0
	v_add_co_u32 v75, s0, s22, v75
	v_add_co_ci_u32_e64 v76, null, s23, v76, s0
	global_store_dwordx2 v[77:78], v[47:48], off
	s_waitcnt vmcnt(0)
	global_store_dwordx2 v[75:76], v[73:74], off
	s_or_b32 exec_lo, exec_lo, s21
	s_and_saveexec_b32 s21, s75
	s_cbranch_execz .LBB194_71
.LBB194_127:                            ;   in Loop: Header=BB194_21 Depth=1
	v_add_co_u32 v73, s0, s24, v19
	v_add_co_ci_u32_e64 v74, null, s25, v20, s0
	v_add_co_u32 v75, s0, s24, v35
	v_add_co_ci_u32_e64 v76, null, s25, v36, s0
	;; [unrolled: 2-line block ×4, first 2 shown]
	v_cndmask_b32_e32 v73, v75, v73, vcc_lo
	v_add_co_u32 v75, s0, 0, v68
	v_cndmask_b32_e32 v74, v76, v74, vcc_lo
	v_add_co_ci_u32_e64 v76, null, v13, v7, s0
	global_load_dwordx2 v[73:74], v[73:74], off
	v_add_nc_u32_e32 v76, 64, v76
	v_ashrrev_i64 v[75:76], 29, v[75:76]
	v_add_co_u32 v77, s0, s4, v75
	v_add_co_ci_u32_e64 v78, null, s5, v76, s0
	v_add_co_u32 v75, s0, s22, v75
	v_add_co_ci_u32_e64 v76, null, s23, v76, s0
	global_store_dwordx2 v[77:78], v[49:50], off
	s_waitcnt vmcnt(0)
	global_store_dwordx2 v[75:76], v[73:74], off
	s_or_b32 exec_lo, exec_lo, s21
	s_and_saveexec_b32 s21, s76
	s_cbranch_execz .LBB194_72
.LBB194_128:                            ;   in Loop: Header=BB194_21 Depth=1
	v_add_co_u32 v73, s0, s24, v19
	v_add_co_ci_u32_e64 v74, null, s25, v20, s0
	v_add_co_u32 v75, s0, s24, v37
	v_add_co_ci_u32_e64 v76, null, s25, v38, s0
	;; [unrolled: 2-line block ×4, first 2 shown]
	v_cndmask_b32_e32 v73, v75, v73, vcc_lo
	v_add_co_u32 v75, s0, 0, v68
	v_cndmask_b32_e32 v74, v76, v74, vcc_lo
	v_add_co_ci_u32_e64 v76, null, v13, v7, s0
	global_load_dwordx2 v[73:74], v[73:74], off
	v_add_nc_u32_e32 v76, 0x60, v76
	v_ashrrev_i64 v[75:76], 29, v[75:76]
	v_add_co_u32 v77, s0, s4, v75
	v_add_co_ci_u32_e64 v78, null, s5, v76, s0
	v_add_co_u32 v75, s0, s22, v75
	v_add_co_ci_u32_e64 v76, null, s23, v76, s0
	global_store_dwordx2 v[77:78], v[51:52], off
	s_waitcnt vmcnt(0)
	global_store_dwordx2 v[75:76], v[73:74], off
	s_or_b32 exec_lo, exec_lo, s21
	s_and_saveexec_b32 s21, s77
	s_cbranch_execz .LBB194_73
.LBB194_129:                            ;   in Loop: Header=BB194_21 Depth=1
	v_add_co_u32 v73, s0, s24, v19
	v_add_co_ci_u32_e64 v74, null, s25, v20, s0
	v_add_co_u32 v75, s0, s24, v39
	v_add_co_ci_u32_e64 v76, null, s25, v40, s0
	;; [unrolled: 2-line block ×4, first 2 shown]
	v_cndmask_b32_e32 v73, v75, v73, vcc_lo
	v_add_co_u32 v75, s0, 0, v68
	v_cndmask_b32_e32 v74, v76, v74, vcc_lo
	v_add_co_ci_u32_e64 v76, null, v13, v7, s0
	global_load_dwordx2 v[73:74], v[73:74], off
	v_add_nc_u32_e32 v76, 0x80, v76
	v_ashrrev_i64 v[75:76], 29, v[75:76]
	v_add_co_u32 v77, s0, s4, v75
	v_add_co_ci_u32_e64 v78, null, s5, v76, s0
	v_add_co_u32 v75, s0, s22, v75
	v_add_co_ci_u32_e64 v76, null, s23, v76, s0
	global_store_dwordx2 v[77:78], v[53:54], off
	s_waitcnt vmcnt(0)
	global_store_dwordx2 v[75:76], v[73:74], off
	s_or_b32 exec_lo, exec_lo, s21
	s_and_saveexec_b32 s21, s78
	s_cbranch_execz .LBB194_74
.LBB194_130:                            ;   in Loop: Header=BB194_21 Depth=1
	v_add_co_u32 v73, s0, s24, v19
	v_add_co_ci_u32_e64 v74, null, s25, v20, s0
	v_add_co_u32 v75, s0, s24, v41
	v_add_co_ci_u32_e64 v76, null, s25, v42, s0
	v_cndmask_b32_e32 v73, v75, v73, vcc_lo
	v_add_co_u32 v75, s0, 0, v68
	v_cndmask_b32_e32 v74, v76, v74, vcc_lo
	v_add_co_ci_u32_e64 v76, null, v13, v7, s0
	global_load_dwordx2 v[73:74], v[73:74], off offset:1280
	v_add_nc_u32_e32 v76, 0xa0, v76
	v_ashrrev_i64 v[75:76], 29, v[75:76]
	v_add_co_u32 v77, s0, s4, v75
	v_add_co_ci_u32_e64 v78, null, s5, v76, s0
	v_add_co_u32 v75, s0, s22, v75
	v_add_co_ci_u32_e64 v76, null, s23, v76, s0
	global_store_dwordx2 v[77:78], v[55:56], off
	s_waitcnt vmcnt(0)
	global_store_dwordx2 v[75:76], v[73:74], off
	s_or_b32 exec_lo, exec_lo, s21
	s_and_saveexec_b32 s21, s79
	s_cbranch_execz .LBB194_75
.LBB194_131:                            ;   in Loop: Header=BB194_21 Depth=1
	v_add_co_u32 v73, s0, s24, v19
	v_add_co_ci_u32_e64 v74, null, s25, v20, s0
	v_add_co_u32 v75, s0, s24, v43
	v_add_co_ci_u32_e64 v76, null, s25, v44, s0
	;; [unrolled: 2-line block ×4, first 2 shown]
	v_cndmask_b32_e32 v73, v75, v73, vcc_lo
	v_add_co_u32 v75, s0, 0, v68
	v_cndmask_b32_e32 v74, v76, v74, vcc_lo
	v_add_co_ci_u32_e64 v76, null, v13, v7, s0
	global_load_dwordx2 v[73:74], v[73:74], off
	v_add_nc_u32_e32 v76, 0xc0, v76
	v_ashrrev_i64 v[75:76], 29, v[75:76]
	v_add_co_u32 v77, s0, s4, v75
	v_add_co_ci_u32_e64 v78, null, s5, v76, s0
	v_add_co_u32 v75, s0, s22, v75
	v_add_co_ci_u32_e64 v76, null, s23, v76, s0
	global_store_dwordx2 v[77:78], v[57:58], off
	s_waitcnt vmcnt(0)
	global_store_dwordx2 v[75:76], v[73:74], off
	s_or_b32 exec_lo, exec_lo, s21
	s_and_saveexec_b32 s21, s80
	s_cbranch_execz .LBB194_76
.LBB194_132:                            ;   in Loop: Header=BB194_21 Depth=1
	v_add_co_u32 v73, s0, s24, v19
	v_add_co_ci_u32_e64 v74, null, s25, v20, s0
	v_add_co_u32 v75, s0, s24, v45
	v_add_co_ci_u32_e64 v76, null, s25, v46, s0
	;; [unrolled: 2-line block ×4, first 2 shown]
	v_cndmask_b32_e32 v73, v75, v73, vcc_lo
	v_add_co_u32 v75, s0, 0, v68
	v_cndmask_b32_e32 v74, v76, v74, vcc_lo
	v_add_co_ci_u32_e64 v76, null, v13, v7, s0
	global_load_dwordx2 v[73:74], v[73:74], off
	v_add_nc_u32_e32 v76, 0xe0, v76
	v_ashrrev_i64 v[75:76], 29, v[75:76]
	v_add_co_u32 v77, s0, s4, v75
	v_add_co_ci_u32_e64 v78, null, s5, v76, s0
	v_add_co_u32 v75, s0, s22, v75
	v_add_co_ci_u32_e64 v76, null, s23, v76, s0
	global_store_dwordx2 v[77:78], v[61:62], off
	s_waitcnt vmcnt(0)
	global_store_dwordx2 v[75:76], v[73:74], off
	s_or_b32 exec_lo, exec_lo, s21
	s_and_saveexec_b32 s21, s81
	s_cbranch_execz .LBB194_77
.LBB194_133:                            ;   in Loop: Header=BB194_21 Depth=1
	v_add_co_u32 v73, s0, s24, v31
	v_add_co_ci_u32_e64 v74, null, s25, v32, s0
	v_add_co_u32 v75, s0, s24, v17
	v_add_co_ci_u32_e64 v76, null, s25, v18, s0
	;; [unrolled: 2-line block ×3, first 2 shown]
	v_cndmask_b32_e32 v73, v73, v75, vcc_lo
	v_add_co_u32 v75, s0, 0, v66
	v_cndmask_b32_e32 v74, v74, v76, vcc_lo
	v_add_co_ci_u32_e64 v76, null, v13, v5, s0
	global_load_dwordx2 v[73:74], v[73:74], off
	v_ashrrev_i64 v[75:76], 29, v[75:76]
	v_add_co_u32 v77, s0, s4, v75
	v_add_co_ci_u32_e64 v78, null, s5, v76, s0
	v_add_co_u32 v75, s0, s22, v75
	v_add_co_ci_u32_e64 v76, null, s23, v76, s0
	global_store_dwordx2 v[77:78], v[59:60], off
	s_waitcnt vmcnt(0)
	global_store_dwordx2 v[75:76], v[73:74], off
	s_or_b32 exec_lo, exec_lo, s21
	s_and_saveexec_b32 s21, s82
	s_cbranch_execz .LBB194_78
.LBB194_134:                            ;   in Loop: Header=BB194_21 Depth=1
	v_add_co_u32 v73, s0, s24, v17
	v_add_co_ci_u32_e64 v74, null, s25, v18, s0
	v_add_co_u32 v75, s0, s24, v33
	v_add_co_ci_u32_e64 v76, null, s25, v34, s0
	;; [unrolled: 2-line block ×4, first 2 shown]
	v_cndmask_b32_e32 v73, v75, v73, vcc_lo
	v_add_co_u32 v75, s0, 0, v66
	v_cndmask_b32_e32 v74, v76, v74, vcc_lo
	v_add_co_ci_u32_e64 v76, null, v13, v5, s0
	global_load_dwordx2 v[73:74], v[73:74], off
	v_add_nc_u32_e32 v76, 32, v76
	v_ashrrev_i64 v[75:76], 29, v[75:76]
	v_add_co_u32 v77, s0, s4, v75
	v_add_co_ci_u32_e64 v78, null, s5, v76, s0
	v_add_co_u32 v75, s0, s22, v75
	v_add_co_ci_u32_e64 v76, null, s23, v76, s0
	global_store_dwordx2 v[77:78], v[47:48], off
	s_waitcnt vmcnt(0)
	global_store_dwordx2 v[75:76], v[73:74], off
	s_or_b32 exec_lo, exec_lo, s21
	s_and_saveexec_b32 s21, s83
	s_cbranch_execz .LBB194_79
.LBB194_135:                            ;   in Loop: Header=BB194_21 Depth=1
	v_add_co_u32 v73, s0, s24, v17
	v_add_co_ci_u32_e64 v74, null, s25, v18, s0
	v_add_co_u32 v75, s0, s24, v35
	v_add_co_ci_u32_e64 v76, null, s25, v36, s0
	;; [unrolled: 2-line block ×4, first 2 shown]
	v_cndmask_b32_e32 v73, v75, v73, vcc_lo
	v_add_co_u32 v75, s0, 0, v66
	v_cndmask_b32_e32 v74, v76, v74, vcc_lo
	v_add_co_ci_u32_e64 v76, null, v13, v5, s0
	global_load_dwordx2 v[73:74], v[73:74], off
	v_add_nc_u32_e32 v76, 64, v76
	v_ashrrev_i64 v[75:76], 29, v[75:76]
	v_add_co_u32 v77, s0, s4, v75
	v_add_co_ci_u32_e64 v78, null, s5, v76, s0
	v_add_co_u32 v75, s0, s22, v75
	v_add_co_ci_u32_e64 v76, null, s23, v76, s0
	global_store_dwordx2 v[77:78], v[49:50], off
	s_waitcnt vmcnt(0)
	global_store_dwordx2 v[75:76], v[73:74], off
	s_or_b32 exec_lo, exec_lo, s21
	s_and_saveexec_b32 s21, s84
	s_cbranch_execz .LBB194_80
.LBB194_136:                            ;   in Loop: Header=BB194_21 Depth=1
	v_add_co_u32 v73, s0, s24, v17
	v_add_co_ci_u32_e64 v74, null, s25, v18, s0
	v_add_co_u32 v75, s0, s24, v37
	v_add_co_ci_u32_e64 v76, null, s25, v38, s0
	;; [unrolled: 2-line block ×4, first 2 shown]
	v_cndmask_b32_e32 v73, v75, v73, vcc_lo
	v_add_co_u32 v75, s0, 0, v66
	v_cndmask_b32_e32 v74, v76, v74, vcc_lo
	v_add_co_ci_u32_e64 v76, null, v13, v5, s0
	global_load_dwordx2 v[73:74], v[73:74], off
	v_add_nc_u32_e32 v76, 0x60, v76
	v_ashrrev_i64 v[75:76], 29, v[75:76]
	v_add_co_u32 v77, s0, s4, v75
	v_add_co_ci_u32_e64 v78, null, s5, v76, s0
	v_add_co_u32 v75, s0, s22, v75
	v_add_co_ci_u32_e64 v76, null, s23, v76, s0
	global_store_dwordx2 v[77:78], v[51:52], off
	s_waitcnt vmcnt(0)
	global_store_dwordx2 v[75:76], v[73:74], off
	s_or_b32 exec_lo, exec_lo, s21
	s_and_saveexec_b32 s21, s85
	s_cbranch_execz .LBB194_81
.LBB194_137:                            ;   in Loop: Header=BB194_21 Depth=1
	v_add_co_u32 v73, s0, s24, v17
	v_add_co_ci_u32_e64 v74, null, s25, v18, s0
	v_add_co_u32 v75, s0, s24, v39
	v_add_co_ci_u32_e64 v76, null, s25, v40, s0
	;; [unrolled: 2-line block ×4, first 2 shown]
	v_cndmask_b32_e32 v73, v75, v73, vcc_lo
	v_add_co_u32 v75, s0, 0, v66
	v_cndmask_b32_e32 v74, v76, v74, vcc_lo
	v_add_co_ci_u32_e64 v76, null, v13, v5, s0
	global_load_dwordx2 v[73:74], v[73:74], off
	v_add_nc_u32_e32 v76, 0x80, v76
	v_ashrrev_i64 v[75:76], 29, v[75:76]
	v_add_co_u32 v77, s0, s4, v75
	v_add_co_ci_u32_e64 v78, null, s5, v76, s0
	v_add_co_u32 v75, s0, s22, v75
	v_add_co_ci_u32_e64 v76, null, s23, v76, s0
	global_store_dwordx2 v[77:78], v[53:54], off
	s_waitcnt vmcnt(0)
	global_store_dwordx2 v[75:76], v[73:74], off
	s_or_b32 exec_lo, exec_lo, s21
	s_and_saveexec_b32 s21, s86
	s_cbranch_execz .LBB194_82
.LBB194_138:                            ;   in Loop: Header=BB194_21 Depth=1
	v_add_co_u32 v73, s0, s24, v17
	v_add_co_ci_u32_e64 v74, null, s25, v18, s0
	v_add_co_u32 v75, s0, s24, v41
	v_add_co_ci_u32_e64 v76, null, s25, v42, s0
	;; [unrolled: 2-line block ×4, first 2 shown]
	v_cndmask_b32_e32 v73, v75, v73, vcc_lo
	v_add_co_u32 v75, s0, 0, v66
	v_cndmask_b32_e32 v74, v76, v74, vcc_lo
	v_add_co_ci_u32_e64 v76, null, v13, v5, s0
	global_load_dwordx2 v[73:74], v[73:74], off
	v_add_nc_u32_e32 v76, 0xa0, v76
	v_ashrrev_i64 v[75:76], 29, v[75:76]
	v_add_co_u32 v77, s0, s4, v75
	v_add_co_ci_u32_e64 v78, null, s5, v76, s0
	v_add_co_u32 v75, s0, s22, v75
	v_add_co_ci_u32_e64 v76, null, s23, v76, s0
	global_store_dwordx2 v[77:78], v[55:56], off
	s_waitcnt vmcnt(0)
	global_store_dwordx2 v[75:76], v[73:74], off
	s_or_b32 exec_lo, exec_lo, s21
	s_and_saveexec_b32 s21, s87
	s_cbranch_execz .LBB194_83
.LBB194_139:                            ;   in Loop: Header=BB194_21 Depth=1
	v_add_co_u32 v73, s0, s24, v17
	v_add_co_ci_u32_e64 v74, null, s25, v18, s0
	v_add_co_u32 v75, s0, s24, v43
	v_add_co_ci_u32_e64 v76, null, s25, v44, s0
	v_cndmask_b32_e32 v73, v75, v73, vcc_lo
	v_add_co_u32 v75, s0, 0, v66
	v_cndmask_b32_e32 v74, v76, v74, vcc_lo
	v_add_co_ci_u32_e64 v76, null, v13, v5, s0
	global_load_dwordx2 v[73:74], v[73:74], off offset:1536
	v_add_nc_u32_e32 v76, 0xc0, v76
	v_ashrrev_i64 v[75:76], 29, v[75:76]
	v_add_co_u32 v77, s0, s4, v75
	v_add_co_ci_u32_e64 v78, null, s5, v76, s0
	v_add_co_u32 v75, s0, s22, v75
	v_add_co_ci_u32_e64 v76, null, s23, v76, s0
	global_store_dwordx2 v[77:78], v[57:58], off
	s_waitcnt vmcnt(0)
	global_store_dwordx2 v[75:76], v[73:74], off
	s_or_b32 exec_lo, exec_lo, s21
	s_and_saveexec_b32 s21, s8
	s_cbranch_execz .LBB194_84
.LBB194_140:                            ;   in Loop: Header=BB194_21 Depth=1
	v_add_co_u32 v73, s0, s24, v17
	v_add_co_ci_u32_e64 v74, null, s25, v18, s0
	v_add_co_u32 v75, s0, s24, v45
	v_add_co_ci_u32_e64 v76, null, s25, v46, s0
	;; [unrolled: 2-line block ×4, first 2 shown]
	v_cndmask_b32_e32 v73, v75, v73, vcc_lo
	v_add_co_u32 v75, s0, 0, v66
	v_cndmask_b32_e32 v74, v76, v74, vcc_lo
	v_add_co_ci_u32_e64 v76, null, v13, v5, s0
	global_load_dwordx2 v[73:74], v[73:74], off
	v_add_nc_u32_e32 v76, 0xe0, v76
	v_ashrrev_i64 v[75:76], 29, v[75:76]
	v_add_co_u32 v77, s0, s4, v75
	v_add_co_ci_u32_e64 v78, null, s5, v76, s0
	v_add_co_u32 v75, s0, s22, v75
	v_add_co_ci_u32_e64 v76, null, s23, v76, s0
	global_store_dwordx2 v[77:78], v[61:62], off
	s_waitcnt vmcnt(0)
	global_store_dwordx2 v[75:76], v[73:74], off
	s_or_b32 exec_lo, exec_lo, s21
	s_and_saveexec_b32 s21, s10
	s_cbranch_execz .LBB194_85
.LBB194_141:                            ;   in Loop: Header=BB194_21 Depth=1
	v_add_co_u32 v73, s0, s24, v31
	v_add_co_ci_u32_e64 v74, null, s25, v32, s0
	v_add_co_u32 v75, s0, s24, v15
	v_add_co_ci_u32_e64 v76, null, s25, v16, s0
	;; [unrolled: 2-line block ×3, first 2 shown]
	v_cndmask_b32_e32 v73, v73, v75, vcc_lo
	v_add_co_u32 v75, s0, 0, v64
	v_cndmask_b32_e32 v74, v74, v76, vcc_lo
	v_add_co_ci_u32_e64 v76, null, v13, v3, s0
	global_load_dwordx2 v[73:74], v[73:74], off
	v_ashrrev_i64 v[75:76], 29, v[75:76]
	v_add_co_u32 v77, s0, s4, v75
	v_add_co_ci_u32_e64 v78, null, s5, v76, s0
	v_add_co_u32 v75, s0, s22, v75
	v_add_co_ci_u32_e64 v76, null, s23, v76, s0
	global_store_dwordx2 v[77:78], v[59:60], off
	s_waitcnt vmcnt(0)
	global_store_dwordx2 v[75:76], v[73:74], off
	s_or_b32 exec_lo, exec_lo, s21
	s_and_saveexec_b32 s21, s11
	s_cbranch_execz .LBB194_86
.LBB194_142:                            ;   in Loop: Header=BB194_21 Depth=1
	v_add_co_u32 v59, s0, s24, v15
	v_add_co_ci_u32_e64 v60, null, s25, v16, s0
	v_add_co_u32 v73, s0, s24, v33
	v_add_co_ci_u32_e64 v74, null, s25, v34, s0
	;; [unrolled: 2-line block ×4, first 2 shown]
	v_cndmask_b32_e32 v59, v73, v59, vcc_lo
	v_add_co_u32 v73, s0, 0, v64
	v_cndmask_b32_e32 v60, v74, v60, vcc_lo
	v_add_co_ci_u32_e64 v74, null, v13, v3, s0
	global_load_dwordx2 v[59:60], v[59:60], off
	v_add_nc_u32_e32 v74, 32, v74
	v_ashrrev_i64 v[73:74], 29, v[73:74]
	v_add_co_u32 v75, s0, s4, v73
	v_add_co_ci_u32_e64 v76, null, s5, v74, s0
	v_add_co_u32 v73, s0, s22, v73
	v_add_co_ci_u32_e64 v74, null, s23, v74, s0
	global_store_dwordx2 v[75:76], v[47:48], off
	s_waitcnt vmcnt(0)
	global_store_dwordx2 v[73:74], v[59:60], off
	s_or_b32 exec_lo, exec_lo, s21
	s_and_saveexec_b32 s21, s12
	s_cbranch_execz .LBB194_87
.LBB194_143:                            ;   in Loop: Header=BB194_21 Depth=1
	v_add_co_u32 v47, s0, s24, v15
	v_add_co_ci_u32_e64 v48, null, s25, v16, s0
	v_add_co_u32 v59, s0, s24, v35
	v_add_co_ci_u32_e64 v60, null, s25, v36, s0
	;; [unrolled: 2-line block ×4, first 2 shown]
	v_cndmask_b32_e32 v47, v59, v47, vcc_lo
	v_add_co_u32 v59, s0, 0, v64
	v_cndmask_b32_e32 v48, v60, v48, vcc_lo
	v_add_co_ci_u32_e64 v60, null, v13, v3, s0
	global_load_dwordx2 v[47:48], v[47:48], off
	v_add_nc_u32_e32 v60, 64, v60
	v_ashrrev_i64 v[59:60], 29, v[59:60]
	v_add_co_u32 v73, s0, s4, v59
	v_add_co_ci_u32_e64 v74, null, s5, v60, s0
	v_add_co_u32 v59, s0, s22, v59
	v_add_co_ci_u32_e64 v60, null, s23, v60, s0
	global_store_dwordx2 v[73:74], v[49:50], off
	s_waitcnt vmcnt(0)
	global_store_dwordx2 v[59:60], v[47:48], off
	s_or_b32 exec_lo, exec_lo, s21
	s_and_saveexec_b32 s21, s13
	s_cbranch_execz .LBB194_88
.LBB194_144:                            ;   in Loop: Header=BB194_21 Depth=1
	v_add_co_u32 v47, s0, s24, v15
	v_add_co_ci_u32_e64 v48, null, s25, v16, s0
	v_add_co_u32 v49, s0, s24, v37
	v_add_co_ci_u32_e64 v50, null, s25, v38, s0
	;; [unrolled: 2-line block ×4, first 2 shown]
	v_cndmask_b32_e32 v47, v49, v47, vcc_lo
	v_add_co_u32 v49, s0, 0, v64
	v_cndmask_b32_e32 v48, v50, v48, vcc_lo
	v_add_co_ci_u32_e64 v50, null, v13, v3, s0
	global_load_dwordx2 v[47:48], v[47:48], off
	v_add_nc_u32_e32 v50, 0x60, v50
	v_ashrrev_i64 v[49:50], 29, v[49:50]
	v_add_co_u32 v59, s0, s4, v49
	v_add_co_ci_u32_e64 v60, null, s5, v50, s0
	v_add_co_u32 v49, s0, s22, v49
	v_add_co_ci_u32_e64 v50, null, s23, v50, s0
	global_store_dwordx2 v[59:60], v[51:52], off
	s_waitcnt vmcnt(0)
	global_store_dwordx2 v[49:50], v[47:48], off
	s_or_b32 exec_lo, exec_lo, s21
	s_and_saveexec_b32 s21, s14
	s_cbranch_execz .LBB194_89
.LBB194_145:                            ;   in Loop: Header=BB194_21 Depth=1
	v_add_co_u32 v47, s0, s24, v15
	v_add_co_ci_u32_e64 v48, null, s25, v16, s0
	v_add_co_u32 v49, s0, s24, v39
	v_add_co_ci_u32_e64 v50, null, s25, v40, s0
	;; [unrolled: 2-line block ×4, first 2 shown]
	v_cndmask_b32_e32 v47, v49, v47, vcc_lo
	v_add_co_u32 v49, s0, 0, v64
	v_cndmask_b32_e32 v48, v50, v48, vcc_lo
	v_add_co_ci_u32_e64 v50, null, v13, v3, s0
	global_load_dwordx2 v[47:48], v[47:48], off
	v_add_nc_u32_e32 v50, 0x80, v50
	v_ashrrev_i64 v[49:50], 29, v[49:50]
	v_add_co_u32 v51, s0, s4, v49
	v_add_co_ci_u32_e64 v52, null, s5, v50, s0
	v_add_co_u32 v49, s0, s22, v49
	v_add_co_ci_u32_e64 v50, null, s23, v50, s0
	global_store_dwordx2 v[51:52], v[53:54], off
	s_waitcnt vmcnt(0)
	global_store_dwordx2 v[49:50], v[47:48], off
	s_or_b32 exec_lo, exec_lo, s21
	s_and_saveexec_b32 s21, s15
	s_cbranch_execz .LBB194_90
.LBB194_146:                            ;   in Loop: Header=BB194_21 Depth=1
	v_add_co_u32 v47, s0, s24, v15
	v_add_co_ci_u32_e64 v48, null, s25, v16, s0
	v_add_co_u32 v49, s0, s24, v41
	v_add_co_ci_u32_e64 v50, null, s25, v42, s0
	;; [unrolled: 2-line block ×4, first 2 shown]
	v_cndmask_b32_e32 v47, v49, v47, vcc_lo
	v_add_co_u32 v49, s0, 0, v64
	v_cndmask_b32_e32 v48, v50, v48, vcc_lo
	v_add_co_ci_u32_e64 v50, null, v13, v3, s0
	global_load_dwordx2 v[47:48], v[47:48], off
	v_add_nc_u32_e32 v50, 0xa0, v50
	v_ashrrev_i64 v[49:50], 29, v[49:50]
	v_add_co_u32 v51, s0, s4, v49
	v_add_co_ci_u32_e64 v52, null, s5, v50, s0
	v_add_co_u32 v49, s0, s22, v49
	v_add_co_ci_u32_e64 v50, null, s23, v50, s0
	global_store_dwordx2 v[51:52], v[55:56], off
	s_waitcnt vmcnt(0)
	global_store_dwordx2 v[49:50], v[47:48], off
	s_or_b32 exec_lo, exec_lo, s21
	s_and_saveexec_b32 s21, s16
	s_cbranch_execz .LBB194_91
.LBB194_147:                            ;   in Loop: Header=BB194_21 Depth=1
	v_add_co_u32 v47, s0, s24, v15
	v_add_co_ci_u32_e64 v48, null, s25, v16, s0
	v_add_co_u32 v49, s0, s24, v43
	v_add_co_ci_u32_e64 v50, null, s25, v44, s0
	;; [unrolled: 2-line block ×4, first 2 shown]
	v_cndmask_b32_e32 v47, v49, v47, vcc_lo
	v_add_co_u32 v49, s0, 0, v64
	v_cndmask_b32_e32 v48, v50, v48, vcc_lo
	v_add_co_ci_u32_e64 v50, null, v13, v3, s0
	global_load_dwordx2 v[47:48], v[47:48], off
	v_add_nc_u32_e32 v50, 0xc0, v50
	v_ashrrev_i64 v[49:50], 29, v[49:50]
	v_add_co_u32 v51, s0, s4, v49
	v_add_co_ci_u32_e64 v52, null, s5, v50, s0
	v_add_co_u32 v49, s0, s22, v49
	v_add_co_ci_u32_e64 v50, null, s23, v50, s0
	global_store_dwordx2 v[51:52], v[57:58], off
	s_waitcnt vmcnt(0)
	global_store_dwordx2 v[49:50], v[47:48], off
	s_or_b32 exec_lo, exec_lo, s21
	s_and_saveexec_b32 s21, s9
	s_cbranch_execz .LBB194_20
.LBB194_148:                            ;   in Loop: Header=BB194_21 Depth=1
	v_add_co_u32 v47, s0, s24, v15
	v_add_co_ci_u32_e64 v48, null, s25, v16, s0
	v_add_co_u32 v49, s0, s24, v45
	v_add_co_ci_u32_e64 v50, null, s25, v46, s0
	v_cndmask_b32_e32 v47, v49, v47, vcc_lo
	v_add_co_u32 v49, s0, 0, v64
	v_cndmask_b32_e32 v48, v50, v48, vcc_lo
	v_add_co_ci_u32_e64 v50, null, v13, v3, s0
	global_load_dwordx2 v[47:48], v[47:48], off offset:1792
	v_add_nc_u32_e32 v50, 0xe0, v50
	v_ashrrev_i64 v[49:50], 29, v[49:50]
	v_add_co_u32 v51, s0, s4, v49
	v_add_co_ci_u32_e64 v52, null, s5, v50, s0
	v_add_co_u32 v49, s0, s22, v49
	v_add_co_ci_u32_e64 v50, null, s23, v50, s0
	global_store_dwordx2 v[51:52], v[61:62], off
	s_waitcnt vmcnt(0)
	global_store_dwordx2 v[49:50], v[47:48], off
	s_branch .LBB194_20
.LBB194_149:
	s_endpgm
	.section	.rodata,"a",@progbits
	.p2align	6, 0x0
	.amdhsa_kernel _ZN9rocsparseL35bsr2csr_block_per_row_33_256_kernelILj1024ELj256ELj32E21rocsparse_complex_numIfEilEEv20rocsparse_direction_T4_S4_21rocsparse_index_base_PKT2_PKT3_PKS4_S4_S5_PS6_PS9_PS4_
		.amdhsa_group_segment_fixed_size 0
		.amdhsa_private_segment_fixed_size 0
		.amdhsa_kernarg_size 96
		.amdhsa_user_sgpr_count 6
		.amdhsa_user_sgpr_private_segment_buffer 1
		.amdhsa_user_sgpr_dispatch_ptr 0
		.amdhsa_user_sgpr_queue_ptr 0
		.amdhsa_user_sgpr_kernarg_segment_ptr 1
		.amdhsa_user_sgpr_dispatch_id 0
		.amdhsa_user_sgpr_flat_scratch_init 0
		.amdhsa_user_sgpr_private_segment_size 0
		.amdhsa_wavefront_size32 1
		.amdhsa_uses_dynamic_stack 0
		.amdhsa_system_sgpr_private_segment_wavefront_offset 0
		.amdhsa_system_sgpr_workgroup_id_x 1
		.amdhsa_system_sgpr_workgroup_id_y 0
		.amdhsa_system_sgpr_workgroup_id_z 0
		.amdhsa_system_sgpr_workgroup_info 0
		.amdhsa_system_vgpr_workitem_id 0
		.amdhsa_next_free_vgpr 79
		.amdhsa_next_free_sgpr 89
		.amdhsa_reserve_vcc 1
		.amdhsa_reserve_flat_scratch 0
		.amdhsa_float_round_mode_32 0
		.amdhsa_float_round_mode_16_64 0
		.amdhsa_float_denorm_mode_32 3
		.amdhsa_float_denorm_mode_16_64 3
		.amdhsa_dx10_clamp 1
		.amdhsa_ieee_mode 1
		.amdhsa_fp16_overflow 0
		.amdhsa_workgroup_processor_mode 1
		.amdhsa_memory_ordered 1
		.amdhsa_forward_progress 1
		.amdhsa_shared_vgpr_count 0
		.amdhsa_exception_fp_ieee_invalid_op 0
		.amdhsa_exception_fp_denorm_src 0
		.amdhsa_exception_fp_ieee_div_zero 0
		.amdhsa_exception_fp_ieee_overflow 0
		.amdhsa_exception_fp_ieee_underflow 0
		.amdhsa_exception_fp_ieee_inexact 0
		.amdhsa_exception_int_div_zero 0
	.end_amdhsa_kernel
	.section	.text._ZN9rocsparseL35bsr2csr_block_per_row_33_256_kernelILj1024ELj256ELj32E21rocsparse_complex_numIfEilEEv20rocsparse_direction_T4_S4_21rocsparse_index_base_PKT2_PKT3_PKS4_S4_S5_PS6_PS9_PS4_,"axG",@progbits,_ZN9rocsparseL35bsr2csr_block_per_row_33_256_kernelILj1024ELj256ELj32E21rocsparse_complex_numIfEilEEv20rocsparse_direction_T4_S4_21rocsparse_index_base_PKT2_PKT3_PKS4_S4_S5_PS6_PS9_PS4_,comdat
.Lfunc_end194:
	.size	_ZN9rocsparseL35bsr2csr_block_per_row_33_256_kernelILj1024ELj256ELj32E21rocsparse_complex_numIfEilEEv20rocsparse_direction_T4_S4_21rocsparse_index_base_PKT2_PKT3_PKS4_S4_S5_PS6_PS9_PS4_, .Lfunc_end194-_ZN9rocsparseL35bsr2csr_block_per_row_33_256_kernelILj1024ELj256ELj32E21rocsparse_complex_numIfEilEEv20rocsparse_direction_T4_S4_21rocsparse_index_base_PKT2_PKT3_PKS4_S4_S5_PS6_PS9_PS4_
                                        ; -- End function
	.set _ZN9rocsparseL35bsr2csr_block_per_row_33_256_kernelILj1024ELj256ELj32E21rocsparse_complex_numIfEilEEv20rocsparse_direction_T4_S4_21rocsparse_index_base_PKT2_PKT3_PKS4_S4_S5_PS6_PS9_PS4_.num_vgpr, 79
	.set _ZN9rocsparseL35bsr2csr_block_per_row_33_256_kernelILj1024ELj256ELj32E21rocsparse_complex_numIfEilEEv20rocsparse_direction_T4_S4_21rocsparse_index_base_PKT2_PKT3_PKS4_S4_S5_PS6_PS9_PS4_.num_agpr, 0
	.set _ZN9rocsparseL35bsr2csr_block_per_row_33_256_kernelILj1024ELj256ELj32E21rocsparse_complex_numIfEilEEv20rocsparse_direction_T4_S4_21rocsparse_index_base_PKT2_PKT3_PKS4_S4_S5_PS6_PS9_PS4_.numbered_sgpr, 89
	.set _ZN9rocsparseL35bsr2csr_block_per_row_33_256_kernelILj1024ELj256ELj32E21rocsparse_complex_numIfEilEEv20rocsparse_direction_T4_S4_21rocsparse_index_base_PKT2_PKT3_PKS4_S4_S5_PS6_PS9_PS4_.num_named_barrier, 0
	.set _ZN9rocsparseL35bsr2csr_block_per_row_33_256_kernelILj1024ELj256ELj32E21rocsparse_complex_numIfEilEEv20rocsparse_direction_T4_S4_21rocsparse_index_base_PKT2_PKT3_PKS4_S4_S5_PS6_PS9_PS4_.private_seg_size, 0
	.set _ZN9rocsparseL35bsr2csr_block_per_row_33_256_kernelILj1024ELj256ELj32E21rocsparse_complex_numIfEilEEv20rocsparse_direction_T4_S4_21rocsparse_index_base_PKT2_PKT3_PKS4_S4_S5_PS6_PS9_PS4_.uses_vcc, 1
	.set _ZN9rocsparseL35bsr2csr_block_per_row_33_256_kernelILj1024ELj256ELj32E21rocsparse_complex_numIfEilEEv20rocsparse_direction_T4_S4_21rocsparse_index_base_PKT2_PKT3_PKS4_S4_S5_PS6_PS9_PS4_.uses_flat_scratch, 0
	.set _ZN9rocsparseL35bsr2csr_block_per_row_33_256_kernelILj1024ELj256ELj32E21rocsparse_complex_numIfEilEEv20rocsparse_direction_T4_S4_21rocsparse_index_base_PKT2_PKT3_PKS4_S4_S5_PS6_PS9_PS4_.has_dyn_sized_stack, 0
	.set _ZN9rocsparseL35bsr2csr_block_per_row_33_256_kernelILj1024ELj256ELj32E21rocsparse_complex_numIfEilEEv20rocsparse_direction_T4_S4_21rocsparse_index_base_PKT2_PKT3_PKS4_S4_S5_PS6_PS9_PS4_.has_recursion, 0
	.set _ZN9rocsparseL35bsr2csr_block_per_row_33_256_kernelILj1024ELj256ELj32E21rocsparse_complex_numIfEilEEv20rocsparse_direction_T4_S4_21rocsparse_index_base_PKT2_PKT3_PKS4_S4_S5_PS6_PS9_PS4_.has_indirect_call, 0
	.section	.AMDGPU.csdata,"",@progbits
; Kernel info:
; codeLenInByte = 14220
; TotalNumSgprs: 91
; NumVgprs: 79
; ScratchSize: 0
; MemoryBound: 0
; FloatMode: 240
; IeeeMode: 1
; LDSByteSize: 0 bytes/workgroup (compile time only)
; SGPRBlocks: 0
; VGPRBlocks: 9
; NumSGPRsForWavesPerEU: 91
; NumVGPRsForWavesPerEU: 79
; Occupancy: 12
; WaveLimiterHint : 1
; COMPUTE_PGM_RSRC2:SCRATCH_EN: 0
; COMPUTE_PGM_RSRC2:USER_SGPR: 6
; COMPUTE_PGM_RSRC2:TRAP_HANDLER: 0
; COMPUTE_PGM_RSRC2:TGID_X_EN: 1
; COMPUTE_PGM_RSRC2:TGID_Y_EN: 0
; COMPUTE_PGM_RSRC2:TGID_Z_EN: 0
; COMPUTE_PGM_RSRC2:TIDIG_COMP_CNT: 0
	.section	.text._ZN9rocsparseL35bsr2csr_block_dim_equals_one_kernelILj1024E21rocsparse_complex_numIfEllEEvT2_S3_21rocsparse_index_base_PKT0_PKT1_PKS3_S4_PS5_PS8_PS3_,"axG",@progbits,_ZN9rocsparseL35bsr2csr_block_dim_equals_one_kernelILj1024E21rocsparse_complex_numIfEllEEvT2_S3_21rocsparse_index_base_PKT0_PKT1_PKS3_S4_PS5_PS8_PS3_,comdat
	.globl	_ZN9rocsparseL35bsr2csr_block_dim_equals_one_kernelILj1024E21rocsparse_complex_numIfEllEEvT2_S3_21rocsparse_index_base_PKT0_PKT1_PKS3_S4_PS5_PS8_PS3_ ; -- Begin function _ZN9rocsparseL35bsr2csr_block_dim_equals_one_kernelILj1024E21rocsparse_complex_numIfEllEEvT2_S3_21rocsparse_index_base_PKT0_PKT1_PKS3_S4_PS5_PS8_PS3_
	.p2align	8
	.type	_ZN9rocsparseL35bsr2csr_block_dim_equals_one_kernelILj1024E21rocsparse_complex_numIfEllEEvT2_S3_21rocsparse_index_base_PKT0_PKT1_PKS3_S4_PS5_PS8_PS3_,@function
_ZN9rocsparseL35bsr2csr_block_dim_equals_one_kernelILj1024E21rocsparse_complex_numIfEllEEvT2_S3_21rocsparse_index_base_PKT0_PKT1_PKS3_S4_PS5_PS8_PS3_: ; @_ZN9rocsparseL35bsr2csr_block_dim_equals_one_kernelILj1024E21rocsparse_complex_numIfEllEEvT2_S3_21rocsparse_index_base_PKT0_PKT1_PKS3_S4_PS5_PS8_PS3_
; %bb.0:
	s_clause 0x6
	s_load_dwordx2 s[0:1], s[4:5], 0x0
	s_load_dword s18, s[4:5], 0x10
	s_load_dwordx4 s[8:11], s[4:5], 0x18
	s_load_dwordx2 s[2:3], s[4:5], 0x28
	s_load_dwordx2 s[12:13], s[4:5], 0x48
	s_load_dword s19, s[4:5], 0x30
	s_load_dwordx2 s[14:15], s[4:5], 0x38
	v_lshl_or_b32 v0, s6, 10, v0
	v_mov_b32_e32 v1, 0
	s_mov_b32 s20, exec_lo
	s_waitcnt lgkmcnt(0)
	v_cmpx_gt_i64_e64 s[0:1], v[0:1]
	s_cbranch_execz .LBB195_6
; %bb.1:
	s_load_dwordx2 s[6:7], s[4:5], 0x40
	s_mov_b32 s21, exec_lo
                                        ; implicit-def: $sgpr16_sgpr17
	v_cmpx_ne_u32_e32 0, v0
	s_xor_b32 s21, exec_lo, s21
; %bb.2:
	s_sub_u32 s16, s19, s18
	s_subb_u32 s17, 0, 0
; %bb.3:
	s_or_saveexec_b32 s21, s21
	v_mov_b32_e32 v2, s16
	v_mov_b32_e32 v3, s17
	s_xor_b32 exec_lo, exec_lo, s21
	s_cbranch_execz .LBB195_5
; %bb.4:
	s_load_dwordx2 s[16:17], s[10:11], 0x0
	s_sub_u32 s22, s19, s18
	s_subb_u32 s23, 0, 0
	v_mov_b32_e32 v2, s22
	v_mov_b32_e32 v6, 0
	;; [unrolled: 1-line block ×3, first 2 shown]
	s_waitcnt lgkmcnt(0)
	s_add_u32 s16, s22, s16
	s_addc_u32 s17, s23, s17
	v_mov_b32_e32 v4, s16
	v_mov_b32_e32 v5, s17
	global_store_dwordx2 v6, v[4:5], s[6:7]
.LBB195_5:
	s_or_b32 exec_lo, exec_lo, s21
	v_lshlrev_b64 v[4:5], 3, v[0:1]
	v_add_co_u32 v6, vcc_lo, s10, v4
	v_add_co_ci_u32_e64 v7, null, s11, v5, vcc_lo
	global_load_dwordx2 v[6:7], v[6:7], off offset:8
	s_waitcnt vmcnt(0)
	v_add_co_u32 v2, vcc_lo, v2, v6
	v_add_co_ci_u32_e64 v3, null, v3, v7, vcc_lo
	s_waitcnt lgkmcnt(0)
	v_add_co_u32 v4, vcc_lo, s6, v4
	v_add_co_ci_u32_e64 v5, null, s7, v5, vcc_lo
	global_store_dwordx2 v[4:5], v[2:3], off offset:8
.LBB195_6:
	s_or_b32 exec_lo, exec_lo, s20
	s_lshl_b64 s[0:1], s[0:1], 3
	s_add_u32 s0, s10, s0
	s_addc_u32 s1, s11, s1
	s_clause 0x1
	s_load_dwordx2 s[0:1], s[0:1], 0x0
	s_load_dwordx2 s[6:7], s[10:11], 0x0
	s_waitcnt lgkmcnt(0)
	s_sub_u32 s6, s0, s6
	s_subb_u32 s7, s1, s7
	s_mov_b32 s0, exec_lo
	v_cmpx_gt_i64_e64 s[6:7], v[0:1]
	s_cbranch_execz .LBB195_9
; %bb.7:
	s_load_dword s0, s[4:5], 0x50
	v_lshlrev_b64 v[2:3], 3, v[0:1]
	s_sub_u32 s16, s19, s18
	s_mov_b32 s5, 0
	s_subb_u32 s17, 0, 0
	s_waitcnt lgkmcnt(0)
	s_lshl_b32 s4, s0, 10
	s_lshl_b64 s[10:11], s[4:5], 3
	s_inst_prefetch 0x1
	.p2align	6
.LBB195_8:                              ; =>This Inner Loop Header: Depth=1
	v_add_co_u32 v4, vcc_lo, s2, v2
	v_add_co_ci_u32_e64 v5, null, s3, v3, vcc_lo
	v_add_co_u32 v6, vcc_lo, s8, v2
	v_add_co_ci_u32_e64 v7, null, s9, v3, vcc_lo
	global_load_dwordx2 v[4:5], v[4:5], off
	global_load_dwordx2 v[6:7], v[6:7], off
	v_add_co_u32 v8, vcc_lo, s12, v2
	v_add_co_ci_u32_e64 v9, null, s13, v3, vcc_lo
	v_add_co_u32 v0, vcc_lo, v0, s4
	v_add_co_ci_u32_e64 v1, null, 0, v1, vcc_lo
	;; [unrolled: 2-line block ×3, first 2 shown]
	v_cmp_le_i64_e64 s0, s[6:7], v[0:1]
	v_add_co_u32 v2, vcc_lo, v2, s10
	v_add_co_ci_u32_e64 v3, null, s11, v3, vcc_lo
	s_or_b32 s5, s0, s5
	s_waitcnt vmcnt(1)
	v_add_co_u32 v4, s1, s16, v4
	v_add_co_ci_u32_e64 v5, null, s17, v5, s1
	s_waitcnt vmcnt(0)
	global_store_dwordx2 v[10:11], v[6:7], off
	global_store_dwordx2 v[8:9], v[4:5], off
	s_andn2_b32 exec_lo, exec_lo, s5
	s_cbranch_execnz .LBB195_8
.LBB195_9:
	s_inst_prefetch 0x2
	s_endpgm
	.section	.rodata,"a",@progbits
	.p2align	6, 0x0
	.amdhsa_kernel _ZN9rocsparseL35bsr2csr_block_dim_equals_one_kernelILj1024E21rocsparse_complex_numIfEllEEvT2_S3_21rocsparse_index_base_PKT0_PKT1_PKS3_S4_PS5_PS8_PS3_
		.amdhsa_group_segment_fixed_size 0
		.amdhsa_private_segment_fixed_size 0
		.amdhsa_kernarg_size 336
		.amdhsa_user_sgpr_count 6
		.amdhsa_user_sgpr_private_segment_buffer 1
		.amdhsa_user_sgpr_dispatch_ptr 0
		.amdhsa_user_sgpr_queue_ptr 0
		.amdhsa_user_sgpr_kernarg_segment_ptr 1
		.amdhsa_user_sgpr_dispatch_id 0
		.amdhsa_user_sgpr_flat_scratch_init 0
		.amdhsa_user_sgpr_private_segment_size 0
		.amdhsa_wavefront_size32 1
		.amdhsa_uses_dynamic_stack 0
		.amdhsa_system_sgpr_private_segment_wavefront_offset 0
		.amdhsa_system_sgpr_workgroup_id_x 1
		.amdhsa_system_sgpr_workgroup_id_y 0
		.amdhsa_system_sgpr_workgroup_id_z 0
		.amdhsa_system_sgpr_workgroup_info 0
		.amdhsa_system_vgpr_workitem_id 0
		.amdhsa_next_free_vgpr 12
		.amdhsa_next_free_sgpr 24
		.amdhsa_reserve_vcc 1
		.amdhsa_reserve_flat_scratch 0
		.amdhsa_float_round_mode_32 0
		.amdhsa_float_round_mode_16_64 0
		.amdhsa_float_denorm_mode_32 3
		.amdhsa_float_denorm_mode_16_64 3
		.amdhsa_dx10_clamp 1
		.amdhsa_ieee_mode 1
		.amdhsa_fp16_overflow 0
		.amdhsa_workgroup_processor_mode 1
		.amdhsa_memory_ordered 1
		.amdhsa_forward_progress 1
		.amdhsa_shared_vgpr_count 0
		.amdhsa_exception_fp_ieee_invalid_op 0
		.amdhsa_exception_fp_denorm_src 0
		.amdhsa_exception_fp_ieee_div_zero 0
		.amdhsa_exception_fp_ieee_overflow 0
		.amdhsa_exception_fp_ieee_underflow 0
		.amdhsa_exception_fp_ieee_inexact 0
		.amdhsa_exception_int_div_zero 0
	.end_amdhsa_kernel
	.section	.text._ZN9rocsparseL35bsr2csr_block_dim_equals_one_kernelILj1024E21rocsparse_complex_numIfEllEEvT2_S3_21rocsparse_index_base_PKT0_PKT1_PKS3_S4_PS5_PS8_PS3_,"axG",@progbits,_ZN9rocsparseL35bsr2csr_block_dim_equals_one_kernelILj1024E21rocsparse_complex_numIfEllEEvT2_S3_21rocsparse_index_base_PKT0_PKT1_PKS3_S4_PS5_PS8_PS3_,comdat
.Lfunc_end195:
	.size	_ZN9rocsparseL35bsr2csr_block_dim_equals_one_kernelILj1024E21rocsparse_complex_numIfEllEEvT2_S3_21rocsparse_index_base_PKT0_PKT1_PKS3_S4_PS5_PS8_PS3_, .Lfunc_end195-_ZN9rocsparseL35bsr2csr_block_dim_equals_one_kernelILj1024E21rocsparse_complex_numIfEllEEvT2_S3_21rocsparse_index_base_PKT0_PKT1_PKS3_S4_PS5_PS8_PS3_
                                        ; -- End function
	.set _ZN9rocsparseL35bsr2csr_block_dim_equals_one_kernelILj1024E21rocsparse_complex_numIfEllEEvT2_S3_21rocsparse_index_base_PKT0_PKT1_PKS3_S4_PS5_PS8_PS3_.num_vgpr, 12
	.set _ZN9rocsparseL35bsr2csr_block_dim_equals_one_kernelILj1024E21rocsparse_complex_numIfEllEEvT2_S3_21rocsparse_index_base_PKT0_PKT1_PKS3_S4_PS5_PS8_PS3_.num_agpr, 0
	.set _ZN9rocsparseL35bsr2csr_block_dim_equals_one_kernelILj1024E21rocsparse_complex_numIfEllEEvT2_S3_21rocsparse_index_base_PKT0_PKT1_PKS3_S4_PS5_PS8_PS3_.numbered_sgpr, 24
	.set _ZN9rocsparseL35bsr2csr_block_dim_equals_one_kernelILj1024E21rocsparse_complex_numIfEllEEvT2_S3_21rocsparse_index_base_PKT0_PKT1_PKS3_S4_PS5_PS8_PS3_.num_named_barrier, 0
	.set _ZN9rocsparseL35bsr2csr_block_dim_equals_one_kernelILj1024E21rocsparse_complex_numIfEllEEvT2_S3_21rocsparse_index_base_PKT0_PKT1_PKS3_S4_PS5_PS8_PS3_.private_seg_size, 0
	.set _ZN9rocsparseL35bsr2csr_block_dim_equals_one_kernelILj1024E21rocsparse_complex_numIfEllEEvT2_S3_21rocsparse_index_base_PKT0_PKT1_PKS3_S4_PS5_PS8_PS3_.uses_vcc, 1
	.set _ZN9rocsparseL35bsr2csr_block_dim_equals_one_kernelILj1024E21rocsparse_complex_numIfEllEEvT2_S3_21rocsparse_index_base_PKT0_PKT1_PKS3_S4_PS5_PS8_PS3_.uses_flat_scratch, 0
	.set _ZN9rocsparseL35bsr2csr_block_dim_equals_one_kernelILj1024E21rocsparse_complex_numIfEllEEvT2_S3_21rocsparse_index_base_PKT0_PKT1_PKS3_S4_PS5_PS8_PS3_.has_dyn_sized_stack, 0
	.set _ZN9rocsparseL35bsr2csr_block_dim_equals_one_kernelILj1024E21rocsparse_complex_numIfEllEEvT2_S3_21rocsparse_index_base_PKT0_PKT1_PKS3_S4_PS5_PS8_PS3_.has_recursion, 0
	.set _ZN9rocsparseL35bsr2csr_block_dim_equals_one_kernelILj1024E21rocsparse_complex_numIfEllEEvT2_S3_21rocsparse_index_base_PKT0_PKT1_PKS3_S4_PS5_PS8_PS3_.has_indirect_call, 0
	.section	.AMDGPU.csdata,"",@progbits
; Kernel info:
; codeLenInByte = 628
; TotalNumSgprs: 26
; NumVgprs: 12
; ScratchSize: 0
; MemoryBound: 0
; FloatMode: 240
; IeeeMode: 1
; LDSByteSize: 0 bytes/workgroup (compile time only)
; SGPRBlocks: 0
; VGPRBlocks: 1
; NumSGPRsForWavesPerEU: 26
; NumVGPRsForWavesPerEU: 12
; Occupancy: 16
; WaveLimiterHint : 0
; COMPUTE_PGM_RSRC2:SCRATCH_EN: 0
; COMPUTE_PGM_RSRC2:USER_SGPR: 6
; COMPUTE_PGM_RSRC2:TRAP_HANDLER: 0
; COMPUTE_PGM_RSRC2:TGID_X_EN: 1
; COMPUTE_PGM_RSRC2:TGID_Y_EN: 0
; COMPUTE_PGM_RSRC2:TGID_Z_EN: 0
; COMPUTE_PGM_RSRC2:TIDIG_COMP_CNT: 0
	.section	.text._ZN9rocsparseL32bsr2csr_block_per_row_2_7_kernelILj256ELj2E21rocsparse_complex_numIfEllEEv20rocsparse_direction_T3_S4_21rocsparse_index_base_PKT1_PKT2_PKS4_S4_S5_PS6_PS9_PS4_,"axG",@progbits,_ZN9rocsparseL32bsr2csr_block_per_row_2_7_kernelILj256ELj2E21rocsparse_complex_numIfEllEEv20rocsparse_direction_T3_S4_21rocsparse_index_base_PKT1_PKT2_PKS4_S4_S5_PS6_PS9_PS4_,comdat
	.globl	_ZN9rocsparseL32bsr2csr_block_per_row_2_7_kernelILj256ELj2E21rocsparse_complex_numIfEllEEv20rocsparse_direction_T3_S4_21rocsparse_index_base_PKT1_PKT2_PKS4_S4_S5_PS6_PS9_PS4_ ; -- Begin function _ZN9rocsparseL32bsr2csr_block_per_row_2_7_kernelILj256ELj2E21rocsparse_complex_numIfEllEEv20rocsparse_direction_T3_S4_21rocsparse_index_base_PKT1_PKT2_PKS4_S4_S5_PS6_PS9_PS4_
	.p2align	8
	.type	_ZN9rocsparseL32bsr2csr_block_per_row_2_7_kernelILj256ELj2E21rocsparse_complex_numIfEllEEv20rocsparse_direction_T3_S4_21rocsparse_index_base_PKT1_PKT2_PKS4_S4_S5_PS6_PS9_PS4_,@function
_ZN9rocsparseL32bsr2csr_block_per_row_2_7_kernelILj256ELj2E21rocsparse_complex_numIfEllEEv20rocsparse_direction_T3_S4_21rocsparse_index_base_PKT1_PKT2_PKS4_S4_S5_PS6_PS9_PS4_: ; @_ZN9rocsparseL32bsr2csr_block_per_row_2_7_kernelILj256ELj2E21rocsparse_complex_numIfEllEEv20rocsparse_direction_T3_S4_21rocsparse_index_base_PKT1_PKT2_PKS4_S4_S5_PS6_PS9_PS4_
; %bb.0:
	s_load_dwordx2 s[0:1], s[4:5], 0x28
	s_mov_b32 s9, 0
	s_clause 0x1
	s_load_dword s10, s[4:5], 0x40
	s_load_dwordx2 s[12:13], s[4:5], 0x50
	s_mov_b32 s7, s9
	v_or_b32_e32 v1, s6, v0
	s_lshl_b64 s[2:3], s[6:7], 3
	s_mov_b32 s8, exec_lo
	s_waitcnt lgkmcnt(0)
	s_add_u32 s0, s0, s2
	s_addc_u32 s1, s1, s3
	s_load_dwordx4 s[0:3], s[0:1], 0x0
	v_cmpx_eq_u32_e32 0, v1
	s_cbranch_execz .LBB196_2
; %bb.1:
	s_mov_b32 s11, s9
	v_mov_b32_e32 v1, s10
	v_mov_b32_e32 v3, 0
	v_mov_b32_e32 v2, s11
	global_store_dwordx2 v3, v[1:2], s[12:13]
.LBB196_2:
	s_or_b32 exec_lo, exec_lo, s8
	s_load_dword s8, s[4:5], 0x18
	v_lshrrev_b32_e32 v2, 1, v0
	v_and_b32_e32 v9, 1, v0
	v_lshlrev_b32_e32 v8, 3, v9
	s_waitcnt lgkmcnt(0)
	s_sub_u32 s14, s0, s8
	s_subb_u32 s15, s1, 0
	s_sub_u32 s2, s2, s8
	s_subb_u32 s3, s3, 0
	s_lshl_b64 s[16:17], s[14:15], 2
	s_sub_u32 s18, s2, s14
	s_subb_u32 s19, s3, s15
	v_add_co_u32 v0, s11, s14, v2
	v_add_co_ci_u32_e64 v1, null, s15, 0, s11
	s_lshl_b64 s[14:15], s[18:19], 1
	s_lshr_b64 s[18:19], s[18:19], 31
	v_mul_lo_u32 v3, s14, v9
	v_mul_lo_u32 v4, s18, v9
	s_add_u32 s11, s14, s10
	s_addc_u32 s14, s15, 0
	s_add_u32 s11, s11, s16
	s_addc_u32 s14, s14, s17
	s_lshl_b64 s[6:7], s[6:7], 4
	v_add_co_u32 v5, vcc_lo, s11, v3
	v_add_co_ci_u32_e64 v6, null, s14, v4, vcc_lo
	s_add_u32 s6, s12, s6
	s_addc_u32 s7, s13, s7
	global_store_dwordx2 v8, v[5:6], s[6:7] offset:8
	s_mov_b32 s6, exec_lo
	v_cmpx_gt_i64_e64 s[2:3], v[0:1]
	s_cbranch_execz .LBB196_5
; %bb.3:
	s_clause 0x2
	s_load_dwordx2 s[6:7], s[4:5], 0x30
	s_load_dwordx2 s[12:13], s[4:5], 0x48
	s_load_dword s11, s[4:5], 0x0
	v_lshlrev_b32_e32 v2, 1, v2
	s_clause 0x1
	s_load_dwordx2 s[14:15], s[4:5], 0x20
	s_load_dwordx2 s[4:5], s[4:5], 0x58
	v_lshlrev_b64 v[6:7], 5, v[0:1]
	v_lshlrev_b32_e32 v9, 4, v9
	s_waitcnt lgkmcnt(0)
	s_cmp_eq_u32 s11, 0
	s_cselect_b32 vcc_lo, -1, 0
	s_lshl_b64 s[0:1], s[0:1], 2
	v_add_co_u32 v3, s0, v3, s0
	v_add_co_ci_u32_e64 v4, null, s1, v4, s0
	v_add_co_u32 v2, s0, v3, v2
	v_add_co_ci_u32_e64 v3, null, 0, v4, s0
	s_lshl_b64 s[0:1], s[8:9], 2
	v_lshlrev_b64 v[4:5], 3, v[0:1]
	v_sub_co_u32 v2, s0, v2, s0
	v_subrev_co_ci_u32_e64 v3, null, s1, v3, s0
	v_lshlrev_b64 v[10:11], 3, v[2:3]
	v_add_co_u32 v2, s0, s6, v4
	v_add_co_ci_u32_e64 v3, null, s7, v5, s0
	v_add_co_u32 v12, s0, v10, 8
	v_add_co_ci_u32_e64 v13, null, 0, v11, s0
	;; [unrolled: 2-line block ×5, first 2 shown]
	s_mov_b32 s4, 0
.LBB196_4:                              ; =>This Inner Loop Header: Depth=1
	v_add_co_u32 v12, s0, v10, v9
	global_load_dwordx2 v[16:17], v[2:3], off
	v_add_co_ci_u32_e64 v13, null, 0, v11, s0
	v_add_co_u32 v14, s0, v10, v8
	v_add_co_ci_u32_e64 v15, null, 0, v11, s0
	v_add_co_u32 v18, s0, v12, 8
	;; [unrolled: 2-line block ×3, first 2 shown]
	v_add_co_ci_u32_e64 v21, null, 0, v15, s0
	v_cndmask_b32_e32 v13, v15, v13, vcc_lo
	v_cndmask_b32_e32 v12, v14, v12, vcc_lo
	;; [unrolled: 1-line block ×4, first 2 shown]
	global_load_dwordx2 v[12:13], v[12:13], off
	global_load_dwordx2 v[14:15], v[14:15], off
	v_add_co_u32 v0, s0, 0x80, v0
	v_add_co_ci_u32_e64 v1, null, 0, v1, s0
	v_add_co_u32 v2, s0, 0x400, v2
	v_add_co_ci_u32_e64 v3, null, 0, v3, s0
	;; [unrolled: 2-line block ×3, first 2 shown]
	v_cmp_le_i64_e64 s0, s[2:3], v[0:1]
	s_or_b32 s4, s0, s4
	s_waitcnt vmcnt(2)
	v_sub_co_u32 v16, s1, v16, s8
	v_subrev_co_ci_u32_e64 v17, null, 0, v17, s1
	v_lshlrev_b64 v[16:17], 1, v[16:17]
	v_add_co_u32 v16, s1, v16, s10
	v_add_co_ci_u32_e64 v17, null, 0, v17, s1
	s_waitcnt vmcnt(0)
	global_store_dwordx4 v[4:5], v[12:15], off offset:-8
	v_add_co_u32 v4, s1, 0x800, v4
	v_add_co_ci_u32_e64 v5, null, 0, v5, s1
	v_add_co_u32 v18, s1, v16, 1
	v_add_co_ci_u32_e64 v19, null, 0, v17, s1
	global_store_dwordx4 v[6:7], v[16:19], off offset:-8
	v_add_co_u32 v6, s1, 0x800, v6
	v_add_co_ci_u32_e64 v7, null, 0, v7, s1
	s_andn2_b32 exec_lo, exec_lo, s4
	s_cbranch_execnz .LBB196_4
.LBB196_5:
	s_endpgm
	.section	.rodata,"a",@progbits
	.p2align	6, 0x0
	.amdhsa_kernel _ZN9rocsparseL32bsr2csr_block_per_row_2_7_kernelILj256ELj2E21rocsparse_complex_numIfEllEEv20rocsparse_direction_T3_S4_21rocsparse_index_base_PKT1_PKT2_PKS4_S4_S5_PS6_PS9_PS4_
		.amdhsa_group_segment_fixed_size 0
		.amdhsa_private_segment_fixed_size 0
		.amdhsa_kernarg_size 96
		.amdhsa_user_sgpr_count 6
		.amdhsa_user_sgpr_private_segment_buffer 1
		.amdhsa_user_sgpr_dispatch_ptr 0
		.amdhsa_user_sgpr_queue_ptr 0
		.amdhsa_user_sgpr_kernarg_segment_ptr 1
		.amdhsa_user_sgpr_dispatch_id 0
		.amdhsa_user_sgpr_flat_scratch_init 0
		.amdhsa_user_sgpr_private_segment_size 0
		.amdhsa_wavefront_size32 1
		.amdhsa_uses_dynamic_stack 0
		.amdhsa_system_sgpr_private_segment_wavefront_offset 0
		.amdhsa_system_sgpr_workgroup_id_x 1
		.amdhsa_system_sgpr_workgroup_id_y 0
		.amdhsa_system_sgpr_workgroup_id_z 0
		.amdhsa_system_sgpr_workgroup_info 0
		.amdhsa_system_vgpr_workitem_id 0
		.amdhsa_next_free_vgpr 22
		.amdhsa_next_free_sgpr 20
		.amdhsa_reserve_vcc 1
		.amdhsa_reserve_flat_scratch 0
		.amdhsa_float_round_mode_32 0
		.amdhsa_float_round_mode_16_64 0
		.amdhsa_float_denorm_mode_32 3
		.amdhsa_float_denorm_mode_16_64 3
		.amdhsa_dx10_clamp 1
		.amdhsa_ieee_mode 1
		.amdhsa_fp16_overflow 0
		.amdhsa_workgroup_processor_mode 1
		.amdhsa_memory_ordered 1
		.amdhsa_forward_progress 1
		.amdhsa_shared_vgpr_count 0
		.amdhsa_exception_fp_ieee_invalid_op 0
		.amdhsa_exception_fp_denorm_src 0
		.amdhsa_exception_fp_ieee_div_zero 0
		.amdhsa_exception_fp_ieee_overflow 0
		.amdhsa_exception_fp_ieee_underflow 0
		.amdhsa_exception_fp_ieee_inexact 0
		.amdhsa_exception_int_div_zero 0
	.end_amdhsa_kernel
	.section	.text._ZN9rocsparseL32bsr2csr_block_per_row_2_7_kernelILj256ELj2E21rocsparse_complex_numIfEllEEv20rocsparse_direction_T3_S4_21rocsparse_index_base_PKT1_PKT2_PKS4_S4_S5_PS6_PS9_PS4_,"axG",@progbits,_ZN9rocsparseL32bsr2csr_block_per_row_2_7_kernelILj256ELj2E21rocsparse_complex_numIfEllEEv20rocsparse_direction_T3_S4_21rocsparse_index_base_PKT1_PKT2_PKS4_S4_S5_PS6_PS9_PS4_,comdat
.Lfunc_end196:
	.size	_ZN9rocsparseL32bsr2csr_block_per_row_2_7_kernelILj256ELj2E21rocsparse_complex_numIfEllEEv20rocsparse_direction_T3_S4_21rocsparse_index_base_PKT1_PKT2_PKS4_S4_S5_PS6_PS9_PS4_, .Lfunc_end196-_ZN9rocsparseL32bsr2csr_block_per_row_2_7_kernelILj256ELj2E21rocsparse_complex_numIfEllEEv20rocsparse_direction_T3_S4_21rocsparse_index_base_PKT1_PKT2_PKS4_S4_S5_PS6_PS9_PS4_
                                        ; -- End function
	.set _ZN9rocsparseL32bsr2csr_block_per_row_2_7_kernelILj256ELj2E21rocsparse_complex_numIfEllEEv20rocsparse_direction_T3_S4_21rocsparse_index_base_PKT1_PKT2_PKS4_S4_S5_PS6_PS9_PS4_.num_vgpr, 22
	.set _ZN9rocsparseL32bsr2csr_block_per_row_2_7_kernelILj256ELj2E21rocsparse_complex_numIfEllEEv20rocsparse_direction_T3_S4_21rocsparse_index_base_PKT1_PKT2_PKS4_S4_S5_PS6_PS9_PS4_.num_agpr, 0
	.set _ZN9rocsparseL32bsr2csr_block_per_row_2_7_kernelILj256ELj2E21rocsparse_complex_numIfEllEEv20rocsparse_direction_T3_S4_21rocsparse_index_base_PKT1_PKT2_PKS4_S4_S5_PS6_PS9_PS4_.numbered_sgpr, 20
	.set _ZN9rocsparseL32bsr2csr_block_per_row_2_7_kernelILj256ELj2E21rocsparse_complex_numIfEllEEv20rocsparse_direction_T3_S4_21rocsparse_index_base_PKT1_PKT2_PKS4_S4_S5_PS6_PS9_PS4_.num_named_barrier, 0
	.set _ZN9rocsparseL32bsr2csr_block_per_row_2_7_kernelILj256ELj2E21rocsparse_complex_numIfEllEEv20rocsparse_direction_T3_S4_21rocsparse_index_base_PKT1_PKT2_PKS4_S4_S5_PS6_PS9_PS4_.private_seg_size, 0
	.set _ZN9rocsparseL32bsr2csr_block_per_row_2_7_kernelILj256ELj2E21rocsparse_complex_numIfEllEEv20rocsparse_direction_T3_S4_21rocsparse_index_base_PKT1_PKT2_PKS4_S4_S5_PS6_PS9_PS4_.uses_vcc, 1
	.set _ZN9rocsparseL32bsr2csr_block_per_row_2_7_kernelILj256ELj2E21rocsparse_complex_numIfEllEEv20rocsparse_direction_T3_S4_21rocsparse_index_base_PKT1_PKT2_PKS4_S4_S5_PS6_PS9_PS4_.uses_flat_scratch, 0
	.set _ZN9rocsparseL32bsr2csr_block_per_row_2_7_kernelILj256ELj2E21rocsparse_complex_numIfEllEEv20rocsparse_direction_T3_S4_21rocsparse_index_base_PKT1_PKT2_PKS4_S4_S5_PS6_PS9_PS4_.has_dyn_sized_stack, 0
	.set _ZN9rocsparseL32bsr2csr_block_per_row_2_7_kernelILj256ELj2E21rocsparse_complex_numIfEllEEv20rocsparse_direction_T3_S4_21rocsparse_index_base_PKT1_PKT2_PKS4_S4_S5_PS6_PS9_PS4_.has_recursion, 0
	.set _ZN9rocsparseL32bsr2csr_block_per_row_2_7_kernelILj256ELj2E21rocsparse_complex_numIfEllEEv20rocsparse_direction_T3_S4_21rocsparse_index_base_PKT1_PKT2_PKS4_S4_S5_PS6_PS9_PS4_.has_indirect_call, 0
	.section	.AMDGPU.csdata,"",@progbits
; Kernel info:
; codeLenInByte = 804
; TotalNumSgprs: 22
; NumVgprs: 22
; ScratchSize: 0
; MemoryBound: 0
; FloatMode: 240
; IeeeMode: 1
; LDSByteSize: 0 bytes/workgroup (compile time only)
; SGPRBlocks: 0
; VGPRBlocks: 2
; NumSGPRsForWavesPerEU: 22
; NumVGPRsForWavesPerEU: 22
; Occupancy: 16
; WaveLimiterHint : 0
; COMPUTE_PGM_RSRC2:SCRATCH_EN: 0
; COMPUTE_PGM_RSRC2:USER_SGPR: 6
; COMPUTE_PGM_RSRC2:TRAP_HANDLER: 0
; COMPUTE_PGM_RSRC2:TGID_X_EN: 1
; COMPUTE_PGM_RSRC2:TGID_Y_EN: 0
; COMPUTE_PGM_RSRC2:TGID_Z_EN: 0
; COMPUTE_PGM_RSRC2:TIDIG_COMP_CNT: 0
	.section	.text._ZN9rocsparseL32bsr2csr_block_per_row_2_7_kernelILj256ELj3E21rocsparse_complex_numIfEllEEv20rocsparse_direction_T3_S4_21rocsparse_index_base_PKT1_PKT2_PKS4_S4_S5_PS6_PS9_PS4_,"axG",@progbits,_ZN9rocsparseL32bsr2csr_block_per_row_2_7_kernelILj256ELj3E21rocsparse_complex_numIfEllEEv20rocsparse_direction_T3_S4_21rocsparse_index_base_PKT1_PKT2_PKS4_S4_S5_PS6_PS9_PS4_,comdat
	.globl	_ZN9rocsparseL32bsr2csr_block_per_row_2_7_kernelILj256ELj3E21rocsparse_complex_numIfEllEEv20rocsparse_direction_T3_S4_21rocsparse_index_base_PKT1_PKT2_PKS4_S4_S5_PS6_PS9_PS4_ ; -- Begin function _ZN9rocsparseL32bsr2csr_block_per_row_2_7_kernelILj256ELj3E21rocsparse_complex_numIfEllEEv20rocsparse_direction_T3_S4_21rocsparse_index_base_PKT1_PKT2_PKS4_S4_S5_PS6_PS9_PS4_
	.p2align	8
	.type	_ZN9rocsparseL32bsr2csr_block_per_row_2_7_kernelILj256ELj3E21rocsparse_complex_numIfEllEEv20rocsparse_direction_T3_S4_21rocsparse_index_base_PKT1_PKT2_PKS4_S4_S5_PS6_PS9_PS4_,@function
_ZN9rocsparseL32bsr2csr_block_per_row_2_7_kernelILj256ELj3E21rocsparse_complex_numIfEllEEv20rocsparse_direction_T3_S4_21rocsparse_index_base_PKT1_PKT2_PKS4_S4_S5_PS6_PS9_PS4_: ; @_ZN9rocsparseL32bsr2csr_block_per_row_2_7_kernelILj256ELj3E21rocsparse_complex_numIfEllEEv20rocsparse_direction_T3_S4_21rocsparse_index_base_PKT1_PKT2_PKS4_S4_S5_PS6_PS9_PS4_
; %bb.0:
	s_clause 0x2
	s_load_dwordx2 s[0:1], s[4:5], 0x28
	s_load_dword s8, s[4:5], 0x40
	s_load_dwordx2 s[12:13], s[4:5], 0x50
	s_mov_b32 s7, 0
	v_or_b32_e32 v1, s6, v0
	s_lshl_b64 s[2:3], s[6:7], 3
	s_waitcnt lgkmcnt(0)
	s_add_u32 s0, s0, s2
	s_addc_u32 s1, s1, s3
	s_mov_b32 s2, exec_lo
	v_cmpx_eq_u32_e32 0, v1
	s_cbranch_execz .LBB197_2
; %bb.1:
	v_mov_b32_e32 v1, s8
	v_mov_b32_e32 v2, 0
	global_store_dwordx2 v2, v[1:2], s[12:13]
.LBB197_2:
	s_or_b32 exec_lo, exec_lo, s2
	v_and_b32_e32 v10, 3, v0
	s_mov_b32 s2, exec_lo
	v_cmpx_ne_u32_e32 3, v10
	s_cbranch_execz .LBB197_6
; %bb.3:
	s_load_dwordx4 s[0:3], s[0:1], 0x0
	s_load_dword s7, s[4:5], 0x18
	v_lshrrev_b32_e32 v4, 2, v0
	s_mul_i32 s16, s6, 24
	v_lshlrev_b32_e32 v9, 3, v10
	s_waitcnt lgkmcnt(0)
	s_sub_u32 s9, s0, s7
	s_subb_u32 s14, s1, 0
	s_sub_u32 s10, s2, s7
	s_mul_hi_u32 s2, s9, 9
	s_mul_i32 s15, s14, 9
	s_subb_u32 s11, s3, 0
	s_add_i32 s2, s2, s15
	s_sub_u32 s3, s10, s9
	s_subb_u32 s17, s11, s14
	s_mul_i32 s15, s3, 3
	s_mul_hi_u32 s3, s3, 3
	v_mad_u64_u32 v[2:3], null, s15, v10, 0
	s_mul_i32 s17, s17, 3
	s_mul_i32 s18, s9, 9
	s_add_i32 s3, s3, s17
	v_mov_b32_e32 v0, v3
	v_mad_u64_u32 v[5:6], null, s3, v10, v[0:1]
	v_add_co_u32 v0, s9, s9, v4
	v_add_co_ci_u32_e64 v1, null, s14, 0, s9
	s_add_u32 s9, s15, s8
	s_addc_u32 s3, s3, 0
	s_add_u32 s9, s9, s18
	s_addc_u32 s2, s3, s2
	v_add_co_u32 v6, vcc_lo, s9, v2
	v_add_co_ci_u32_e64 v7, null, s2, v5, vcc_lo
	v_cmp_gt_i64_e32 vcc_lo, s[10:11], v[0:1]
	v_mov_b32_e32 v3, v5
	s_mul_hi_u32 s3, s6, 24
	s_add_u32 s2, s12, s16
	s_addc_u32 s3, s13, s3
	s_mov_b32 s9, 0
	global_store_dwordx2 v9, v[6:7], s[2:3] offset:8
	s_and_b32 exec_lo, exec_lo, vcc_lo
	s_cbranch_execz .LBB197_6
; %bb.4:
	v_mad_u64_u32 v[5:6], null, s0, 9, v[2:3]
	s_clause 0x2
	s_load_dwordx2 s[2:3], s[4:5], 0x48
	s_load_dwordx2 s[12:13], s[4:5], 0x20
	s_load_dword s6, s[4:5], 0x0
	v_mul_hi_u32_u24_e32 v11, 24, v10
	v_mul_u32_u24_e32 v10, 24, v10
	v_mov_b32_e32 v2, v6
	v_mad_u64_u32 v[2:3], null, s1, 9, v[2:3]
	s_clause 0x1
	s_load_dwordx2 s[0:1], s[4:5], 0x30
	s_load_dwordx2 s[4:5], s[4:5], 0x58
	v_mov_b32_e32 v6, v2
	s_waitcnt lgkmcnt(0)
	v_mad_u64_u32 v[2:3], null, 0x48, v0, s[12:13]
	s_mul_i32 s13, s7, 9
	s_mul_hi_u32 s12, s7, 9
	v_mad_u64_u32 v[4:5], null, v4, 3, v[5:6]
	v_lshlrev_b64 v[6:7], 3, v[0:1]
	s_cmp_eq_u32 s6, 0
	v_sub_co_u32 v4, vcc_lo, v4, s13
	v_subrev_co_ci_u32_e64 v5, null, s12, v5, vcc_lo
	v_mad_u64_u32 v[12:13], null, 0x48, v1, v[3:4]
	v_lshlrev_b64 v[13:14], 3, v[4:5]
	v_add_co_u32 v3, vcc_lo, s0, v6
	v_add_co_ci_u32_e64 v4, null, s1, v7, vcc_lo
	v_add_co_u32 v7, vcc_lo, v13, 8
	v_add_co_ci_u32_e64 v8, null, 0, v14, vcc_lo
	;; [unrolled: 2-line block ×4, first 2 shown]
	s_cselect_b32 vcc_lo, -1, 0
	s_mov_b32 s3, s9
.LBB197_5:                              ; =>This Inner Loop Header: Depth=1
	v_add_co_u32 v13, s0, v2, v10
	v_add_co_ci_u32_e64 v14, null, v12, v11, s0
	v_add_co_u32 v15, s0, v2, v9
	v_add_co_ci_u32_e64 v16, null, 0, v12, s0
	;; [unrolled: 2-line block ×3, first 2 shown]
	v_add_co_u32 v21, s0, v15, 24
	global_load_dwordx2 v[17:18], v[3:4], off
	v_add_co_ci_u32_e64 v22, null, 0, v16, s0
	v_add_co_u32 v23, s0, v13, 16
	v_add_co_ci_u32_e64 v24, null, 0, v14, s0
	v_add_co_u32 v25, s0, v15, 48
	v_add_co_ci_u32_e64 v26, null, 0, v16, s0
	v_cndmask_b32_e32 v14, v16, v14, vcc_lo
	v_cndmask_b32_e32 v13, v15, v13, vcc_lo
	v_cndmask_b32_e32 v16, v22, v20, vcc_lo
	v_cndmask_b32_e32 v15, v21, v19, vcc_lo
	v_cndmask_b32_e32 v20, v26, v24, vcc_lo
	v_cndmask_b32_e32 v19, v25, v23, vcc_lo
	global_load_dwordx2 v[13:14], v[13:14], off
	global_load_dwordx2 v[15:16], v[15:16], off
	;; [unrolled: 1-line block ×3, first 2 shown]
	v_add_co_u32 v0, s0, v0, 64
	v_add_co_ci_u32_e64 v1, null, 0, v1, s0
	v_add_co_u32 v3, s0, 0x200, v3
	v_add_co_ci_u32_e64 v4, null, 0, v4, s0
	;; [unrolled: 2-line block ×3, first 2 shown]
	v_cmp_le_i64_e64 s0, s[10:11], v[0:1]
	s_waitcnt vmcnt(1)
	global_store_dwordx4 v[5:6], v[13:16], off offset:-8
	s_waitcnt vmcnt(0)
	global_store_dwordx2 v[5:6], v[19:20], off offset:8
	v_sub_co_u32 v17, s1, v17, s7
	v_subrev_co_ci_u32_e64 v21, null, 0, v18, s1
	v_add_co_u32 v5, s1, 0x600, v5
	v_mad_u64_u32 v[17:18], null, v17, 3, s[8:9]
	v_add_co_ci_u32_e64 v6, null, 0, v6, s1
	s_or_b32 s3, s0, s3
	v_mad_u64_u32 v[18:19], null, v21, 3, v[18:19]
	v_add_co_u32 v19, s2, v17, 1
	v_add_co_u32 v13, s1, v17, 2
	v_add_co_ci_u32_e64 v20, null, 0, v18, s2
	v_add_co_ci_u32_e64 v14, null, 0, v18, s1
	global_store_dwordx4 v[7:8], v[17:20], off offset:-8
	global_store_dwordx2 v[7:8], v[13:14], off offset:8
	v_add_co_u32 v7, s1, 0x600, v7
	v_add_co_ci_u32_e64 v8, null, 0, v8, s1
	s_andn2_b32 exec_lo, exec_lo, s3
	s_cbranch_execnz .LBB197_5
.LBB197_6:
	s_endpgm
	.section	.rodata,"a",@progbits
	.p2align	6, 0x0
	.amdhsa_kernel _ZN9rocsparseL32bsr2csr_block_per_row_2_7_kernelILj256ELj3E21rocsparse_complex_numIfEllEEv20rocsparse_direction_T3_S4_21rocsparse_index_base_PKT1_PKT2_PKS4_S4_S5_PS6_PS9_PS4_
		.amdhsa_group_segment_fixed_size 0
		.amdhsa_private_segment_fixed_size 0
		.amdhsa_kernarg_size 96
		.amdhsa_user_sgpr_count 6
		.amdhsa_user_sgpr_private_segment_buffer 1
		.amdhsa_user_sgpr_dispatch_ptr 0
		.amdhsa_user_sgpr_queue_ptr 0
		.amdhsa_user_sgpr_kernarg_segment_ptr 1
		.amdhsa_user_sgpr_dispatch_id 0
		.amdhsa_user_sgpr_flat_scratch_init 0
		.amdhsa_user_sgpr_private_segment_size 0
		.amdhsa_wavefront_size32 1
		.amdhsa_uses_dynamic_stack 0
		.amdhsa_system_sgpr_private_segment_wavefront_offset 0
		.amdhsa_system_sgpr_workgroup_id_x 1
		.amdhsa_system_sgpr_workgroup_id_y 0
		.amdhsa_system_sgpr_workgroup_id_z 0
		.amdhsa_system_sgpr_workgroup_info 0
		.amdhsa_system_vgpr_workitem_id 0
		.amdhsa_next_free_vgpr 27
		.amdhsa_next_free_sgpr 19
		.amdhsa_reserve_vcc 1
		.amdhsa_reserve_flat_scratch 0
		.amdhsa_float_round_mode_32 0
		.amdhsa_float_round_mode_16_64 0
		.amdhsa_float_denorm_mode_32 3
		.amdhsa_float_denorm_mode_16_64 3
		.amdhsa_dx10_clamp 1
		.amdhsa_ieee_mode 1
		.amdhsa_fp16_overflow 0
		.amdhsa_workgroup_processor_mode 1
		.amdhsa_memory_ordered 1
		.amdhsa_forward_progress 1
		.amdhsa_shared_vgpr_count 0
		.amdhsa_exception_fp_ieee_invalid_op 0
		.amdhsa_exception_fp_denorm_src 0
		.amdhsa_exception_fp_ieee_div_zero 0
		.amdhsa_exception_fp_ieee_overflow 0
		.amdhsa_exception_fp_ieee_underflow 0
		.amdhsa_exception_fp_ieee_inexact 0
		.amdhsa_exception_int_div_zero 0
	.end_amdhsa_kernel
	.section	.text._ZN9rocsparseL32bsr2csr_block_per_row_2_7_kernelILj256ELj3E21rocsparse_complex_numIfEllEEv20rocsparse_direction_T3_S4_21rocsparse_index_base_PKT1_PKT2_PKS4_S4_S5_PS6_PS9_PS4_,"axG",@progbits,_ZN9rocsparseL32bsr2csr_block_per_row_2_7_kernelILj256ELj3E21rocsparse_complex_numIfEllEEv20rocsparse_direction_T3_S4_21rocsparse_index_base_PKT1_PKT2_PKS4_S4_S5_PS6_PS9_PS4_,comdat
.Lfunc_end197:
	.size	_ZN9rocsparseL32bsr2csr_block_per_row_2_7_kernelILj256ELj3E21rocsparse_complex_numIfEllEEv20rocsparse_direction_T3_S4_21rocsparse_index_base_PKT1_PKT2_PKS4_S4_S5_PS6_PS9_PS4_, .Lfunc_end197-_ZN9rocsparseL32bsr2csr_block_per_row_2_7_kernelILj256ELj3E21rocsparse_complex_numIfEllEEv20rocsparse_direction_T3_S4_21rocsparse_index_base_PKT1_PKT2_PKS4_S4_S5_PS6_PS9_PS4_
                                        ; -- End function
	.set _ZN9rocsparseL32bsr2csr_block_per_row_2_7_kernelILj256ELj3E21rocsparse_complex_numIfEllEEv20rocsparse_direction_T3_S4_21rocsparse_index_base_PKT1_PKT2_PKS4_S4_S5_PS6_PS9_PS4_.num_vgpr, 27
	.set _ZN9rocsparseL32bsr2csr_block_per_row_2_7_kernelILj256ELj3E21rocsparse_complex_numIfEllEEv20rocsparse_direction_T3_S4_21rocsparse_index_base_PKT1_PKT2_PKS4_S4_S5_PS6_PS9_PS4_.num_agpr, 0
	.set _ZN9rocsparseL32bsr2csr_block_per_row_2_7_kernelILj256ELj3E21rocsparse_complex_numIfEllEEv20rocsparse_direction_T3_S4_21rocsparse_index_base_PKT1_PKT2_PKS4_S4_S5_PS6_PS9_PS4_.numbered_sgpr, 19
	.set _ZN9rocsparseL32bsr2csr_block_per_row_2_7_kernelILj256ELj3E21rocsparse_complex_numIfEllEEv20rocsparse_direction_T3_S4_21rocsparse_index_base_PKT1_PKT2_PKS4_S4_S5_PS6_PS9_PS4_.num_named_barrier, 0
	.set _ZN9rocsparseL32bsr2csr_block_per_row_2_7_kernelILj256ELj3E21rocsparse_complex_numIfEllEEv20rocsparse_direction_T3_S4_21rocsparse_index_base_PKT1_PKT2_PKS4_S4_S5_PS6_PS9_PS4_.private_seg_size, 0
	.set _ZN9rocsparseL32bsr2csr_block_per_row_2_7_kernelILj256ELj3E21rocsparse_complex_numIfEllEEv20rocsparse_direction_T3_S4_21rocsparse_index_base_PKT1_PKT2_PKS4_S4_S5_PS6_PS9_PS4_.uses_vcc, 1
	.set _ZN9rocsparseL32bsr2csr_block_per_row_2_7_kernelILj256ELj3E21rocsparse_complex_numIfEllEEv20rocsparse_direction_T3_S4_21rocsparse_index_base_PKT1_PKT2_PKS4_S4_S5_PS6_PS9_PS4_.uses_flat_scratch, 0
	.set _ZN9rocsparseL32bsr2csr_block_per_row_2_7_kernelILj256ELj3E21rocsparse_complex_numIfEllEEv20rocsparse_direction_T3_S4_21rocsparse_index_base_PKT1_PKT2_PKS4_S4_S5_PS6_PS9_PS4_.has_dyn_sized_stack, 0
	.set _ZN9rocsparseL32bsr2csr_block_per_row_2_7_kernelILj256ELj3E21rocsparse_complex_numIfEllEEv20rocsparse_direction_T3_S4_21rocsparse_index_base_PKT1_PKT2_PKS4_S4_S5_PS6_PS9_PS4_.has_recursion, 0
	.set _ZN9rocsparseL32bsr2csr_block_per_row_2_7_kernelILj256ELj3E21rocsparse_complex_numIfEllEEv20rocsparse_direction_T3_S4_21rocsparse_index_base_PKT1_PKT2_PKS4_S4_S5_PS6_PS9_PS4_.has_indirect_call, 0
	.section	.AMDGPU.csdata,"",@progbits
; Kernel info:
; codeLenInByte = 904
; TotalNumSgprs: 21
; NumVgprs: 27
; ScratchSize: 0
; MemoryBound: 0
; FloatMode: 240
; IeeeMode: 1
; LDSByteSize: 0 bytes/workgroup (compile time only)
; SGPRBlocks: 0
; VGPRBlocks: 3
; NumSGPRsForWavesPerEU: 21
; NumVGPRsForWavesPerEU: 27
; Occupancy: 16
; WaveLimiterHint : 0
; COMPUTE_PGM_RSRC2:SCRATCH_EN: 0
; COMPUTE_PGM_RSRC2:USER_SGPR: 6
; COMPUTE_PGM_RSRC2:TRAP_HANDLER: 0
; COMPUTE_PGM_RSRC2:TGID_X_EN: 1
; COMPUTE_PGM_RSRC2:TGID_Y_EN: 0
; COMPUTE_PGM_RSRC2:TGID_Z_EN: 0
; COMPUTE_PGM_RSRC2:TIDIG_COMP_CNT: 0
	.section	.text._ZN9rocsparseL32bsr2csr_block_per_row_2_7_kernelILj256ELj4E21rocsparse_complex_numIfEllEEv20rocsparse_direction_T3_S4_21rocsparse_index_base_PKT1_PKT2_PKS4_S4_S5_PS6_PS9_PS4_,"axG",@progbits,_ZN9rocsparseL32bsr2csr_block_per_row_2_7_kernelILj256ELj4E21rocsparse_complex_numIfEllEEv20rocsparse_direction_T3_S4_21rocsparse_index_base_PKT1_PKT2_PKS4_S4_S5_PS6_PS9_PS4_,comdat
	.globl	_ZN9rocsparseL32bsr2csr_block_per_row_2_7_kernelILj256ELj4E21rocsparse_complex_numIfEllEEv20rocsparse_direction_T3_S4_21rocsparse_index_base_PKT1_PKT2_PKS4_S4_S5_PS6_PS9_PS4_ ; -- Begin function _ZN9rocsparseL32bsr2csr_block_per_row_2_7_kernelILj256ELj4E21rocsparse_complex_numIfEllEEv20rocsparse_direction_T3_S4_21rocsparse_index_base_PKT1_PKT2_PKS4_S4_S5_PS6_PS9_PS4_
	.p2align	8
	.type	_ZN9rocsparseL32bsr2csr_block_per_row_2_7_kernelILj256ELj4E21rocsparse_complex_numIfEllEEv20rocsparse_direction_T3_S4_21rocsparse_index_base_PKT1_PKT2_PKS4_S4_S5_PS6_PS9_PS4_,@function
_ZN9rocsparseL32bsr2csr_block_per_row_2_7_kernelILj256ELj4E21rocsparse_complex_numIfEllEEv20rocsparse_direction_T3_S4_21rocsparse_index_base_PKT1_PKT2_PKS4_S4_S5_PS6_PS9_PS4_: ; @_ZN9rocsparseL32bsr2csr_block_per_row_2_7_kernelILj256ELj4E21rocsparse_complex_numIfEllEEv20rocsparse_direction_T3_S4_21rocsparse_index_base_PKT1_PKT2_PKS4_S4_S5_PS6_PS9_PS4_
; %bb.0:
	s_load_dwordx2 s[0:1], s[4:5], 0x28
	s_mov_b32 s9, 0
	s_clause 0x1
	s_load_dword s10, s[4:5], 0x40
	s_load_dwordx2 s[12:13], s[4:5], 0x50
	s_mov_b32 s7, s9
	v_or_b32_e32 v1, s6, v0
	s_lshl_b64 s[2:3], s[6:7], 3
	s_mov_b32 s8, exec_lo
	s_waitcnt lgkmcnt(0)
	s_add_u32 s0, s0, s2
	s_addc_u32 s1, s1, s3
	s_load_dwordx4 s[0:3], s[0:1], 0x0
	v_cmpx_eq_u32_e32 0, v1
	s_cbranch_execz .LBB198_2
; %bb.1:
	s_mov_b32 s11, s9
	v_mov_b32_e32 v1, s10
	v_mov_b32_e32 v3, 0
	;; [unrolled: 1-line block ×3, first 2 shown]
	global_store_dwordx2 v3, v[1:2], s[12:13]
.LBB198_2:
	s_or_b32 exec_lo, exec_lo, s8
	s_load_dword s8, s[4:5], 0x18
	v_and_b32_e32 v4, 3, v0
	v_lshrrev_b32_e32 v5, 2, v0
	v_lshlrev_b32_e32 v9, 3, v4
	s_waitcnt lgkmcnt(0)
	s_sub_u32 s14, s0, s8
	s_subb_u32 s15, s1, 0
	s_sub_u32 s2, s2, s8
	s_subb_u32 s3, s3, 0
	s_lshl_b64 s[16:17], s[14:15], 4
	s_sub_u32 s18, s2, s14
	s_subb_u32 s19, s3, s15
	v_add_co_u32 v0, s11, s14, v5
	s_lshl_b64 s[20:21], s[18:19], 2
	v_add_co_ci_u32_e64 v1, null, s15, 0, s11
	v_mad_u64_u32 v[2:3], null, s20, v4, 0
	s_lshr_b64 s[14:15], s[18:19], 30
	s_add_u32 s11, s20, s10
	v_mad_u64_u32 v[6:7], null, s14, v4, v[3:4]
	s_addc_u32 s14, s21, 0
	s_add_u32 s11, s11, s16
	s_addc_u32 s14, s14, s17
	v_add_co_u32 v7, vcc_lo, s11, v2
	s_lshl_b64 s[6:7], s[6:7], 5
	v_add_co_ci_u32_e64 v8, null, s14, v6, vcc_lo
	v_mov_b32_e32 v3, v6
	s_add_u32 s6, s12, s6
	s_addc_u32 s7, s13, s7
	global_store_dwordx2 v9, v[7:8], s[6:7] offset:8
	s_mov_b32 s6, exec_lo
	v_cmpx_gt_i64_e64 s[2:3], v[0:1]
	s_cbranch_execz .LBB198_5
; %bb.3:
	s_clause 0x4
	s_load_dwordx2 s[6:7], s[4:5], 0x30
	s_load_dwordx2 s[12:13], s[4:5], 0x48
	s_load_dword s11, s[4:5], 0x0
	s_load_dwordx2 s[14:15], s[4:5], 0x20
	s_load_dwordx2 s[4:5], s[4:5], 0x58
	v_lshlrev_b32_e32 v7, 2, v5
	v_lshlrev_b64 v[5:6], 7, v[0:1]
	v_lshlrev_b64 v[10:11], 3, v[0:1]
	v_mul_hi_u32_u24_e32 v8, 24, v4
	v_mul_u32_u24_e32 v9, 24, v4
	s_waitcnt lgkmcnt(0)
	s_cmp_eq_u32 s11, 0
	s_cselect_b32 vcc_lo, -1, 0
	s_lshl_b64 s[0:1], s[0:1], 4
	v_add_co_u32 v2, s0, v2, s0
	v_add_co_ci_u32_e64 v3, null, s1, v3, s0
	v_add_co_u32 v2, s0, v2, v7
	v_add_co_ci_u32_e64 v3, null, 0, v3, s0
	s_lshl_b64 s[0:1], s[8:9], 4
	v_lshl_or_b32 v7, v4, 3, v5
	v_sub_co_u32 v2, s0, v2, s0
	v_subrev_co_ci_u32_e64 v3, null, s1, v3, s0
	v_lshlrev_b64 v[4:5], 3, v[2:3]
	v_add_co_u32 v2, s0, s6, v10
	v_add_co_ci_u32_e64 v3, null, s7, v11, s0
	v_add_co_u32 v12, s0, v4, 16
	v_add_co_ci_u32_e64 v13, null, 0, v5, s0
	;; [unrolled: 2-line block ×5, first 2 shown]
	s_mov_b32 s4, 0
.LBB198_4:                              ; =>This Inner Loop Header: Depth=1
	v_add_co_u32 v14, s0, v10, v9
	v_add_co_ci_u32_e64 v15, null, v11, v8, s0
	v_add_co_u32 v16, s0, v10, 32
	v_add_co_ci_u32_e64 v17, null, 0, v11, s0
	v_add_co_u32 v18, s0, v10, 64
	global_load_dwordx2 v[20:21], v[2:3], off
	v_add_co_ci_u32_e64 v19, null, 0, v11, s0
	v_add_co_u32 v22, s0, 0x60, v10
	v_add_co_ci_u32_e64 v23, null, 0, v11, s0
	v_add_co_u32 v24, s0, v14, 8
	v_add_co_ci_u32_e64 v25, null, 0, v15, s0
	v_add_co_u32 v26, s0, v14, 16
	v_add_co_ci_u32_e64 v27, null, 0, v15, s0
	v_add_co_u32 v28, s0, v14, 24
	v_add_co_ci_u32_e64 v29, null, 0, v15, s0
	v_cndmask_b32_e32 v13, v11, v15, vcc_lo
	v_cndmask_b32_e32 v12, v10, v14, vcc_lo
	;; [unrolled: 1-line block ×8, first 2 shown]
	global_load_dwordx2 v[12:13], v[12:13], off
	global_load_dwordx2 v[14:15], v[14:15], off
	global_load_dwordx2 v[16:17], v[16:17], off
	global_load_dwordx2 v[18:19], v[18:19], off
	v_add_co_u32 v0, s0, v0, 64
	v_add_co_ci_u32_e64 v1, null, 0, v1, s0
	v_add_co_u32 v2, s0, 0x200, v2
	v_add_co_ci_u32_e64 v3, null, 0, v3, s0
	;; [unrolled: 2-line block ×3, first 2 shown]
	v_cmp_le_i64_e64 s0, s[2:3], v[0:1]
	s_waitcnt vmcnt(2)
	global_store_dwordx4 v[4:5], v[12:15], off offset:-16
	s_waitcnt vmcnt(0)
	global_store_dwordx4 v[4:5], v[16:19], off
	v_sub_co_u32 v20, s1, v20, s8
	v_subrev_co_ci_u32_e64 v21, null, 0, v21, s1
	s_or_b32 s4, s0, s4
	v_lshlrev_b64 v[20:21], 2, v[20:21]
	v_add_co_u32 v20, s1, v20, s10
	v_add_co_ci_u32_e64 v21, null, 0, v21, s1
	v_add_co_u32 v4, s1, 0x800, v4
	v_add_co_ci_u32_e64 v5, null, 0, v5, s1
	;; [unrolled: 2-line block ×5, first 2 shown]
	global_store_dwordx4 v[6:7], v[20:23], off offset:-16
	global_store_dwordx4 v[6:7], v[12:15], off
	v_add_co_u32 v6, s1, 0x800, v6
	v_add_co_ci_u32_e64 v7, null, 0, v7, s1
	s_andn2_b32 exec_lo, exec_lo, s4
	s_cbranch_execnz .LBB198_4
.LBB198_5:
	s_endpgm
	.section	.rodata,"a",@progbits
	.p2align	6, 0x0
	.amdhsa_kernel _ZN9rocsparseL32bsr2csr_block_per_row_2_7_kernelILj256ELj4E21rocsparse_complex_numIfEllEEv20rocsparse_direction_T3_S4_21rocsparse_index_base_PKT1_PKT2_PKS4_S4_S5_PS6_PS9_PS4_
		.amdhsa_group_segment_fixed_size 0
		.amdhsa_private_segment_fixed_size 0
		.amdhsa_kernarg_size 96
		.amdhsa_user_sgpr_count 6
		.amdhsa_user_sgpr_private_segment_buffer 1
		.amdhsa_user_sgpr_dispatch_ptr 0
		.amdhsa_user_sgpr_queue_ptr 0
		.amdhsa_user_sgpr_kernarg_segment_ptr 1
		.amdhsa_user_sgpr_dispatch_id 0
		.amdhsa_user_sgpr_flat_scratch_init 0
		.amdhsa_user_sgpr_private_segment_size 0
		.amdhsa_wavefront_size32 1
		.amdhsa_uses_dynamic_stack 0
		.amdhsa_system_sgpr_private_segment_wavefront_offset 0
		.amdhsa_system_sgpr_workgroup_id_x 1
		.amdhsa_system_sgpr_workgroup_id_y 0
		.amdhsa_system_sgpr_workgroup_id_z 0
		.amdhsa_system_sgpr_workgroup_info 0
		.amdhsa_system_vgpr_workitem_id 0
		.amdhsa_next_free_vgpr 30
		.amdhsa_next_free_sgpr 22
		.amdhsa_reserve_vcc 1
		.amdhsa_reserve_flat_scratch 0
		.amdhsa_float_round_mode_32 0
		.amdhsa_float_round_mode_16_64 0
		.amdhsa_float_denorm_mode_32 3
		.amdhsa_float_denorm_mode_16_64 3
		.amdhsa_dx10_clamp 1
		.amdhsa_ieee_mode 1
		.amdhsa_fp16_overflow 0
		.amdhsa_workgroup_processor_mode 1
		.amdhsa_memory_ordered 1
		.amdhsa_forward_progress 1
		.amdhsa_shared_vgpr_count 0
		.amdhsa_exception_fp_ieee_invalid_op 0
		.amdhsa_exception_fp_denorm_src 0
		.amdhsa_exception_fp_ieee_div_zero 0
		.amdhsa_exception_fp_ieee_overflow 0
		.amdhsa_exception_fp_ieee_underflow 0
		.amdhsa_exception_fp_ieee_inexact 0
		.amdhsa_exception_int_div_zero 0
	.end_amdhsa_kernel
	.section	.text._ZN9rocsparseL32bsr2csr_block_per_row_2_7_kernelILj256ELj4E21rocsparse_complex_numIfEllEEv20rocsparse_direction_T3_S4_21rocsparse_index_base_PKT1_PKT2_PKS4_S4_S5_PS6_PS9_PS4_,"axG",@progbits,_ZN9rocsparseL32bsr2csr_block_per_row_2_7_kernelILj256ELj4E21rocsparse_complex_numIfEllEEv20rocsparse_direction_T3_S4_21rocsparse_index_base_PKT1_PKT2_PKS4_S4_S5_PS6_PS9_PS4_,comdat
.Lfunc_end198:
	.size	_ZN9rocsparseL32bsr2csr_block_per_row_2_7_kernelILj256ELj4E21rocsparse_complex_numIfEllEEv20rocsparse_direction_T3_S4_21rocsparse_index_base_PKT1_PKT2_PKS4_S4_S5_PS6_PS9_PS4_, .Lfunc_end198-_ZN9rocsparseL32bsr2csr_block_per_row_2_7_kernelILj256ELj4E21rocsparse_complex_numIfEllEEv20rocsparse_direction_T3_S4_21rocsparse_index_base_PKT1_PKT2_PKS4_S4_S5_PS6_PS9_PS4_
                                        ; -- End function
	.set _ZN9rocsparseL32bsr2csr_block_per_row_2_7_kernelILj256ELj4E21rocsparse_complex_numIfEllEEv20rocsparse_direction_T3_S4_21rocsparse_index_base_PKT1_PKT2_PKS4_S4_S5_PS6_PS9_PS4_.num_vgpr, 30
	.set _ZN9rocsparseL32bsr2csr_block_per_row_2_7_kernelILj256ELj4E21rocsparse_complex_numIfEllEEv20rocsparse_direction_T3_S4_21rocsparse_index_base_PKT1_PKT2_PKS4_S4_S5_PS6_PS9_PS4_.num_agpr, 0
	.set _ZN9rocsparseL32bsr2csr_block_per_row_2_7_kernelILj256ELj4E21rocsparse_complex_numIfEllEEv20rocsparse_direction_T3_S4_21rocsparse_index_base_PKT1_PKT2_PKS4_S4_S5_PS6_PS9_PS4_.numbered_sgpr, 22
	.set _ZN9rocsparseL32bsr2csr_block_per_row_2_7_kernelILj256ELj4E21rocsparse_complex_numIfEllEEv20rocsparse_direction_T3_S4_21rocsparse_index_base_PKT1_PKT2_PKS4_S4_S5_PS6_PS9_PS4_.num_named_barrier, 0
	.set _ZN9rocsparseL32bsr2csr_block_per_row_2_7_kernelILj256ELj4E21rocsparse_complex_numIfEllEEv20rocsparse_direction_T3_S4_21rocsparse_index_base_PKT1_PKT2_PKS4_S4_S5_PS6_PS9_PS4_.private_seg_size, 0
	.set _ZN9rocsparseL32bsr2csr_block_per_row_2_7_kernelILj256ELj4E21rocsparse_complex_numIfEllEEv20rocsparse_direction_T3_S4_21rocsparse_index_base_PKT1_PKT2_PKS4_S4_S5_PS6_PS9_PS4_.uses_vcc, 1
	.set _ZN9rocsparseL32bsr2csr_block_per_row_2_7_kernelILj256ELj4E21rocsparse_complex_numIfEllEEv20rocsparse_direction_T3_S4_21rocsparse_index_base_PKT1_PKT2_PKS4_S4_S5_PS6_PS9_PS4_.uses_flat_scratch, 0
	.set _ZN9rocsparseL32bsr2csr_block_per_row_2_7_kernelILj256ELj4E21rocsparse_complex_numIfEllEEv20rocsparse_direction_T3_S4_21rocsparse_index_base_PKT1_PKT2_PKS4_S4_S5_PS6_PS9_PS4_.has_dyn_sized_stack, 0
	.set _ZN9rocsparseL32bsr2csr_block_per_row_2_7_kernelILj256ELj4E21rocsparse_complex_numIfEllEEv20rocsparse_direction_T3_S4_21rocsparse_index_base_PKT1_PKT2_PKS4_S4_S5_PS6_PS9_PS4_.has_recursion, 0
	.set _ZN9rocsparseL32bsr2csr_block_per_row_2_7_kernelILj256ELj4E21rocsparse_complex_numIfEllEEv20rocsparse_direction_T3_S4_21rocsparse_index_base_PKT1_PKT2_PKS4_S4_S5_PS6_PS9_PS4_.has_indirect_call, 0
	.section	.AMDGPU.csdata,"",@progbits
; Kernel info:
; codeLenInByte = 944
; TotalNumSgprs: 24
; NumVgprs: 30
; ScratchSize: 0
; MemoryBound: 0
; FloatMode: 240
; IeeeMode: 1
; LDSByteSize: 0 bytes/workgroup (compile time only)
; SGPRBlocks: 0
; VGPRBlocks: 3
; NumSGPRsForWavesPerEU: 24
; NumVGPRsForWavesPerEU: 30
; Occupancy: 16
; WaveLimiterHint : 0
; COMPUTE_PGM_RSRC2:SCRATCH_EN: 0
; COMPUTE_PGM_RSRC2:USER_SGPR: 6
; COMPUTE_PGM_RSRC2:TRAP_HANDLER: 0
; COMPUTE_PGM_RSRC2:TGID_X_EN: 1
; COMPUTE_PGM_RSRC2:TGID_Y_EN: 0
; COMPUTE_PGM_RSRC2:TGID_Z_EN: 0
; COMPUTE_PGM_RSRC2:TIDIG_COMP_CNT: 0
	.section	.text._ZN9rocsparseL32bsr2csr_block_per_row_2_7_kernelILj256ELj5E21rocsparse_complex_numIfEllEEv20rocsparse_direction_T3_S4_21rocsparse_index_base_PKT1_PKT2_PKS4_S4_S5_PS6_PS9_PS4_,"axG",@progbits,_ZN9rocsparseL32bsr2csr_block_per_row_2_7_kernelILj256ELj5E21rocsparse_complex_numIfEllEEv20rocsparse_direction_T3_S4_21rocsparse_index_base_PKT1_PKT2_PKS4_S4_S5_PS6_PS9_PS4_,comdat
	.globl	_ZN9rocsparseL32bsr2csr_block_per_row_2_7_kernelILj256ELj5E21rocsparse_complex_numIfEllEEv20rocsparse_direction_T3_S4_21rocsparse_index_base_PKT1_PKT2_PKS4_S4_S5_PS6_PS9_PS4_ ; -- Begin function _ZN9rocsparseL32bsr2csr_block_per_row_2_7_kernelILj256ELj5E21rocsparse_complex_numIfEllEEv20rocsparse_direction_T3_S4_21rocsparse_index_base_PKT1_PKT2_PKS4_S4_S5_PS6_PS9_PS4_
	.p2align	8
	.type	_ZN9rocsparseL32bsr2csr_block_per_row_2_7_kernelILj256ELj5E21rocsparse_complex_numIfEllEEv20rocsparse_direction_T3_S4_21rocsparse_index_base_PKT1_PKT2_PKS4_S4_S5_PS6_PS9_PS4_,@function
_ZN9rocsparseL32bsr2csr_block_per_row_2_7_kernelILj256ELj5E21rocsparse_complex_numIfEllEEv20rocsparse_direction_T3_S4_21rocsparse_index_base_PKT1_PKT2_PKS4_S4_S5_PS6_PS9_PS4_: ; @_ZN9rocsparseL32bsr2csr_block_per_row_2_7_kernelILj256ELj5E21rocsparse_complex_numIfEllEEv20rocsparse_direction_T3_S4_21rocsparse_index_base_PKT1_PKT2_PKS4_S4_S5_PS6_PS9_PS4_
; %bb.0:
	s_clause 0x2
	s_load_dwordx2 s[0:1], s[4:5], 0x28
	s_load_dword s8, s[4:5], 0x40
	s_load_dwordx2 s[12:13], s[4:5], 0x50
	s_mov_b32 s7, 0
	v_or_b32_e32 v1, s6, v0
	s_lshl_b64 s[2:3], s[6:7], 3
	s_waitcnt lgkmcnt(0)
	s_add_u32 s0, s0, s2
	s_addc_u32 s1, s1, s3
	s_mov_b32 s2, exec_lo
	v_cmpx_eq_u32_e32 0, v1
	s_cbranch_execz .LBB199_2
; %bb.1:
	v_mov_b32_e32 v1, s8
	v_mov_b32_e32 v2, 0
	global_store_dwordx2 v2, v[1:2], s[12:13]
.LBB199_2:
	s_or_b32 exec_lo, exec_lo, s2
	v_and_b32_e32 v4, 7, v0
	s_mov_b32 s2, exec_lo
	v_cmpx_gt_u32_e32 5, v4
	s_cbranch_execz .LBB199_6
; %bb.3:
	s_load_dwordx4 s[0:3], s[0:1], 0x0
	s_load_dword s7, s[4:5], 0x18
	v_lshrrev_b32_e32 v5, 3, v0
	s_mul_i32 s16, s6, 40
	v_lshlrev_b32_e32 v9, 3, v4
	s_waitcnt lgkmcnt(0)
	s_sub_u32 s9, s0, s7
	s_subb_u32 s14, s1, 0
	s_sub_u32 s10, s2, s7
	s_mul_hi_u32 s2, s9, 25
	s_mul_i32 s15, s14, 25
	s_subb_u32 s11, s3, 0
	s_add_i32 s2, s2, s15
	s_sub_u32 s3, s10, s9
	s_subb_u32 s17, s11, s14
	s_mul_i32 s15, s3, 5
	s_mul_hi_u32 s3, s3, 5
	v_mad_u64_u32 v[2:3], null, s15, v4, 0
	s_mul_i32 s17, s17, 5
	s_mul_i32 s18, s9, 25
	s_add_i32 s3, s3, s17
	v_mov_b32_e32 v0, v3
	v_mad_u64_u32 v[6:7], null, s3, v4, v[0:1]
	v_add_co_u32 v0, s9, s9, v5
	v_add_co_ci_u32_e64 v1, null, s14, 0, s9
	s_add_u32 s9, s15, s8
	s_addc_u32 s3, s3, 0
	s_add_u32 s9, s9, s18
	s_addc_u32 s2, s3, s2
	v_add_co_u32 v7, vcc_lo, s9, v2
	v_add_co_ci_u32_e64 v8, null, s2, v6, vcc_lo
	v_cmp_gt_i64_e32 vcc_lo, s[10:11], v[0:1]
	v_mov_b32_e32 v3, v6
	s_mul_hi_u32 s3, s6, 40
	s_add_u32 s2, s12, s16
	s_addc_u32 s3, s13, s3
	s_mov_b32 s9, 0
	global_store_dwordx2 v9, v[7:8], s[2:3] offset:8
	s_and_b32 exec_lo, exec_lo, vcc_lo
	s_cbranch_execz .LBB199_6
; %bb.4:
	v_mad_u64_u32 v[6:7], null, s0, 25, v[2:3]
	s_clause 0x2
	s_load_dwordx2 s[2:3], s[4:5], 0x48
	s_load_dwordx2 s[12:13], s[4:5], 0x20
	s_load_dword s6, s[4:5], 0x0
	v_mul_hi_u32_u24_e32 v10, 40, v4
	v_mul_u32_u24_e32 v11, 40, v4
	v_mov_b32_e32 v2, v7
	v_mad_u64_u32 v[2:3], null, s1, 25, v[2:3]
	s_clause 0x1
	s_load_dwordx2 s[0:1], s[4:5], 0x30
	s_load_dwordx2 s[4:5], s[4:5], 0x58
	v_mov_b32_e32 v7, v2
	s_waitcnt lgkmcnt(0)
	v_mad_u64_u32 v[2:3], null, 0xc8, v0, s[12:13]
	s_mul_i32 s13, s7, 25
	s_mul_hi_u32 s12, s7, 25
	v_mad_u64_u32 v[5:6], null, v5, 5, v[6:7]
	v_lshlrev_b64 v[7:8], 3, v[0:1]
	s_cmp_eq_u32 s6, 0
	v_mad_u64_u32 v[12:13], null, 0xc8, v1, v[3:4]
	v_sub_co_u32 v5, vcc_lo, v5, s13
	v_subrev_co_ci_u32_e64 v6, null, s12, v6, vcc_lo
	v_add_co_u32 v3, vcc_lo, s0, v7
	v_add_co_ci_u32_e64 v4, null, s1, v8, vcc_lo
	v_lshlrev_b64 v[5:6], 3, v[5:6]
	v_add_co_u32 v7, vcc_lo, v5, 16
	v_add_co_ci_u32_e64 v8, null, 0, v6, vcc_lo
	v_add_co_u32 v5, vcc_lo, s2, v7
	v_add_co_ci_u32_e64 v6, null, s3, v8, vcc_lo
	;; [unrolled: 2-line block ×3, first 2 shown]
	s_cselect_b32 vcc_lo, -1, 0
	s_mov_b32 s5, s9
.LBB199_5:                              ; =>This Inner Loop Header: Depth=1
	v_add_co_u32 v15, s0, v2, v9
	v_add_co_ci_u32_e64 v16, null, 0, v12, s0
	v_add_co_u32 v17, s0, v2, v11
	v_add_co_ci_u32_e64 v18, null, v12, v10, s0
	global_load_dwordx2 v[21:22], v[3:4], off
	v_add_co_u32 v19, s0, v17, 8
	v_add_co_ci_u32_e64 v20, null, 0, v18, s0
	v_add_co_u32 v23, s0, v15, 40
	v_add_co_ci_u32_e64 v24, null, 0, v16, s0
	;; [unrolled: 2-line block ×8, first 2 shown]
	v_cndmask_b32_e32 v14, v16, v18, vcc_lo
	v_cndmask_b32_e32 v13, v15, v17, vcc_lo
	;; [unrolled: 1-line block ×10, first 2 shown]
	global_load_dwordx2 v[13:14], v[13:14], off
	global_load_dwordx2 v[15:16], v[15:16], off
	;; [unrolled: 1-line block ×5, first 2 shown]
	v_add_co_u32 v0, s0, v0, 32
	v_add_co_ci_u32_e64 v1, null, 0, v1, s0
	v_add_co_u32 v3, s0, 0x100, v3
	v_add_co_ci_u32_e64 v4, null, 0, v4, s0
	;; [unrolled: 2-line block ×3, first 2 shown]
	v_cmp_le_i64_e64 s0, s[10:11], v[0:1]
	s_waitcnt vmcnt(3)
	global_store_dwordx4 v[5:6], v[13:16], off offset:-16
	s_waitcnt vmcnt(1)
	global_store_dwordx4 v[5:6], v[17:20], off
	s_waitcnt vmcnt(0)
	global_store_dwordx2 v[5:6], v[23:24], off offset:16
	v_sub_co_u32 v21, s1, v21, s7
	v_subrev_co_ci_u32_e64 v25, null, 0, v22, s1
	v_add_co_u32 v5, s1, 0x500, v5
	v_mad_u64_u32 v[21:22], null, v21, 5, s[8:9]
	v_add_co_ci_u32_e64 v6, null, 0, v6, s1
	s_or_b32 s5, s0, s5
	v_mad_u64_u32 v[22:23], null, v25, 5, v[22:23]
	v_add_co_u32 v23, s4, v21, 1
	v_add_co_u32 v13, s1, v21, 2
	;; [unrolled: 1-line block ×4, first 2 shown]
	v_add_co_ci_u32_e64 v24, null, 0, v22, s4
	v_add_co_ci_u32_e64 v14, null, 0, v22, s1
	;; [unrolled: 1-line block ×4, first 2 shown]
	global_store_dwordx4 v[7:8], v[21:24], off offset:-16
	global_store_dwordx4 v[7:8], v[13:16], off
	global_store_dwordx2 v[7:8], v[17:18], off offset:16
	v_add_co_u32 v7, s1, 0x500, v7
	v_add_co_ci_u32_e64 v8, null, 0, v8, s1
	s_andn2_b32 exec_lo, exec_lo, s5
	s_cbranch_execnz .LBB199_5
.LBB199_6:
	s_endpgm
	.section	.rodata,"a",@progbits
	.p2align	6, 0x0
	.amdhsa_kernel _ZN9rocsparseL32bsr2csr_block_per_row_2_7_kernelILj256ELj5E21rocsparse_complex_numIfEllEEv20rocsparse_direction_T3_S4_21rocsparse_index_base_PKT1_PKT2_PKS4_S4_S5_PS6_PS9_PS4_
		.amdhsa_group_segment_fixed_size 0
		.amdhsa_private_segment_fixed_size 0
		.amdhsa_kernarg_size 96
		.amdhsa_user_sgpr_count 6
		.amdhsa_user_sgpr_private_segment_buffer 1
		.amdhsa_user_sgpr_dispatch_ptr 0
		.amdhsa_user_sgpr_queue_ptr 0
		.amdhsa_user_sgpr_kernarg_segment_ptr 1
		.amdhsa_user_sgpr_dispatch_id 0
		.amdhsa_user_sgpr_flat_scratch_init 0
		.amdhsa_user_sgpr_private_segment_size 0
		.amdhsa_wavefront_size32 1
		.amdhsa_uses_dynamic_stack 0
		.amdhsa_system_sgpr_private_segment_wavefront_offset 0
		.amdhsa_system_sgpr_workgroup_id_x 1
		.amdhsa_system_sgpr_workgroup_id_y 0
		.amdhsa_system_sgpr_workgroup_id_z 0
		.amdhsa_system_sgpr_workgroup_info 0
		.amdhsa_system_vgpr_workitem_id 0
		.amdhsa_next_free_vgpr 37
		.amdhsa_next_free_sgpr 19
		.amdhsa_reserve_vcc 1
		.amdhsa_reserve_flat_scratch 0
		.amdhsa_float_round_mode_32 0
		.amdhsa_float_round_mode_16_64 0
		.amdhsa_float_denorm_mode_32 3
		.amdhsa_float_denorm_mode_16_64 3
		.amdhsa_dx10_clamp 1
		.amdhsa_ieee_mode 1
		.amdhsa_fp16_overflow 0
		.amdhsa_workgroup_processor_mode 1
		.amdhsa_memory_ordered 1
		.amdhsa_forward_progress 1
		.amdhsa_shared_vgpr_count 0
		.amdhsa_exception_fp_ieee_invalid_op 0
		.amdhsa_exception_fp_denorm_src 0
		.amdhsa_exception_fp_ieee_div_zero 0
		.amdhsa_exception_fp_ieee_overflow 0
		.amdhsa_exception_fp_ieee_underflow 0
		.amdhsa_exception_fp_ieee_inexact 0
		.amdhsa_exception_int_div_zero 0
	.end_amdhsa_kernel
	.section	.text._ZN9rocsparseL32bsr2csr_block_per_row_2_7_kernelILj256ELj5E21rocsparse_complex_numIfEllEEv20rocsparse_direction_T3_S4_21rocsparse_index_base_PKT1_PKT2_PKS4_S4_S5_PS6_PS9_PS4_,"axG",@progbits,_ZN9rocsparseL32bsr2csr_block_per_row_2_7_kernelILj256ELj5E21rocsparse_complex_numIfEllEEv20rocsparse_direction_T3_S4_21rocsparse_index_base_PKT1_PKT2_PKS4_S4_S5_PS6_PS9_PS4_,comdat
.Lfunc_end199:
	.size	_ZN9rocsparseL32bsr2csr_block_per_row_2_7_kernelILj256ELj5E21rocsparse_complex_numIfEllEEv20rocsparse_direction_T3_S4_21rocsparse_index_base_PKT1_PKT2_PKS4_S4_S5_PS6_PS9_PS4_, .Lfunc_end199-_ZN9rocsparseL32bsr2csr_block_per_row_2_7_kernelILj256ELj5E21rocsparse_complex_numIfEllEEv20rocsparse_direction_T3_S4_21rocsparse_index_base_PKT1_PKT2_PKS4_S4_S5_PS6_PS9_PS4_
                                        ; -- End function
	.set _ZN9rocsparseL32bsr2csr_block_per_row_2_7_kernelILj256ELj5E21rocsparse_complex_numIfEllEEv20rocsparse_direction_T3_S4_21rocsparse_index_base_PKT1_PKT2_PKS4_S4_S5_PS6_PS9_PS4_.num_vgpr, 37
	.set _ZN9rocsparseL32bsr2csr_block_per_row_2_7_kernelILj256ELj5E21rocsparse_complex_numIfEllEEv20rocsparse_direction_T3_S4_21rocsparse_index_base_PKT1_PKT2_PKS4_S4_S5_PS6_PS9_PS4_.num_agpr, 0
	.set _ZN9rocsparseL32bsr2csr_block_per_row_2_7_kernelILj256ELj5E21rocsparse_complex_numIfEllEEv20rocsparse_direction_T3_S4_21rocsparse_index_base_PKT1_PKT2_PKS4_S4_S5_PS6_PS9_PS4_.numbered_sgpr, 19
	.set _ZN9rocsparseL32bsr2csr_block_per_row_2_7_kernelILj256ELj5E21rocsparse_complex_numIfEllEEv20rocsparse_direction_T3_S4_21rocsparse_index_base_PKT1_PKT2_PKS4_S4_S5_PS6_PS9_PS4_.num_named_barrier, 0
	.set _ZN9rocsparseL32bsr2csr_block_per_row_2_7_kernelILj256ELj5E21rocsparse_complex_numIfEllEEv20rocsparse_direction_T3_S4_21rocsparse_index_base_PKT1_PKT2_PKS4_S4_S5_PS6_PS9_PS4_.private_seg_size, 0
	.set _ZN9rocsparseL32bsr2csr_block_per_row_2_7_kernelILj256ELj5E21rocsparse_complex_numIfEllEEv20rocsparse_direction_T3_S4_21rocsparse_index_base_PKT1_PKT2_PKS4_S4_S5_PS6_PS9_PS4_.uses_vcc, 1
	.set _ZN9rocsparseL32bsr2csr_block_per_row_2_7_kernelILj256ELj5E21rocsparse_complex_numIfEllEEv20rocsparse_direction_T3_S4_21rocsparse_index_base_PKT1_PKT2_PKS4_S4_S5_PS6_PS9_PS4_.uses_flat_scratch, 0
	.set _ZN9rocsparseL32bsr2csr_block_per_row_2_7_kernelILj256ELj5E21rocsparse_complex_numIfEllEEv20rocsparse_direction_T3_S4_21rocsparse_index_base_PKT1_PKT2_PKS4_S4_S5_PS6_PS9_PS4_.has_dyn_sized_stack, 0
	.set _ZN9rocsparseL32bsr2csr_block_per_row_2_7_kernelILj256ELj5E21rocsparse_complex_numIfEllEEv20rocsparse_direction_T3_S4_21rocsparse_index_base_PKT1_PKT2_PKS4_S4_S5_PS6_PS9_PS4_.has_recursion, 0
	.set _ZN9rocsparseL32bsr2csr_block_per_row_2_7_kernelILj256ELj5E21rocsparse_complex_numIfEllEEv20rocsparse_direction_T3_S4_21rocsparse_index_base_PKT1_PKT2_PKS4_S4_S5_PS6_PS9_PS4_.has_indirect_call, 0
	.section	.AMDGPU.csdata,"",@progbits
; Kernel info:
; codeLenInByte = 1064
; TotalNumSgprs: 21
; NumVgprs: 37
; ScratchSize: 0
; MemoryBound: 0
; FloatMode: 240
; IeeeMode: 1
; LDSByteSize: 0 bytes/workgroup (compile time only)
; SGPRBlocks: 0
; VGPRBlocks: 4
; NumSGPRsForWavesPerEU: 21
; NumVGPRsForWavesPerEU: 37
; Occupancy: 16
; WaveLimiterHint : 0
; COMPUTE_PGM_RSRC2:SCRATCH_EN: 0
; COMPUTE_PGM_RSRC2:USER_SGPR: 6
; COMPUTE_PGM_RSRC2:TRAP_HANDLER: 0
; COMPUTE_PGM_RSRC2:TGID_X_EN: 1
; COMPUTE_PGM_RSRC2:TGID_Y_EN: 0
; COMPUTE_PGM_RSRC2:TGID_Z_EN: 0
; COMPUTE_PGM_RSRC2:TIDIG_COMP_CNT: 0
	.section	.text._ZN9rocsparseL32bsr2csr_block_per_row_2_7_kernelILj256ELj6E21rocsparse_complex_numIfEllEEv20rocsparse_direction_T3_S4_21rocsparse_index_base_PKT1_PKT2_PKS4_S4_S5_PS6_PS9_PS4_,"axG",@progbits,_ZN9rocsparseL32bsr2csr_block_per_row_2_7_kernelILj256ELj6E21rocsparse_complex_numIfEllEEv20rocsparse_direction_T3_S4_21rocsparse_index_base_PKT1_PKT2_PKS4_S4_S5_PS6_PS9_PS4_,comdat
	.globl	_ZN9rocsparseL32bsr2csr_block_per_row_2_7_kernelILj256ELj6E21rocsparse_complex_numIfEllEEv20rocsparse_direction_T3_S4_21rocsparse_index_base_PKT1_PKT2_PKS4_S4_S5_PS6_PS9_PS4_ ; -- Begin function _ZN9rocsparseL32bsr2csr_block_per_row_2_7_kernelILj256ELj6E21rocsparse_complex_numIfEllEEv20rocsparse_direction_T3_S4_21rocsparse_index_base_PKT1_PKT2_PKS4_S4_S5_PS6_PS9_PS4_
	.p2align	8
	.type	_ZN9rocsparseL32bsr2csr_block_per_row_2_7_kernelILj256ELj6E21rocsparse_complex_numIfEllEEv20rocsparse_direction_T3_S4_21rocsparse_index_base_PKT1_PKT2_PKS4_S4_S5_PS6_PS9_PS4_,@function
_ZN9rocsparseL32bsr2csr_block_per_row_2_7_kernelILj256ELj6E21rocsparse_complex_numIfEllEEv20rocsparse_direction_T3_S4_21rocsparse_index_base_PKT1_PKT2_PKS4_S4_S5_PS6_PS9_PS4_: ; @_ZN9rocsparseL32bsr2csr_block_per_row_2_7_kernelILj256ELj6E21rocsparse_complex_numIfEllEEv20rocsparse_direction_T3_S4_21rocsparse_index_base_PKT1_PKT2_PKS4_S4_S5_PS6_PS9_PS4_
; %bb.0:
	s_clause 0x2
	s_load_dwordx2 s[0:1], s[4:5], 0x28
	s_load_dword s8, s[4:5], 0x40
	s_load_dwordx2 s[12:13], s[4:5], 0x50
	s_mov_b32 s7, 0
	v_or_b32_e32 v1, s6, v0
	s_lshl_b64 s[2:3], s[6:7], 3
	s_waitcnt lgkmcnt(0)
	s_add_u32 s0, s0, s2
	s_addc_u32 s1, s1, s3
	s_mov_b32 s2, exec_lo
	v_cmpx_eq_u32_e32 0, v1
	s_cbranch_execz .LBB200_2
; %bb.1:
	v_mov_b32_e32 v1, s8
	v_mov_b32_e32 v2, 0
	global_store_dwordx2 v2, v[1:2], s[12:13]
.LBB200_2:
	s_or_b32 exec_lo, exec_lo, s2
	v_and_b32_e32 v6, 7, v0
	s_mov_b32 s2, exec_lo
	v_cmpx_gt_u32_e32 6, v6
	s_cbranch_execz .LBB200_6
; %bb.3:
	s_load_dwordx4 s[0:3], s[0:1], 0x0
	s_load_dword s7, s[4:5], 0x18
	v_lshrrev_b32_e32 v7, 3, v0
	v_mov_b32_e32 v3, 0
	s_mul_i32 s16, s6, 48
	v_lshlrev_b32_e32 v2, 3, v6
	s_waitcnt lgkmcnt(0)
	s_sub_u32 s9, s0, s7
	s_subb_u32 s14, s1, 0
	s_sub_u32 s10, s2, s7
	s_mul_hi_u32 s2, s9, 36
	s_mul_i32 s15, s14, 36
	s_subb_u32 s11, s3, 0
	s_add_i32 s2, s2, s15
	s_sub_u32 s3, s10, s9
	s_subb_u32 s17, s11, s14
	s_mul_i32 s15, s3, 6
	s_mul_hi_u32 s3, s3, 6
	v_mad_u64_u32 v[4:5], null, s15, v6, 0
	s_mul_i32 s17, s17, 6
	s_mul_i32 s18, s9, 36
	s_add_i32 s3, s3, s17
	v_mov_b32_e32 v0, v5
	v_mad_u64_u32 v[8:9], null, s3, v6, v[0:1]
	v_add_co_u32 v0, s9, s9, v7
	v_add_co_ci_u32_e64 v1, null, s14, 0, s9
	s_add_u32 s9, s15, s8
	s_addc_u32 s3, s3, 0
	s_add_u32 s9, s9, s18
	s_addc_u32 s2, s3, s2
	v_add_co_u32 v9, vcc_lo, s9, v4
	v_add_co_ci_u32_e64 v10, null, s2, v8, vcc_lo
	v_cmp_gt_i64_e32 vcc_lo, s[10:11], v[0:1]
	v_mov_b32_e32 v5, v8
	s_mul_hi_u32 s3, s6, 48
	s_add_u32 s2, s12, s16
	s_addc_u32 s3, s13, s3
	s_mov_b32 s9, 0
	global_store_dwordx2 v2, v[9:10], s[2:3] offset:8
	s_and_b32 exec_lo, exec_lo, vcc_lo
	s_cbranch_execz .LBB200_6
; %bb.4:
	v_mad_u64_u32 v[4:5], null, s0, 36, v[4:5]
	v_mad_u64_u32 v[10:11], null, 0x120, v0, v[2:3]
	s_load_dwordx2 s[12:13], s[4:5], 0x20
	s_mul_i32 s15, s7, 36
	s_mul_hi_u32 s14, s7, 36
	v_mad_u64_u32 v[8:9], null, s1, 36, v[5:6]
	s_clause 0x3
	s_load_dwordx2 s[0:1], s[4:5], 0x30
	s_load_dwordx2 s[2:3], s[4:5], 0x48
	s_load_dword s6, s[4:5], 0x0
	s_load_dwordx2 s[4:5], s[4:5], 0x58
	v_mul_u32_u24_e32 v9, 40, v6
	v_mov_b32_e32 v5, v8
	v_mul_hi_u32_u24_e32 v8, 40, v6
	v_mad_u64_u32 v[2:3], null, v7, 6, v[4:5]
	v_lshlrev_b64 v[5:6], 3, v[0:1]
	v_mov_b32_e32 v4, v11
	v_mad_u64_u32 v[11:12], null, 0x120, v1, v[4:5]
	v_sub_co_u32 v2, vcc_lo, v2, s15
	v_subrev_co_ci_u32_e64 v3, null, s14, v3, vcc_lo
	s_waitcnt lgkmcnt(0)
	s_cmp_eq_u32 s6, 0
	s_mov_b32 s6, s9
	v_lshlrev_b64 v[12:13], 3, v[2:3]
	v_add_co_u32 v2, vcc_lo, s0, v5
	v_add_co_ci_u32_e64 v3, null, s1, v6, vcc_lo
	v_add_co_u32 v6, vcc_lo, v12, 24
	v_add_co_ci_u32_e64 v7, null, 0, v13, vcc_lo
	v_add_co_u32 v10, vcc_lo, s12, v10
	v_add_co_ci_u32_e64 v11, null, s13, v11, vcc_lo
	v_add_co_u32 v4, vcc_lo, s2, v6
	v_add_co_ci_u32_e64 v5, null, s3, v7, vcc_lo
	v_add_co_u32 v6, vcc_lo, s4, v6
	v_add_co_ci_u32_e64 v7, null, s5, v7, vcc_lo
	s_cselect_b32 vcc_lo, -1, 0
.LBB200_5:                              ; =>This Inner Loop Header: Depth=1
	v_add_co_u32 v14, s0, v10, v9
	v_add_co_ci_u32_e64 v15, null, v11, v8, s0
	v_add_co_u32 v16, s0, v10, 48
	v_add_co_ci_u32_e64 v17, null, 0, v11, s0
	;; [unrolled: 2-line block ×4, first 2 shown]
	v_add_co_u32 v22, s0, 0xc0, v10
	global_load_dwordx2 v[24:25], v[2:3], off
	v_add_co_ci_u32_e64 v23, null, 0, v11, s0
	v_add_co_u32 v26, s0, 0xf0, v10
	v_add_co_ci_u32_e64 v27, null, 0, v11, s0
	v_add_co_u32 v28, s0, v14, 8
	v_add_co_ci_u32_e64 v29, null, 0, v15, s0
	v_add_co_u32 v30, s0, v14, 16
	v_add_co_ci_u32_e64 v31, null, 0, v15, s0
	v_add_co_u32 v32, s0, v14, 24
	v_add_co_ci_u32_e64 v33, null, 0, v15, s0
	v_add_co_u32 v34, s0, v14, 32
	v_add_co_ci_u32_e64 v35, null, 0, v15, s0
	v_add_co_u32 v36, s0, v14, 40
	v_add_co_ci_u32_e64 v37, null, 0, v15, s0
	v_cndmask_b32_e32 v13, v11, v15, vcc_lo
	v_cndmask_b32_e32 v12, v10, v14, vcc_lo
	;; [unrolled: 1-line block ×12, first 2 shown]
	global_load_dwordx2 v[12:13], v[12:13], off
	global_load_dwordx2 v[14:15], v[14:15], off
	;; [unrolled: 1-line block ×6, first 2 shown]
	v_add_co_u32 v0, s0, v0, 32
	v_add_co_ci_u32_e64 v1, null, 0, v1, s0
	v_add_co_u32 v2, s0, 0x100, v2
	v_add_co_ci_u32_e64 v3, null, 0, v3, s0
	;; [unrolled: 2-line block ×3, first 2 shown]
	v_cmp_le_i64_e64 s0, s[10:11], v[0:1]
	s_waitcnt vmcnt(4)
	global_store_dwordx4 v[4:5], v[12:15], off offset:-24
	s_waitcnt vmcnt(2)
	global_store_dwordx4 v[4:5], v[16:19], off offset:-8
	s_waitcnt vmcnt(0)
	global_store_dwordx4 v[4:5], v[20:23], off offset:8
	v_sub_co_u32 v24, s1, v24, s7
	v_subrev_co_ci_u32_e64 v26, null, 0, v25, s1
	v_add_co_u32 v4, s1, 0x600, v4
	v_mad_u64_u32 v[24:25], null, v24, 6, s[8:9]
	v_add_co_ci_u32_e64 v5, null, 0, v5, s1
	s_or_b32 s6, s0, s6
	v_mad_u64_u32 v[25:26], null, v26, 6, v[25:26]
	v_add_co_u32 v26, s5, v24, 1
	v_add_co_u32 v12, s1, v24, 2
	;; [unrolled: 1-line block ×5, first 2 shown]
	v_add_co_ci_u32_e64 v27, null, 0, v25, s5
	v_add_co_ci_u32_e64 v13, null, 0, v25, s1
	;; [unrolled: 1-line block ×5, first 2 shown]
	global_store_dwordx4 v[6:7], v[24:27], off offset:-24
	global_store_dwordx4 v[6:7], v[12:15], off offset:-8
	global_store_dwordx4 v[6:7], v[16:19], off offset:8
	v_add_co_u32 v6, s1, 0x600, v6
	v_add_co_ci_u32_e64 v7, null, 0, v7, s1
	s_andn2_b32 exec_lo, exec_lo, s6
	s_cbranch_execnz .LBB200_5
.LBB200_6:
	s_endpgm
	.section	.rodata,"a",@progbits
	.p2align	6, 0x0
	.amdhsa_kernel _ZN9rocsparseL32bsr2csr_block_per_row_2_7_kernelILj256ELj6E21rocsparse_complex_numIfEllEEv20rocsparse_direction_T3_S4_21rocsparse_index_base_PKT1_PKT2_PKS4_S4_S5_PS6_PS9_PS4_
		.amdhsa_group_segment_fixed_size 0
		.amdhsa_private_segment_fixed_size 0
		.amdhsa_kernarg_size 96
		.amdhsa_user_sgpr_count 6
		.amdhsa_user_sgpr_private_segment_buffer 1
		.amdhsa_user_sgpr_dispatch_ptr 0
		.amdhsa_user_sgpr_queue_ptr 0
		.amdhsa_user_sgpr_kernarg_segment_ptr 1
		.amdhsa_user_sgpr_dispatch_id 0
		.amdhsa_user_sgpr_flat_scratch_init 0
		.amdhsa_user_sgpr_private_segment_size 0
		.amdhsa_wavefront_size32 1
		.amdhsa_uses_dynamic_stack 0
		.amdhsa_system_sgpr_private_segment_wavefront_offset 0
		.amdhsa_system_sgpr_workgroup_id_x 1
		.amdhsa_system_sgpr_workgroup_id_y 0
		.amdhsa_system_sgpr_workgroup_id_z 0
		.amdhsa_system_sgpr_workgroup_info 0
		.amdhsa_system_vgpr_workitem_id 0
		.amdhsa_next_free_vgpr 38
		.amdhsa_next_free_sgpr 19
		.amdhsa_reserve_vcc 1
		.amdhsa_reserve_flat_scratch 0
		.amdhsa_float_round_mode_32 0
		.amdhsa_float_round_mode_16_64 0
		.amdhsa_float_denorm_mode_32 3
		.amdhsa_float_denorm_mode_16_64 3
		.amdhsa_dx10_clamp 1
		.amdhsa_ieee_mode 1
		.amdhsa_fp16_overflow 0
		.amdhsa_workgroup_processor_mode 1
		.amdhsa_memory_ordered 1
		.amdhsa_forward_progress 1
		.amdhsa_shared_vgpr_count 0
		.amdhsa_exception_fp_ieee_invalid_op 0
		.amdhsa_exception_fp_denorm_src 0
		.amdhsa_exception_fp_ieee_div_zero 0
		.amdhsa_exception_fp_ieee_overflow 0
		.amdhsa_exception_fp_ieee_underflow 0
		.amdhsa_exception_fp_ieee_inexact 0
		.amdhsa_exception_int_div_zero 0
	.end_amdhsa_kernel
	.section	.text._ZN9rocsparseL32bsr2csr_block_per_row_2_7_kernelILj256ELj6E21rocsparse_complex_numIfEllEEv20rocsparse_direction_T3_S4_21rocsparse_index_base_PKT1_PKT2_PKS4_S4_S5_PS6_PS9_PS4_,"axG",@progbits,_ZN9rocsparseL32bsr2csr_block_per_row_2_7_kernelILj256ELj6E21rocsparse_complex_numIfEllEEv20rocsparse_direction_T3_S4_21rocsparse_index_base_PKT1_PKT2_PKS4_S4_S5_PS6_PS9_PS4_,comdat
.Lfunc_end200:
	.size	_ZN9rocsparseL32bsr2csr_block_per_row_2_7_kernelILj256ELj6E21rocsparse_complex_numIfEllEEv20rocsparse_direction_T3_S4_21rocsparse_index_base_PKT1_PKT2_PKS4_S4_S5_PS6_PS9_PS4_, .Lfunc_end200-_ZN9rocsparseL32bsr2csr_block_per_row_2_7_kernelILj256ELj6E21rocsparse_complex_numIfEllEEv20rocsparse_direction_T3_S4_21rocsparse_index_base_PKT1_PKT2_PKS4_S4_S5_PS6_PS9_PS4_
                                        ; -- End function
	.set _ZN9rocsparseL32bsr2csr_block_per_row_2_7_kernelILj256ELj6E21rocsparse_complex_numIfEllEEv20rocsparse_direction_T3_S4_21rocsparse_index_base_PKT1_PKT2_PKS4_S4_S5_PS6_PS9_PS4_.num_vgpr, 38
	.set _ZN9rocsparseL32bsr2csr_block_per_row_2_7_kernelILj256ELj6E21rocsparse_complex_numIfEllEEv20rocsparse_direction_T3_S4_21rocsparse_index_base_PKT1_PKT2_PKS4_S4_S5_PS6_PS9_PS4_.num_agpr, 0
	.set _ZN9rocsparseL32bsr2csr_block_per_row_2_7_kernelILj256ELj6E21rocsparse_complex_numIfEllEEv20rocsparse_direction_T3_S4_21rocsparse_index_base_PKT1_PKT2_PKS4_S4_S5_PS6_PS9_PS4_.numbered_sgpr, 19
	.set _ZN9rocsparseL32bsr2csr_block_per_row_2_7_kernelILj256ELj6E21rocsparse_complex_numIfEllEEv20rocsparse_direction_T3_S4_21rocsparse_index_base_PKT1_PKT2_PKS4_S4_S5_PS6_PS9_PS4_.num_named_barrier, 0
	.set _ZN9rocsparseL32bsr2csr_block_per_row_2_7_kernelILj256ELj6E21rocsparse_complex_numIfEllEEv20rocsparse_direction_T3_S4_21rocsparse_index_base_PKT1_PKT2_PKS4_S4_S5_PS6_PS9_PS4_.private_seg_size, 0
	.set _ZN9rocsparseL32bsr2csr_block_per_row_2_7_kernelILj256ELj6E21rocsparse_complex_numIfEllEEv20rocsparse_direction_T3_S4_21rocsparse_index_base_PKT1_PKT2_PKS4_S4_S5_PS6_PS9_PS4_.uses_vcc, 1
	.set _ZN9rocsparseL32bsr2csr_block_per_row_2_7_kernelILj256ELj6E21rocsparse_complex_numIfEllEEv20rocsparse_direction_T3_S4_21rocsparse_index_base_PKT1_PKT2_PKS4_S4_S5_PS6_PS9_PS4_.uses_flat_scratch, 0
	.set _ZN9rocsparseL32bsr2csr_block_per_row_2_7_kernelILj256ELj6E21rocsparse_complex_numIfEllEEv20rocsparse_direction_T3_S4_21rocsparse_index_base_PKT1_PKT2_PKS4_S4_S5_PS6_PS9_PS4_.has_dyn_sized_stack, 0
	.set _ZN9rocsparseL32bsr2csr_block_per_row_2_7_kernelILj256ELj6E21rocsparse_complex_numIfEllEEv20rocsparse_direction_T3_S4_21rocsparse_index_base_PKT1_PKT2_PKS4_S4_S5_PS6_PS9_PS4_.has_recursion, 0
	.set _ZN9rocsparseL32bsr2csr_block_per_row_2_7_kernelILj256ELj6E21rocsparse_complex_numIfEllEEv20rocsparse_direction_T3_S4_21rocsparse_index_base_PKT1_PKT2_PKS4_S4_S5_PS6_PS9_PS4_.has_indirect_call, 0
	.section	.AMDGPU.csdata,"",@progbits
; Kernel info:
; codeLenInByte = 1132
; TotalNumSgprs: 21
; NumVgprs: 38
; ScratchSize: 0
; MemoryBound: 0
; FloatMode: 240
; IeeeMode: 1
; LDSByteSize: 0 bytes/workgroup (compile time only)
; SGPRBlocks: 0
; VGPRBlocks: 4
; NumSGPRsForWavesPerEU: 21
; NumVGPRsForWavesPerEU: 38
; Occupancy: 16
; WaveLimiterHint : 0
; COMPUTE_PGM_RSRC2:SCRATCH_EN: 0
; COMPUTE_PGM_RSRC2:USER_SGPR: 6
; COMPUTE_PGM_RSRC2:TRAP_HANDLER: 0
; COMPUTE_PGM_RSRC2:TGID_X_EN: 1
; COMPUTE_PGM_RSRC2:TGID_Y_EN: 0
; COMPUTE_PGM_RSRC2:TGID_Z_EN: 0
; COMPUTE_PGM_RSRC2:TIDIG_COMP_CNT: 0
	.section	.text._ZN9rocsparseL32bsr2csr_block_per_row_2_7_kernelILj256ELj7E21rocsparse_complex_numIfEllEEv20rocsparse_direction_T3_S4_21rocsparse_index_base_PKT1_PKT2_PKS4_S4_S5_PS6_PS9_PS4_,"axG",@progbits,_ZN9rocsparseL32bsr2csr_block_per_row_2_7_kernelILj256ELj7E21rocsparse_complex_numIfEllEEv20rocsparse_direction_T3_S4_21rocsparse_index_base_PKT1_PKT2_PKS4_S4_S5_PS6_PS9_PS4_,comdat
	.globl	_ZN9rocsparseL32bsr2csr_block_per_row_2_7_kernelILj256ELj7E21rocsparse_complex_numIfEllEEv20rocsparse_direction_T3_S4_21rocsparse_index_base_PKT1_PKT2_PKS4_S4_S5_PS6_PS9_PS4_ ; -- Begin function _ZN9rocsparseL32bsr2csr_block_per_row_2_7_kernelILj256ELj7E21rocsparse_complex_numIfEllEEv20rocsparse_direction_T3_S4_21rocsparse_index_base_PKT1_PKT2_PKS4_S4_S5_PS6_PS9_PS4_
	.p2align	8
	.type	_ZN9rocsparseL32bsr2csr_block_per_row_2_7_kernelILj256ELj7E21rocsparse_complex_numIfEllEEv20rocsparse_direction_T3_S4_21rocsparse_index_base_PKT1_PKT2_PKS4_S4_S5_PS6_PS9_PS4_,@function
_ZN9rocsparseL32bsr2csr_block_per_row_2_7_kernelILj256ELj7E21rocsparse_complex_numIfEllEEv20rocsparse_direction_T3_S4_21rocsparse_index_base_PKT1_PKT2_PKS4_S4_S5_PS6_PS9_PS4_: ; @_ZN9rocsparseL32bsr2csr_block_per_row_2_7_kernelILj256ELj7E21rocsparse_complex_numIfEllEEv20rocsparse_direction_T3_S4_21rocsparse_index_base_PKT1_PKT2_PKS4_S4_S5_PS6_PS9_PS4_
; %bb.0:
	s_clause 0x2
	s_load_dwordx2 s[0:1], s[4:5], 0x28
	s_load_dword s8, s[4:5], 0x40
	s_load_dwordx2 s[12:13], s[4:5], 0x50
	s_mov_b32 s7, 0
	v_or_b32_e32 v1, s6, v0
	s_lshl_b64 s[2:3], s[6:7], 3
	s_waitcnt lgkmcnt(0)
	s_add_u32 s0, s0, s2
	s_addc_u32 s1, s1, s3
	s_mov_b32 s2, exec_lo
	v_cmpx_eq_u32_e32 0, v1
	s_cbranch_execz .LBB201_2
; %bb.1:
	v_mov_b32_e32 v1, s8
	v_mov_b32_e32 v2, 0
	global_store_dwordx2 v2, v[1:2], s[12:13]
.LBB201_2:
	s_or_b32 exec_lo, exec_lo, s2
	v_and_b32_e32 v6, 7, v0
	s_mov_b32 s2, exec_lo
	v_cmpx_ne_u32_e32 7, v6
	s_cbranch_execz .LBB201_6
; %bb.3:
	s_load_dwordx4 s[0:3], s[0:1], 0x0
	s_load_dword s7, s[4:5], 0x18
	v_lshrrev_b32_e32 v7, 3, v0
	v_mov_b32_e32 v3, 0
	s_mul_i32 s16, s6, 56
	v_lshlrev_b32_e32 v2, 3, v6
	s_waitcnt lgkmcnt(0)
	s_sub_u32 s9, s0, s7
	s_subb_u32 s14, s1, 0
	s_sub_u32 s10, s2, s7
	s_mul_hi_u32 s2, s9, 49
	s_mul_i32 s15, s14, 49
	s_subb_u32 s11, s3, 0
	s_add_i32 s2, s2, s15
	s_sub_u32 s3, s10, s9
	s_subb_u32 s17, s11, s14
	s_mul_i32 s15, s3, 7
	s_mul_hi_u32 s3, s3, 7
	v_mad_u64_u32 v[4:5], null, s15, v6, 0
	s_mul_i32 s17, s17, 7
	s_mul_i32 s18, s9, 49
	s_add_i32 s3, s3, s17
	v_mov_b32_e32 v0, v5
	v_mad_u64_u32 v[8:9], null, s3, v6, v[0:1]
	v_add_co_u32 v0, s9, s9, v7
	v_add_co_ci_u32_e64 v1, null, s14, 0, s9
	s_add_u32 s9, s15, s8
	s_addc_u32 s3, s3, 0
	s_add_u32 s9, s9, s18
	s_addc_u32 s2, s3, s2
	v_add_co_u32 v9, vcc_lo, s9, v4
	v_add_co_ci_u32_e64 v10, null, s2, v8, vcc_lo
	v_cmp_gt_i64_e32 vcc_lo, s[10:11], v[0:1]
	v_mov_b32_e32 v5, v8
	s_mul_hi_u32 s3, s6, 56
	s_add_u32 s2, s12, s16
	s_addc_u32 s3, s13, s3
	s_mov_b32 s9, 0
	global_store_dwordx2 v2, v[9:10], s[2:3] offset:8
	s_and_b32 exec_lo, exec_lo, vcc_lo
	s_cbranch_execz .LBB201_6
; %bb.4:
	v_mad_u64_u32 v[4:5], null, s0, 49, v[4:5]
	v_mad_u64_u32 v[10:11], null, 0x188, v0, v[2:3]
	s_load_dwordx2 s[12:13], s[4:5], 0x20
	s_mul_i32 s15, s7, 49
	s_mul_hi_u32 s14, s7, 49
	v_mad_u64_u32 v[8:9], null, s1, 49, v[5:6]
	s_clause 0x3
	s_load_dwordx2 s[0:1], s[4:5], 0x30
	s_load_dwordx2 s[2:3], s[4:5], 0x48
	s_load_dword s6, s[4:5], 0x0
	s_load_dwordx2 s[4:5], s[4:5], 0x58
	v_mul_u32_u24_e32 v9, 48, v6
	v_mov_b32_e32 v5, v8
	v_mul_hi_u32_u24_e32 v8, 48, v6
	v_mad_u64_u32 v[2:3], null, v7, 7, v[4:5]
	v_lshlrev_b64 v[5:6], 3, v[0:1]
	v_mov_b32_e32 v4, v11
	v_mad_u64_u32 v[11:12], null, 0x188, v1, v[4:5]
	v_sub_co_u32 v2, vcc_lo, v2, s15
	v_subrev_co_ci_u32_e64 v3, null, s14, v3, vcc_lo
	s_waitcnt lgkmcnt(0)
	s_cmp_eq_u32 s6, 0
	v_lshlrev_b64 v[12:13], 3, v[2:3]
	v_add_co_u32 v2, vcc_lo, s0, v5
	v_add_co_ci_u32_e64 v3, null, s1, v6, vcc_lo
	v_add_co_u32 v6, vcc_lo, v12, 24
	v_add_co_ci_u32_e64 v7, null, 0, v13, vcc_lo
	;; [unrolled: 2-line block ×5, first 2 shown]
	s_cselect_b32 vcc_lo, -1, 0
	s_mov_b32 s12, s9
.LBB201_5:                              ; =>This Inner Loop Header: Depth=1
	v_add_co_u32 v14, s0, v10, v9
	v_add_co_ci_u32_e64 v15, null, v11, v8, s0
	v_add_co_u32 v16, s0, v10, 56
	v_add_co_ci_u32_e64 v17, null, 0, v11, s0
	;; [unrolled: 2-line block ×9, first 2 shown]
	v_add_co_u32 v34, s0, v14, 24
	global_load_dwordx2 v[24:25], v[2:3], off
	v_add_co_ci_u32_e64 v35, null, 0, v15, s0
	v_add_co_u32 v36, s0, v14, 32
	v_add_co_ci_u32_e64 v37, null, 0, v15, s0
	v_add_co_u32 v38, s0, v14, 40
	;; [unrolled: 2-line block ×3, first 2 shown]
	v_add_co_ci_u32_e64 v41, null, 0, v15, s0
	v_cndmask_b32_e32 v13, v11, v15, vcc_lo
	v_cndmask_b32_e32 v12, v10, v14, vcc_lo
	;; [unrolled: 1-line block ×14, first 2 shown]
	global_load_dwordx2 v[12:13], v[12:13], off
	global_load_dwordx2 v[14:15], v[14:15], off
	;; [unrolled: 1-line block ×7, first 2 shown]
	v_add_co_u32 v0, s0, v0, 32
	v_add_co_ci_u32_e64 v1, null, 0, v1, s0
	v_add_co_u32 v2, s0, 0x100, v2
	v_add_co_ci_u32_e64 v3, null, 0, v3, s0
	v_add_co_u32 v10, s0, 0x3100, v10
	v_add_co_ci_u32_e64 v11, null, 0, v11, s0
	v_cmp_le_i64_e64 s0, s[10:11], v[0:1]
	s_waitcnt vmcnt(5)
	global_store_dwordx4 v[4:5], v[12:15], off offset:-24
	s_waitcnt vmcnt(3)
	global_store_dwordx4 v[4:5], v[16:19], off offset:-8
	s_waitcnt vmcnt(1)
	global_store_dwordx4 v[4:5], v[20:23], off offset:8
	s_waitcnt vmcnt(0)
	global_store_dwordx2 v[4:5], v[26:27], off offset:24
	v_sub_co_u32 v24, s1, v24, s7
	v_subrev_co_ci_u32_e64 v28, null, 0, v25, s1
	v_add_co_u32 v4, s1, 0x700, v4
	v_mad_u64_u32 v[24:25], null, v24, 7, s[8:9]
	v_add_co_ci_u32_e64 v5, null, 0, v5, s1
	s_or_b32 s12, s0, s12
	v_mad_u64_u32 v[25:26], null, v28, 7, v[25:26]
	v_add_co_u32 v26, s6, v24, 1
	v_add_co_u32 v12, s1, v24, 2
	;; [unrolled: 1-line block ×5, first 2 shown]
	v_add_co_ci_u32_e64 v27, null, 0, v25, s6
	v_add_co_u32 v20, s5, v24, 6
	v_add_co_ci_u32_e64 v13, null, 0, v25, s1
	v_add_co_ci_u32_e64 v15, null, 0, v25, s2
	;; [unrolled: 1-line block ×5, first 2 shown]
	global_store_dwordx4 v[6:7], v[24:27], off offset:-24
	global_store_dwordx4 v[6:7], v[12:15], off offset:-8
	global_store_dwordx4 v[6:7], v[16:19], off offset:8
	global_store_dwordx2 v[6:7], v[20:21], off offset:24
	v_add_co_u32 v6, s1, 0x700, v6
	v_add_co_ci_u32_e64 v7, null, 0, v7, s1
	s_andn2_b32 exec_lo, exec_lo, s12
	s_cbranch_execnz .LBB201_5
.LBB201_6:
	s_endpgm
	.section	.rodata,"a",@progbits
	.p2align	6, 0x0
	.amdhsa_kernel _ZN9rocsparseL32bsr2csr_block_per_row_2_7_kernelILj256ELj7E21rocsparse_complex_numIfEllEEv20rocsparse_direction_T3_S4_21rocsparse_index_base_PKT1_PKT2_PKS4_S4_S5_PS6_PS9_PS4_
		.amdhsa_group_segment_fixed_size 0
		.amdhsa_private_segment_fixed_size 0
		.amdhsa_kernarg_size 96
		.amdhsa_user_sgpr_count 6
		.amdhsa_user_sgpr_private_segment_buffer 1
		.amdhsa_user_sgpr_dispatch_ptr 0
		.amdhsa_user_sgpr_queue_ptr 0
		.amdhsa_user_sgpr_kernarg_segment_ptr 1
		.amdhsa_user_sgpr_dispatch_id 0
		.amdhsa_user_sgpr_flat_scratch_init 0
		.amdhsa_user_sgpr_private_segment_size 0
		.amdhsa_wavefront_size32 1
		.amdhsa_uses_dynamic_stack 0
		.amdhsa_system_sgpr_private_segment_wavefront_offset 0
		.amdhsa_system_sgpr_workgroup_id_x 1
		.amdhsa_system_sgpr_workgroup_id_y 0
		.amdhsa_system_sgpr_workgroup_id_z 0
		.amdhsa_system_sgpr_workgroup_info 0
		.amdhsa_system_vgpr_workitem_id 0
		.amdhsa_next_free_vgpr 42
		.amdhsa_next_free_sgpr 19
		.amdhsa_reserve_vcc 1
		.amdhsa_reserve_flat_scratch 0
		.amdhsa_float_round_mode_32 0
		.amdhsa_float_round_mode_16_64 0
		.amdhsa_float_denorm_mode_32 3
		.amdhsa_float_denorm_mode_16_64 3
		.amdhsa_dx10_clamp 1
		.amdhsa_ieee_mode 1
		.amdhsa_fp16_overflow 0
		.amdhsa_workgroup_processor_mode 1
		.amdhsa_memory_ordered 1
		.amdhsa_forward_progress 1
		.amdhsa_shared_vgpr_count 0
		.amdhsa_exception_fp_ieee_invalid_op 0
		.amdhsa_exception_fp_denorm_src 0
		.amdhsa_exception_fp_ieee_div_zero 0
		.amdhsa_exception_fp_ieee_overflow 0
		.amdhsa_exception_fp_ieee_underflow 0
		.amdhsa_exception_fp_ieee_inexact 0
		.amdhsa_exception_int_div_zero 0
	.end_amdhsa_kernel
	.section	.text._ZN9rocsparseL32bsr2csr_block_per_row_2_7_kernelILj256ELj7E21rocsparse_complex_numIfEllEEv20rocsparse_direction_T3_S4_21rocsparse_index_base_PKT1_PKT2_PKS4_S4_S5_PS6_PS9_PS4_,"axG",@progbits,_ZN9rocsparseL32bsr2csr_block_per_row_2_7_kernelILj256ELj7E21rocsparse_complex_numIfEllEEv20rocsparse_direction_T3_S4_21rocsparse_index_base_PKT1_PKT2_PKS4_S4_S5_PS6_PS9_PS4_,comdat
.Lfunc_end201:
	.size	_ZN9rocsparseL32bsr2csr_block_per_row_2_7_kernelILj256ELj7E21rocsparse_complex_numIfEllEEv20rocsparse_direction_T3_S4_21rocsparse_index_base_PKT1_PKT2_PKS4_S4_S5_PS6_PS9_PS4_, .Lfunc_end201-_ZN9rocsparseL32bsr2csr_block_per_row_2_7_kernelILj256ELj7E21rocsparse_complex_numIfEllEEv20rocsparse_direction_T3_S4_21rocsparse_index_base_PKT1_PKT2_PKS4_S4_S5_PS6_PS9_PS4_
                                        ; -- End function
	.set _ZN9rocsparseL32bsr2csr_block_per_row_2_7_kernelILj256ELj7E21rocsparse_complex_numIfEllEEv20rocsparse_direction_T3_S4_21rocsparse_index_base_PKT1_PKT2_PKS4_S4_S5_PS6_PS9_PS4_.num_vgpr, 42
	.set _ZN9rocsparseL32bsr2csr_block_per_row_2_7_kernelILj256ELj7E21rocsparse_complex_numIfEllEEv20rocsparse_direction_T3_S4_21rocsparse_index_base_PKT1_PKT2_PKS4_S4_S5_PS6_PS9_PS4_.num_agpr, 0
	.set _ZN9rocsparseL32bsr2csr_block_per_row_2_7_kernelILj256ELj7E21rocsparse_complex_numIfEllEEv20rocsparse_direction_T3_S4_21rocsparse_index_base_PKT1_PKT2_PKS4_S4_S5_PS6_PS9_PS4_.numbered_sgpr, 19
	.set _ZN9rocsparseL32bsr2csr_block_per_row_2_7_kernelILj256ELj7E21rocsparse_complex_numIfEllEEv20rocsparse_direction_T3_S4_21rocsparse_index_base_PKT1_PKT2_PKS4_S4_S5_PS6_PS9_PS4_.num_named_barrier, 0
	.set _ZN9rocsparseL32bsr2csr_block_per_row_2_7_kernelILj256ELj7E21rocsparse_complex_numIfEllEEv20rocsparse_direction_T3_S4_21rocsparse_index_base_PKT1_PKT2_PKS4_S4_S5_PS6_PS9_PS4_.private_seg_size, 0
	.set _ZN9rocsparseL32bsr2csr_block_per_row_2_7_kernelILj256ELj7E21rocsparse_complex_numIfEllEEv20rocsparse_direction_T3_S4_21rocsparse_index_base_PKT1_PKT2_PKS4_S4_S5_PS6_PS9_PS4_.uses_vcc, 1
	.set _ZN9rocsparseL32bsr2csr_block_per_row_2_7_kernelILj256ELj7E21rocsparse_complex_numIfEllEEv20rocsparse_direction_T3_S4_21rocsparse_index_base_PKT1_PKT2_PKS4_S4_S5_PS6_PS9_PS4_.uses_flat_scratch, 0
	.set _ZN9rocsparseL32bsr2csr_block_per_row_2_7_kernelILj256ELj7E21rocsparse_complex_numIfEllEEv20rocsparse_direction_T3_S4_21rocsparse_index_base_PKT1_PKT2_PKS4_S4_S5_PS6_PS9_PS4_.has_dyn_sized_stack, 0
	.set _ZN9rocsparseL32bsr2csr_block_per_row_2_7_kernelILj256ELj7E21rocsparse_complex_numIfEllEEv20rocsparse_direction_T3_S4_21rocsparse_index_base_PKT1_PKT2_PKS4_S4_S5_PS6_PS9_PS4_.has_recursion, 0
	.set _ZN9rocsparseL32bsr2csr_block_per_row_2_7_kernelILj256ELj7E21rocsparse_complex_numIfEllEEv20rocsparse_direction_T3_S4_21rocsparse_index_base_PKT1_PKT2_PKS4_S4_S5_PS6_PS9_PS4_.has_indirect_call, 0
	.section	.AMDGPU.csdata,"",@progbits
; Kernel info:
; codeLenInByte = 1220
; TotalNumSgprs: 21
; NumVgprs: 42
; ScratchSize: 0
; MemoryBound: 0
; FloatMode: 240
; IeeeMode: 1
; LDSByteSize: 0 bytes/workgroup (compile time only)
; SGPRBlocks: 0
; VGPRBlocks: 5
; NumSGPRsForWavesPerEU: 21
; NumVGPRsForWavesPerEU: 42
; Occupancy: 16
; WaveLimiterHint : 0
; COMPUTE_PGM_RSRC2:SCRATCH_EN: 0
; COMPUTE_PGM_RSRC2:USER_SGPR: 6
; COMPUTE_PGM_RSRC2:TRAP_HANDLER: 0
; COMPUTE_PGM_RSRC2:TGID_X_EN: 1
; COMPUTE_PGM_RSRC2:TGID_Y_EN: 0
; COMPUTE_PGM_RSRC2:TGID_Z_EN: 0
; COMPUTE_PGM_RSRC2:TIDIG_COMP_CNT: 0
	.section	.text._ZN9rocsparseL33bsr2csr_block_per_row_8_32_kernelILj1024ELj8E21rocsparse_complex_numIfEllEEv20rocsparse_direction_T3_S4_21rocsparse_index_base_PKT1_PKT2_PKS4_S4_S5_PS6_PS9_PS4_,"axG",@progbits,_ZN9rocsparseL33bsr2csr_block_per_row_8_32_kernelILj1024ELj8E21rocsparse_complex_numIfEllEEv20rocsparse_direction_T3_S4_21rocsparse_index_base_PKT1_PKT2_PKS4_S4_S5_PS6_PS9_PS4_,comdat
	.globl	_ZN9rocsparseL33bsr2csr_block_per_row_8_32_kernelILj1024ELj8E21rocsparse_complex_numIfEllEEv20rocsparse_direction_T3_S4_21rocsparse_index_base_PKT1_PKT2_PKS4_S4_S5_PS6_PS9_PS4_ ; -- Begin function _ZN9rocsparseL33bsr2csr_block_per_row_8_32_kernelILj1024ELj8E21rocsparse_complex_numIfEllEEv20rocsparse_direction_T3_S4_21rocsparse_index_base_PKT1_PKT2_PKS4_S4_S5_PS6_PS9_PS4_
	.p2align	8
	.type	_ZN9rocsparseL33bsr2csr_block_per_row_8_32_kernelILj1024ELj8E21rocsparse_complex_numIfEllEEv20rocsparse_direction_T3_S4_21rocsparse_index_base_PKT1_PKT2_PKS4_S4_S5_PS6_PS9_PS4_,@function
_ZN9rocsparseL33bsr2csr_block_per_row_8_32_kernelILj1024ELj8E21rocsparse_complex_numIfEllEEv20rocsparse_direction_T3_S4_21rocsparse_index_base_PKT1_PKT2_PKS4_S4_S5_PS6_PS9_PS4_: ; @_ZN9rocsparseL33bsr2csr_block_per_row_8_32_kernelILj1024ELj8E21rocsparse_complex_numIfEllEEv20rocsparse_direction_T3_S4_21rocsparse_index_base_PKT1_PKT2_PKS4_S4_S5_PS6_PS9_PS4_
; %bb.0:
	s_clause 0x2
	s_load_dwordx2 s[0:1], s[4:5], 0x28
	s_load_dword s12, s[4:5], 0x40
	s_load_dwordx2 s[10:11], s[4:5], 0x50
	s_mov_b32 s7, 0
	v_or_b32_e32 v1, s6, v0
	s_lshl_b64 s[2:3], s[6:7], 3
	s_waitcnt lgkmcnt(0)
	s_add_u32 s8, s0, s2
	s_addc_u32 s9, s1, s3
	s_mov_b32 s0, exec_lo
	v_cmpx_eq_u32_e32 0, v1
	s_cbranch_execz .LBB202_2
; %bb.1:
	v_mov_b32_e32 v1, s12
	v_mov_b32_e32 v2, 0
	global_store_dwordx2 v2, v[1:2], s[10:11]
.LBB202_2:
	s_or_b32 exec_lo, exec_lo, s0
	s_load_dwordx2 s[2:3], s[4:5], 0x38
	v_mov_b32_e32 v3, 0
	v_bfe_u32 v4, v0, 3, 3
	v_and_b32_e32 v2, 7, v0
	v_mov_b32_e32 v5, v3
	s_waitcnt lgkmcnt(0)
	v_cmp_gt_i64_e32 vcc_lo, s[2:3], v[4:5]
	v_cmp_gt_i64_e64 s0, s[2:3], v[2:3]
	s_and_b32 s0, vcc_lo, s0
	s_and_saveexec_b32 s1, s0
	s_cbranch_execz .LBB202_6
; %bb.3:
	s_load_dwordx4 s[16:19], s[8:9], 0x0
	s_load_dword s14, s[4:5], 0x18
	s_mul_i32 s1, s2, s3
	s_mul_hi_u32 s0, s2, s2
	v_lshrrev_b32_e32 v5, 6, v0
	s_waitcnt lgkmcnt(0)
	s_sub_u32 s16, s16, s14
	s_subb_u32 s7, s17, 0
	s_sub_u32 s8, s18, s14
	s_subb_u32 s9, s19, 0
	s_add_i32 s13, s0, s1
	s_mul_i32 s0, s2, s2
	s_add_i32 s1, s13, s1
	s_mul_hi_u32 s13, s16, s0
	s_mul_i32 s15, s16, s1
	s_mul_i32 s17, s7, s0
	s_add_i32 s13, s13, s15
	s_mul_i32 s15, s16, s0
	s_add_i32 s19, s13, s17
	s_sub_u32 s17, s8, s16
	s_subb_u32 s13, s9, s7
	s_mul_i32 s18, s17, s3
	s_mul_hi_u32 s20, s17, s2
	s_mul_i32 s21, s13, s2
	s_add_i32 s18, s20, s18
	s_mul_i32 s20, s17, s2
	s_add_i32 s21, s18, s21
	s_add_u32 s18, s20, s12
	s_addc_u32 s22, s21, 0
	s_add_u32 s18, s18, s15
	s_addc_u32 s19, s22, s19
	s_mul_i32 s15, s3, s6
	v_mad_u64_u32 v[8:9], null, s20, v4, s[18:19]
	s_mul_hi_u32 s19, s2, s6
	s_mul_i32 s18, s2, s6
	s_add_i32 s19, s19, s15
	s_mov_b32 s15, 0
	s_lshl_b64 s[18:19], s[18:19], 3
	v_mov_b32_e32 v0, v9
	s_add_u32 s10, s10, s18
	s_addc_u32 s11, s11, s19
	v_mad_u64_u32 v[6:7], null, s21, v4, v[0:1]
	v_add_co_u32 v0, s6, s16, v5
	v_add_co_ci_u32_e64 v1, null, s7, 0, s6
	v_lshlrev_b32_e32 v7, 3, v4
	v_mov_b32_e32 v9, v6
	v_cmp_gt_i64_e32 vcc_lo, s[8:9], v[0:1]
	v_mov_b32_e32 v6, v3
	global_store_dwordx2 v7, v[8:9], s[10:11] offset:8
	s_and_b32 exec_lo, exec_lo, vcc_lo
	s_cbranch_execz .LBB202_6
; %bb.4:
	v_mad_u64_u32 v[8:9], null, s2, v2, 0
	v_mad_u64_u32 v[10:11], null, s2, v4, 0
	;; [unrolled: 1-line block ×3, first 2 shown]
	s_load_dwordx2 s[10:11], s[4:5], 0x20
	s_mul_i32 s6, s3, s16
	v_mov_b32_e32 v3, v9
	s_mul_i32 s7, s2, s7
	v_mov_b32_e32 v9, v11
	v_mul_lo_u32 v14, s0, v1
	v_add3_u32 v6, s7, s6, v6
	v_mad_u64_u32 v[11:12], null, s3, v2, v[3:4]
	v_mad_u64_u32 v[12:13], null, s3, v4, v[9:10]
	;; [unrolled: 1-line block ×3, first 2 shown]
	s_clause 0x2
	s_load_dwordx2 s[16:17], s[4:5], 0x30
	s_load_dwordx2 s[6:7], s[4:5], 0x48
	s_load_dword s18, s[4:5], 0x0
	v_mul_lo_u32 v13, s1, v0
	v_mov_b32_e32 v9, v11
	s_load_dwordx2 s[4:5], s[4:5], 0x58
	v_mov_b32_e32 v11, v12
	v_lshlrev_b32_e32 v12, 3, v2
	v_mov_b32_e32 v3, v6
	v_lshlrev_b64 v[8:9], 3, v[8:9]
	v_mul_lo_u32 v15, s3, v5
	v_lshlrev_b64 v[10:11], 3, v[10:11]
	v_mad_u64_u32 v[3:4], null, s13, v4, v[3:4]
	s_waitcnt lgkmcnt(0)
	v_add_co_u32 v6, vcc_lo, s10, v8
	v_add_co_ci_u32_e64 v8, null, s11, v9, vcc_lo
	v_add_co_u32 v9, vcc_lo, s10, v10
	v_add_co_ci_u32_e64 v10, null, s11, v11, vcc_lo
	v_add_co_u32 v11, vcc_lo, v6, v7
	v_mad_u64_u32 v[6:7], null, s0, v0, 0
	v_mul_lo_u32 v3, s2, v3
	v_mad_u64_u32 v[4:5], null, s2, v5, 0
	v_add_co_ci_u32_e64 v8, null, 0, v8, vcc_lo
	v_add_co_u32 v9, vcc_lo, v9, v12
	v_add3_u32 v7, v7, v14, v13
	s_cmp_eq_u32 s18, 0
	v_add_co_ci_u32_e64 v10, null, 0, v10, vcc_lo
	s_cselect_b32 vcc_lo, -1, 0
	v_lshlrev_b64 v[6:7], 3, v[6:7]
	v_cndmask_b32_e32 v11, v11, v9, vcc_lo
	v_add3_u32 v5, v5, v3, v15
	v_cndmask_b32_e32 v10, v8, v10, vcc_lo
	v_add_co_u32 v2, s10, v2, s12
	v_add_co_ci_u32_e64 v3, null, 0, 0, s10
	v_lshlrev_b64 v[8:9], 3, v[4:5]
	v_add_co_u32 v4, vcc_lo, v11, v6
	v_add_co_ci_u32_e64 v5, null, v10, v7, vcc_lo
	v_lshlrev_b64 v[6:7], 3, v[0:1]
	v_add_co_u32 v8, vcc_lo, v8, v12
	v_add_co_ci_u32_e64 v9, null, 0, v9, vcc_lo
	s_lshl_b64 s[10:11], s[0:1], 7
	v_add_co_u32 v6, vcc_lo, s16, v6
	v_add_co_ci_u32_e64 v7, null, s17, v7, vcc_lo
	s_lshl_b64 s[12:13], s[2:3], 7
.LBB202_5:                              ; =>This Inner Loop Header: Depth=1
	global_load_dwordx2 v[10:11], v[6:7], off
	global_load_dwordx2 v[12:13], v[4:5], off
	v_add_co_u32 v14, vcc_lo, s4, v8
	v_add_co_ci_u32_e64 v15, null, s5, v9, vcc_lo
	v_add_co_u32 v16, vcc_lo, s6, v8
	v_add_co_ci_u32_e64 v17, null, s7, v9, vcc_lo
	;; [unrolled: 2-line block ×4, first 2 shown]
	v_add_co_u32 v6, s0, 0x80, v6
	v_add_co_ci_u32_e64 v7, null, 0, v7, s0
	s_waitcnt vmcnt(1)
	v_sub_co_u32 v10, vcc_lo, v10, s14
	v_subrev_co_ci_u32_e64 v11, null, 0, v11, vcc_lo
	v_add_co_u32 v8, vcc_lo, v8, s12
	v_mul_lo_u32 v18, v10, s3
	v_mul_lo_u32 v19, v11, s2
	v_mad_u64_u32 v[10:11], null, v10, s2, v[2:3]
	v_add_co_ci_u32_e64 v9, null, s13, v9, vcc_lo
	v_cmp_le_i64_e32 vcc_lo, s[8:9], v[0:1]
	v_add3_u32 v11, v19, v11, v18
	s_waitcnt vmcnt(0)
	global_store_dwordx2 v[16:17], v[12:13], off
	global_store_dwordx2 v[14:15], v[10:11], off
	s_or_b32 s15, vcc_lo, s15
	s_andn2_b32 exec_lo, exec_lo, s15
	s_cbranch_execnz .LBB202_5
.LBB202_6:
	s_endpgm
	.section	.rodata,"a",@progbits
	.p2align	6, 0x0
	.amdhsa_kernel _ZN9rocsparseL33bsr2csr_block_per_row_8_32_kernelILj1024ELj8E21rocsparse_complex_numIfEllEEv20rocsparse_direction_T3_S4_21rocsparse_index_base_PKT1_PKT2_PKS4_S4_S5_PS6_PS9_PS4_
		.amdhsa_group_segment_fixed_size 0
		.amdhsa_private_segment_fixed_size 0
		.amdhsa_kernarg_size 96
		.amdhsa_user_sgpr_count 6
		.amdhsa_user_sgpr_private_segment_buffer 1
		.amdhsa_user_sgpr_dispatch_ptr 0
		.amdhsa_user_sgpr_queue_ptr 0
		.amdhsa_user_sgpr_kernarg_segment_ptr 1
		.amdhsa_user_sgpr_dispatch_id 0
		.amdhsa_user_sgpr_flat_scratch_init 0
		.amdhsa_user_sgpr_private_segment_size 0
		.amdhsa_wavefront_size32 1
		.amdhsa_uses_dynamic_stack 0
		.amdhsa_system_sgpr_private_segment_wavefront_offset 0
		.amdhsa_system_sgpr_workgroup_id_x 1
		.amdhsa_system_sgpr_workgroup_id_y 0
		.amdhsa_system_sgpr_workgroup_id_z 0
		.amdhsa_system_sgpr_workgroup_info 0
		.amdhsa_system_vgpr_workitem_id 0
		.amdhsa_next_free_vgpr 20
		.amdhsa_next_free_sgpr 23
		.amdhsa_reserve_vcc 1
		.amdhsa_reserve_flat_scratch 0
		.amdhsa_float_round_mode_32 0
		.amdhsa_float_round_mode_16_64 0
		.amdhsa_float_denorm_mode_32 3
		.amdhsa_float_denorm_mode_16_64 3
		.amdhsa_dx10_clamp 1
		.amdhsa_ieee_mode 1
		.amdhsa_fp16_overflow 0
		.amdhsa_workgroup_processor_mode 1
		.amdhsa_memory_ordered 1
		.amdhsa_forward_progress 1
		.amdhsa_shared_vgpr_count 0
		.amdhsa_exception_fp_ieee_invalid_op 0
		.amdhsa_exception_fp_denorm_src 0
		.amdhsa_exception_fp_ieee_div_zero 0
		.amdhsa_exception_fp_ieee_overflow 0
		.amdhsa_exception_fp_ieee_underflow 0
		.amdhsa_exception_fp_ieee_inexact 0
		.amdhsa_exception_int_div_zero 0
	.end_amdhsa_kernel
	.section	.text._ZN9rocsparseL33bsr2csr_block_per_row_8_32_kernelILj1024ELj8E21rocsparse_complex_numIfEllEEv20rocsparse_direction_T3_S4_21rocsparse_index_base_PKT1_PKT2_PKS4_S4_S5_PS6_PS9_PS4_,"axG",@progbits,_ZN9rocsparseL33bsr2csr_block_per_row_8_32_kernelILj1024ELj8E21rocsparse_complex_numIfEllEEv20rocsparse_direction_T3_S4_21rocsparse_index_base_PKT1_PKT2_PKS4_S4_S5_PS6_PS9_PS4_,comdat
.Lfunc_end202:
	.size	_ZN9rocsparseL33bsr2csr_block_per_row_8_32_kernelILj1024ELj8E21rocsparse_complex_numIfEllEEv20rocsparse_direction_T3_S4_21rocsparse_index_base_PKT1_PKT2_PKS4_S4_S5_PS6_PS9_PS4_, .Lfunc_end202-_ZN9rocsparseL33bsr2csr_block_per_row_8_32_kernelILj1024ELj8E21rocsparse_complex_numIfEllEEv20rocsparse_direction_T3_S4_21rocsparse_index_base_PKT1_PKT2_PKS4_S4_S5_PS6_PS9_PS4_
                                        ; -- End function
	.set _ZN9rocsparseL33bsr2csr_block_per_row_8_32_kernelILj1024ELj8E21rocsparse_complex_numIfEllEEv20rocsparse_direction_T3_S4_21rocsparse_index_base_PKT1_PKT2_PKS4_S4_S5_PS6_PS9_PS4_.num_vgpr, 20
	.set _ZN9rocsparseL33bsr2csr_block_per_row_8_32_kernelILj1024ELj8E21rocsparse_complex_numIfEllEEv20rocsparse_direction_T3_S4_21rocsparse_index_base_PKT1_PKT2_PKS4_S4_S5_PS6_PS9_PS4_.num_agpr, 0
	.set _ZN9rocsparseL33bsr2csr_block_per_row_8_32_kernelILj1024ELj8E21rocsparse_complex_numIfEllEEv20rocsparse_direction_T3_S4_21rocsparse_index_base_PKT1_PKT2_PKS4_S4_S5_PS6_PS9_PS4_.numbered_sgpr, 23
	.set _ZN9rocsparseL33bsr2csr_block_per_row_8_32_kernelILj1024ELj8E21rocsparse_complex_numIfEllEEv20rocsparse_direction_T3_S4_21rocsparse_index_base_PKT1_PKT2_PKS4_S4_S5_PS6_PS9_PS4_.num_named_barrier, 0
	.set _ZN9rocsparseL33bsr2csr_block_per_row_8_32_kernelILj1024ELj8E21rocsparse_complex_numIfEllEEv20rocsparse_direction_T3_S4_21rocsparse_index_base_PKT1_PKT2_PKS4_S4_S5_PS6_PS9_PS4_.private_seg_size, 0
	.set _ZN9rocsparseL33bsr2csr_block_per_row_8_32_kernelILj1024ELj8E21rocsparse_complex_numIfEllEEv20rocsparse_direction_T3_S4_21rocsparse_index_base_PKT1_PKT2_PKS4_S4_S5_PS6_PS9_PS4_.uses_vcc, 1
	.set _ZN9rocsparseL33bsr2csr_block_per_row_8_32_kernelILj1024ELj8E21rocsparse_complex_numIfEllEEv20rocsparse_direction_T3_S4_21rocsparse_index_base_PKT1_PKT2_PKS4_S4_S5_PS6_PS9_PS4_.uses_flat_scratch, 0
	.set _ZN9rocsparseL33bsr2csr_block_per_row_8_32_kernelILj1024ELj8E21rocsparse_complex_numIfEllEEv20rocsparse_direction_T3_S4_21rocsparse_index_base_PKT1_PKT2_PKS4_S4_S5_PS6_PS9_PS4_.has_dyn_sized_stack, 0
	.set _ZN9rocsparseL33bsr2csr_block_per_row_8_32_kernelILj1024ELj8E21rocsparse_complex_numIfEllEEv20rocsparse_direction_T3_S4_21rocsparse_index_base_PKT1_PKT2_PKS4_S4_S5_PS6_PS9_PS4_.has_recursion, 0
	.set _ZN9rocsparseL33bsr2csr_block_per_row_8_32_kernelILj1024ELj8E21rocsparse_complex_numIfEllEEv20rocsparse_direction_T3_S4_21rocsparse_index_base_PKT1_PKT2_PKS4_S4_S5_PS6_PS9_PS4_.has_indirect_call, 0
	.section	.AMDGPU.csdata,"",@progbits
; Kernel info:
; codeLenInByte = 980
; TotalNumSgprs: 25
; NumVgprs: 20
; ScratchSize: 0
; MemoryBound: 0
; FloatMode: 240
; IeeeMode: 1
; LDSByteSize: 0 bytes/workgroup (compile time only)
; SGPRBlocks: 0
; VGPRBlocks: 2
; NumSGPRsForWavesPerEU: 25
; NumVGPRsForWavesPerEU: 20
; Occupancy: 16
; WaveLimiterHint : 0
; COMPUTE_PGM_RSRC2:SCRATCH_EN: 0
; COMPUTE_PGM_RSRC2:USER_SGPR: 6
; COMPUTE_PGM_RSRC2:TRAP_HANDLER: 0
; COMPUTE_PGM_RSRC2:TGID_X_EN: 1
; COMPUTE_PGM_RSRC2:TGID_Y_EN: 0
; COMPUTE_PGM_RSRC2:TGID_Z_EN: 0
; COMPUTE_PGM_RSRC2:TIDIG_COMP_CNT: 0
	.section	.text._ZN9rocsparseL33bsr2csr_block_per_row_8_32_kernelILj1024ELj16E21rocsparse_complex_numIfEllEEv20rocsparse_direction_T3_S4_21rocsparse_index_base_PKT1_PKT2_PKS4_S4_S5_PS6_PS9_PS4_,"axG",@progbits,_ZN9rocsparseL33bsr2csr_block_per_row_8_32_kernelILj1024ELj16E21rocsparse_complex_numIfEllEEv20rocsparse_direction_T3_S4_21rocsparse_index_base_PKT1_PKT2_PKS4_S4_S5_PS6_PS9_PS4_,comdat
	.globl	_ZN9rocsparseL33bsr2csr_block_per_row_8_32_kernelILj1024ELj16E21rocsparse_complex_numIfEllEEv20rocsparse_direction_T3_S4_21rocsparse_index_base_PKT1_PKT2_PKS4_S4_S5_PS6_PS9_PS4_ ; -- Begin function _ZN9rocsparseL33bsr2csr_block_per_row_8_32_kernelILj1024ELj16E21rocsparse_complex_numIfEllEEv20rocsparse_direction_T3_S4_21rocsparse_index_base_PKT1_PKT2_PKS4_S4_S5_PS6_PS9_PS4_
	.p2align	8
	.type	_ZN9rocsparseL33bsr2csr_block_per_row_8_32_kernelILj1024ELj16E21rocsparse_complex_numIfEllEEv20rocsparse_direction_T3_S4_21rocsparse_index_base_PKT1_PKT2_PKS4_S4_S5_PS6_PS9_PS4_,@function
_ZN9rocsparseL33bsr2csr_block_per_row_8_32_kernelILj1024ELj16E21rocsparse_complex_numIfEllEEv20rocsparse_direction_T3_S4_21rocsparse_index_base_PKT1_PKT2_PKS4_S4_S5_PS6_PS9_PS4_: ; @_ZN9rocsparseL33bsr2csr_block_per_row_8_32_kernelILj1024ELj16E21rocsparse_complex_numIfEllEEv20rocsparse_direction_T3_S4_21rocsparse_index_base_PKT1_PKT2_PKS4_S4_S5_PS6_PS9_PS4_
; %bb.0:
	s_clause 0x2
	s_load_dwordx2 s[0:1], s[4:5], 0x28
	s_load_dword s12, s[4:5], 0x40
	s_load_dwordx2 s[10:11], s[4:5], 0x50
	s_mov_b32 s7, 0
	v_or_b32_e32 v1, s6, v0
	s_lshl_b64 s[2:3], s[6:7], 3
	s_waitcnt lgkmcnt(0)
	s_add_u32 s8, s0, s2
	s_addc_u32 s9, s1, s3
	s_mov_b32 s0, exec_lo
	v_cmpx_eq_u32_e32 0, v1
	s_cbranch_execz .LBB203_2
; %bb.1:
	v_mov_b32_e32 v1, s12
	v_mov_b32_e32 v2, 0
	global_store_dwordx2 v2, v[1:2], s[10:11]
.LBB203_2:
	s_or_b32 exec_lo, exec_lo, s0
	s_load_dwordx2 s[2:3], s[4:5], 0x38
	v_mov_b32_e32 v3, 0
	v_bfe_u32 v4, v0, 4, 4
	v_and_b32_e32 v2, 15, v0
	v_mov_b32_e32 v5, v3
	s_waitcnt lgkmcnt(0)
	v_cmp_gt_i64_e32 vcc_lo, s[2:3], v[4:5]
	v_cmp_gt_i64_e64 s0, s[2:3], v[2:3]
	s_and_b32 s0, vcc_lo, s0
	s_and_saveexec_b32 s1, s0
	s_cbranch_execz .LBB203_6
; %bb.3:
	s_load_dwordx4 s[16:19], s[8:9], 0x0
	s_load_dword s14, s[4:5], 0x18
	s_mul_i32 s1, s2, s3
	s_mul_hi_u32 s0, s2, s2
	v_lshrrev_b32_e32 v5, 8, v0
	s_waitcnt lgkmcnt(0)
	s_sub_u32 s16, s16, s14
	s_subb_u32 s7, s17, 0
	s_sub_u32 s8, s18, s14
	s_subb_u32 s9, s19, 0
	s_add_i32 s13, s0, s1
	s_mul_i32 s0, s2, s2
	s_add_i32 s1, s13, s1
	s_mul_hi_u32 s13, s16, s0
	s_mul_i32 s15, s16, s1
	s_mul_i32 s17, s7, s0
	s_add_i32 s13, s13, s15
	s_mul_i32 s15, s16, s0
	s_add_i32 s19, s13, s17
	s_sub_u32 s17, s8, s16
	s_subb_u32 s13, s9, s7
	s_mul_i32 s18, s17, s3
	s_mul_hi_u32 s20, s17, s2
	s_mul_i32 s21, s13, s2
	s_add_i32 s18, s20, s18
	s_mul_i32 s20, s17, s2
	s_add_i32 s21, s18, s21
	s_add_u32 s18, s20, s12
	s_addc_u32 s22, s21, 0
	s_add_u32 s18, s18, s15
	s_addc_u32 s19, s22, s19
	s_mul_i32 s15, s3, s6
	v_mad_u64_u32 v[8:9], null, s20, v4, s[18:19]
	s_mul_hi_u32 s19, s2, s6
	s_mul_i32 s18, s2, s6
	s_add_i32 s19, s19, s15
	s_mov_b32 s15, 0
	s_lshl_b64 s[18:19], s[18:19], 3
	v_mov_b32_e32 v0, v9
	s_add_u32 s10, s10, s18
	s_addc_u32 s11, s11, s19
	v_mad_u64_u32 v[6:7], null, s21, v4, v[0:1]
	v_add_co_u32 v0, s6, s16, v5
	v_add_co_ci_u32_e64 v1, null, s7, 0, s6
	v_lshlrev_b32_e32 v7, 3, v4
	v_mov_b32_e32 v9, v6
	v_cmp_gt_i64_e32 vcc_lo, s[8:9], v[0:1]
	v_mov_b32_e32 v6, v3
	global_store_dwordx2 v7, v[8:9], s[10:11] offset:8
	s_and_b32 exec_lo, exec_lo, vcc_lo
	s_cbranch_execz .LBB203_6
; %bb.4:
	v_mad_u64_u32 v[8:9], null, s2, v2, 0
	v_mad_u64_u32 v[10:11], null, s2, v4, 0
	v_mad_u64_u32 v[5:6], null, s2, s16, v[5:6]
	s_load_dwordx2 s[10:11], s[4:5], 0x20
	s_mul_i32 s6, s3, s16
	v_mov_b32_e32 v3, v9
	s_mul_i32 s7, s2, s7
	v_mov_b32_e32 v9, v11
	v_mul_lo_u32 v14, s0, v1
	v_add3_u32 v6, s7, s6, v6
	v_mad_u64_u32 v[11:12], null, s3, v2, v[3:4]
	v_mad_u64_u32 v[12:13], null, s3, v4, v[9:10]
	;; [unrolled: 1-line block ×3, first 2 shown]
	s_clause 0x2
	s_load_dwordx2 s[16:17], s[4:5], 0x30
	s_load_dwordx2 s[6:7], s[4:5], 0x48
	s_load_dword s18, s[4:5], 0x0
	v_mul_lo_u32 v13, s1, v0
	v_mov_b32_e32 v9, v11
	s_load_dwordx2 s[4:5], s[4:5], 0x58
	v_mov_b32_e32 v11, v12
	v_lshlrev_b32_e32 v12, 3, v2
	v_mov_b32_e32 v3, v6
	v_lshlrev_b64 v[8:9], 3, v[8:9]
	v_mul_lo_u32 v15, s3, v5
	v_lshlrev_b64 v[10:11], 3, v[10:11]
	v_mad_u64_u32 v[3:4], null, s13, v4, v[3:4]
	s_waitcnt lgkmcnt(0)
	v_add_co_u32 v6, vcc_lo, s10, v8
	v_add_co_ci_u32_e64 v8, null, s11, v9, vcc_lo
	v_add_co_u32 v9, vcc_lo, s10, v10
	v_add_co_ci_u32_e64 v10, null, s11, v11, vcc_lo
	v_add_co_u32 v11, vcc_lo, v6, v7
	v_mad_u64_u32 v[6:7], null, s0, v0, 0
	v_mul_lo_u32 v3, s2, v3
	v_mad_u64_u32 v[4:5], null, s2, v5, 0
	v_add_co_ci_u32_e64 v8, null, 0, v8, vcc_lo
	v_add_co_u32 v9, vcc_lo, v9, v12
	v_add3_u32 v7, v7, v14, v13
	s_cmp_eq_u32 s18, 0
	v_add_co_ci_u32_e64 v10, null, 0, v10, vcc_lo
	s_cselect_b32 vcc_lo, -1, 0
	v_lshlrev_b64 v[6:7], 3, v[6:7]
	v_cndmask_b32_e32 v11, v11, v9, vcc_lo
	v_add3_u32 v5, v5, v3, v15
	v_cndmask_b32_e32 v10, v8, v10, vcc_lo
	v_add_co_u32 v2, s10, v2, s12
	v_add_co_ci_u32_e64 v3, null, 0, 0, s10
	v_lshlrev_b64 v[8:9], 3, v[4:5]
	v_add_co_u32 v4, vcc_lo, v11, v6
	v_add_co_ci_u32_e64 v5, null, v10, v7, vcc_lo
	v_lshlrev_b64 v[6:7], 3, v[0:1]
	v_add_co_u32 v8, vcc_lo, v8, v12
	v_add_co_ci_u32_e64 v9, null, 0, v9, vcc_lo
	s_lshl_b64 s[10:11], s[0:1], 5
	v_add_co_u32 v6, vcc_lo, s16, v6
	v_add_co_ci_u32_e64 v7, null, s17, v7, vcc_lo
	s_lshl_b64 s[12:13], s[2:3], 5
	s_inst_prefetch 0x1
	.p2align	6
.LBB203_5:                              ; =>This Inner Loop Header: Depth=1
	global_load_dwordx2 v[10:11], v[6:7], off
	global_load_dwordx2 v[12:13], v[4:5], off
	v_add_co_u32 v14, vcc_lo, s4, v8
	v_add_co_ci_u32_e64 v15, null, s5, v9, vcc_lo
	v_add_co_u32 v16, vcc_lo, s6, v8
	v_add_co_ci_u32_e64 v17, null, s7, v9, vcc_lo
	;; [unrolled: 2-line block ×4, first 2 shown]
	v_add_co_u32 v6, s0, v6, 32
	v_add_co_ci_u32_e64 v7, null, 0, v7, s0
	s_waitcnt vmcnt(1)
	v_sub_co_u32 v10, vcc_lo, v10, s14
	v_subrev_co_ci_u32_e64 v11, null, 0, v11, vcc_lo
	v_add_co_u32 v8, vcc_lo, v8, s12
	v_mul_lo_u32 v18, v10, s3
	v_mul_lo_u32 v19, v11, s2
	v_mad_u64_u32 v[10:11], null, v10, s2, v[2:3]
	v_add_co_ci_u32_e64 v9, null, s13, v9, vcc_lo
	v_cmp_le_i64_e32 vcc_lo, s[8:9], v[0:1]
	v_add3_u32 v11, v19, v11, v18
	s_waitcnt vmcnt(0)
	global_store_dwordx2 v[16:17], v[12:13], off
	global_store_dwordx2 v[14:15], v[10:11], off
	s_or_b32 s15, vcc_lo, s15
	s_andn2_b32 exec_lo, exec_lo, s15
	s_cbranch_execnz .LBB203_5
.LBB203_6:
	s_inst_prefetch 0x2
	s_endpgm
	.section	.rodata,"a",@progbits
	.p2align	6, 0x0
	.amdhsa_kernel _ZN9rocsparseL33bsr2csr_block_per_row_8_32_kernelILj1024ELj16E21rocsparse_complex_numIfEllEEv20rocsparse_direction_T3_S4_21rocsparse_index_base_PKT1_PKT2_PKS4_S4_S5_PS6_PS9_PS4_
		.amdhsa_group_segment_fixed_size 0
		.amdhsa_private_segment_fixed_size 0
		.amdhsa_kernarg_size 96
		.amdhsa_user_sgpr_count 6
		.amdhsa_user_sgpr_private_segment_buffer 1
		.amdhsa_user_sgpr_dispatch_ptr 0
		.amdhsa_user_sgpr_queue_ptr 0
		.amdhsa_user_sgpr_kernarg_segment_ptr 1
		.amdhsa_user_sgpr_dispatch_id 0
		.amdhsa_user_sgpr_flat_scratch_init 0
		.amdhsa_user_sgpr_private_segment_size 0
		.amdhsa_wavefront_size32 1
		.amdhsa_uses_dynamic_stack 0
		.amdhsa_system_sgpr_private_segment_wavefront_offset 0
		.amdhsa_system_sgpr_workgroup_id_x 1
		.amdhsa_system_sgpr_workgroup_id_y 0
		.amdhsa_system_sgpr_workgroup_id_z 0
		.amdhsa_system_sgpr_workgroup_info 0
		.amdhsa_system_vgpr_workitem_id 0
		.amdhsa_next_free_vgpr 20
		.amdhsa_next_free_sgpr 23
		.amdhsa_reserve_vcc 1
		.amdhsa_reserve_flat_scratch 0
		.amdhsa_float_round_mode_32 0
		.amdhsa_float_round_mode_16_64 0
		.amdhsa_float_denorm_mode_32 3
		.amdhsa_float_denorm_mode_16_64 3
		.amdhsa_dx10_clamp 1
		.amdhsa_ieee_mode 1
		.amdhsa_fp16_overflow 0
		.amdhsa_workgroup_processor_mode 1
		.amdhsa_memory_ordered 1
		.amdhsa_forward_progress 1
		.amdhsa_shared_vgpr_count 0
		.amdhsa_exception_fp_ieee_invalid_op 0
		.amdhsa_exception_fp_denorm_src 0
		.amdhsa_exception_fp_ieee_div_zero 0
		.amdhsa_exception_fp_ieee_overflow 0
		.amdhsa_exception_fp_ieee_underflow 0
		.amdhsa_exception_fp_ieee_inexact 0
		.amdhsa_exception_int_div_zero 0
	.end_amdhsa_kernel
	.section	.text._ZN9rocsparseL33bsr2csr_block_per_row_8_32_kernelILj1024ELj16E21rocsparse_complex_numIfEllEEv20rocsparse_direction_T3_S4_21rocsparse_index_base_PKT1_PKT2_PKS4_S4_S5_PS6_PS9_PS4_,"axG",@progbits,_ZN9rocsparseL33bsr2csr_block_per_row_8_32_kernelILj1024ELj16E21rocsparse_complex_numIfEllEEv20rocsparse_direction_T3_S4_21rocsparse_index_base_PKT1_PKT2_PKS4_S4_S5_PS6_PS9_PS4_,comdat
.Lfunc_end203:
	.size	_ZN9rocsparseL33bsr2csr_block_per_row_8_32_kernelILj1024ELj16E21rocsparse_complex_numIfEllEEv20rocsparse_direction_T3_S4_21rocsparse_index_base_PKT1_PKT2_PKS4_S4_S5_PS6_PS9_PS4_, .Lfunc_end203-_ZN9rocsparseL33bsr2csr_block_per_row_8_32_kernelILj1024ELj16E21rocsparse_complex_numIfEllEEv20rocsparse_direction_T3_S4_21rocsparse_index_base_PKT1_PKT2_PKS4_S4_S5_PS6_PS9_PS4_
                                        ; -- End function
	.set _ZN9rocsparseL33bsr2csr_block_per_row_8_32_kernelILj1024ELj16E21rocsparse_complex_numIfEllEEv20rocsparse_direction_T3_S4_21rocsparse_index_base_PKT1_PKT2_PKS4_S4_S5_PS6_PS9_PS4_.num_vgpr, 20
	.set _ZN9rocsparseL33bsr2csr_block_per_row_8_32_kernelILj1024ELj16E21rocsparse_complex_numIfEllEEv20rocsparse_direction_T3_S4_21rocsparse_index_base_PKT1_PKT2_PKS4_S4_S5_PS6_PS9_PS4_.num_agpr, 0
	.set _ZN9rocsparseL33bsr2csr_block_per_row_8_32_kernelILj1024ELj16E21rocsparse_complex_numIfEllEEv20rocsparse_direction_T3_S4_21rocsparse_index_base_PKT1_PKT2_PKS4_S4_S5_PS6_PS9_PS4_.numbered_sgpr, 23
	.set _ZN9rocsparseL33bsr2csr_block_per_row_8_32_kernelILj1024ELj16E21rocsparse_complex_numIfEllEEv20rocsparse_direction_T3_S4_21rocsparse_index_base_PKT1_PKT2_PKS4_S4_S5_PS6_PS9_PS4_.num_named_barrier, 0
	.set _ZN9rocsparseL33bsr2csr_block_per_row_8_32_kernelILj1024ELj16E21rocsparse_complex_numIfEllEEv20rocsparse_direction_T3_S4_21rocsparse_index_base_PKT1_PKT2_PKS4_S4_S5_PS6_PS9_PS4_.private_seg_size, 0
	.set _ZN9rocsparseL33bsr2csr_block_per_row_8_32_kernelILj1024ELj16E21rocsparse_complex_numIfEllEEv20rocsparse_direction_T3_S4_21rocsparse_index_base_PKT1_PKT2_PKS4_S4_S5_PS6_PS9_PS4_.uses_vcc, 1
	.set _ZN9rocsparseL33bsr2csr_block_per_row_8_32_kernelILj1024ELj16E21rocsparse_complex_numIfEllEEv20rocsparse_direction_T3_S4_21rocsparse_index_base_PKT1_PKT2_PKS4_S4_S5_PS6_PS9_PS4_.uses_flat_scratch, 0
	.set _ZN9rocsparseL33bsr2csr_block_per_row_8_32_kernelILj1024ELj16E21rocsparse_complex_numIfEllEEv20rocsparse_direction_T3_S4_21rocsparse_index_base_PKT1_PKT2_PKS4_S4_S5_PS6_PS9_PS4_.has_dyn_sized_stack, 0
	.set _ZN9rocsparseL33bsr2csr_block_per_row_8_32_kernelILj1024ELj16E21rocsparse_complex_numIfEllEEv20rocsparse_direction_T3_S4_21rocsparse_index_base_PKT1_PKT2_PKS4_S4_S5_PS6_PS9_PS4_.has_recursion, 0
	.set _ZN9rocsparseL33bsr2csr_block_per_row_8_32_kernelILj1024ELj16E21rocsparse_complex_numIfEllEEv20rocsparse_direction_T3_S4_21rocsparse_index_base_PKT1_PKT2_PKS4_S4_S5_PS6_PS9_PS4_.has_indirect_call, 0
	.section	.AMDGPU.csdata,"",@progbits
; Kernel info:
; codeLenInByte = 1040
; TotalNumSgprs: 25
; NumVgprs: 20
; ScratchSize: 0
; MemoryBound: 0
; FloatMode: 240
; IeeeMode: 1
; LDSByteSize: 0 bytes/workgroup (compile time only)
; SGPRBlocks: 0
; VGPRBlocks: 2
; NumSGPRsForWavesPerEU: 25
; NumVGPRsForWavesPerEU: 20
; Occupancy: 16
; WaveLimiterHint : 0
; COMPUTE_PGM_RSRC2:SCRATCH_EN: 0
; COMPUTE_PGM_RSRC2:USER_SGPR: 6
; COMPUTE_PGM_RSRC2:TRAP_HANDLER: 0
; COMPUTE_PGM_RSRC2:TGID_X_EN: 1
; COMPUTE_PGM_RSRC2:TGID_Y_EN: 0
; COMPUTE_PGM_RSRC2:TGID_Z_EN: 0
; COMPUTE_PGM_RSRC2:TIDIG_COMP_CNT: 0
	.section	.text._ZN9rocsparseL33bsr2csr_block_per_row_8_32_kernelILj1024ELj32E21rocsparse_complex_numIfEllEEv20rocsparse_direction_T3_S4_21rocsparse_index_base_PKT1_PKT2_PKS4_S4_S5_PS6_PS9_PS4_,"axG",@progbits,_ZN9rocsparseL33bsr2csr_block_per_row_8_32_kernelILj1024ELj32E21rocsparse_complex_numIfEllEEv20rocsparse_direction_T3_S4_21rocsparse_index_base_PKT1_PKT2_PKS4_S4_S5_PS6_PS9_PS4_,comdat
	.globl	_ZN9rocsparseL33bsr2csr_block_per_row_8_32_kernelILj1024ELj32E21rocsparse_complex_numIfEllEEv20rocsparse_direction_T3_S4_21rocsparse_index_base_PKT1_PKT2_PKS4_S4_S5_PS6_PS9_PS4_ ; -- Begin function _ZN9rocsparseL33bsr2csr_block_per_row_8_32_kernelILj1024ELj32E21rocsparse_complex_numIfEllEEv20rocsparse_direction_T3_S4_21rocsparse_index_base_PKT1_PKT2_PKS4_S4_S5_PS6_PS9_PS4_
	.p2align	8
	.type	_ZN9rocsparseL33bsr2csr_block_per_row_8_32_kernelILj1024ELj32E21rocsparse_complex_numIfEllEEv20rocsparse_direction_T3_S4_21rocsparse_index_base_PKT1_PKT2_PKS4_S4_S5_PS6_PS9_PS4_,@function
_ZN9rocsparseL33bsr2csr_block_per_row_8_32_kernelILj1024ELj32E21rocsparse_complex_numIfEllEEv20rocsparse_direction_T3_S4_21rocsparse_index_base_PKT1_PKT2_PKS4_S4_S5_PS6_PS9_PS4_: ; @_ZN9rocsparseL33bsr2csr_block_per_row_8_32_kernelILj1024ELj32E21rocsparse_complex_numIfEllEEv20rocsparse_direction_T3_S4_21rocsparse_index_base_PKT1_PKT2_PKS4_S4_S5_PS6_PS9_PS4_
; %bb.0:
	s_clause 0x2
	s_load_dwordx2 s[0:1], s[4:5], 0x28
	s_load_dword s22, s[4:5], 0x40
	s_load_dwordx2 s[20:21], s[4:5], 0x50
	s_mov_b32 s7, 0
	v_or_b32_e32 v1, s6, v0
	s_lshl_b64 s[2:3], s[6:7], 3
	s_waitcnt lgkmcnt(0)
	s_add_u32 s2, s0, s2
	s_addc_u32 s3, s1, s3
	s_mov_b32 s0, exec_lo
	v_cmpx_eq_u32_e32 0, v1
	s_cbranch_execz .LBB204_2
; %bb.1:
	v_mov_b32_e32 v1, s22
	v_mov_b32_e32 v2, 0
	global_store_dwordx2 v2, v[1:2], s[20:21]
.LBB204_2:
	s_or_b32 exec_lo, exec_lo, s0
	s_load_dwordx2 s[8:9], s[4:5], 0x38
	v_mov_b32_e32 v1, 0
	v_lshrrev_b32_e32 v2, 5, v0
	v_and_b32_e32 v0, 31, v0
	v_mov_b32_e32 v3, v1
	s_waitcnt lgkmcnt(0)
	v_cmp_gt_i64_e32 vcc_lo, s[8:9], v[2:3]
	v_cmp_gt_i64_e64 s0, s[8:9], v[0:1]
	s_and_b32 s0, vcc_lo, s0
	s_and_saveexec_b32 s1, s0
	s_cbranch_execz .LBB204_6
; %bb.3:
	s_load_dwordx4 s[0:3], s[2:3], 0x0
	s_load_dword s10, s[4:5], 0x18
	s_mul_i32 s7, s8, s9
	s_mul_hi_u32 s11, s8, s8
	s_mul_i32 s16, s8, s8
	s_waitcnt lgkmcnt(0)
	s_sub_u32 s12, s0, s10
	s_subb_u32 s13, s1, 0
	s_sub_u32 s14, s2, s10
	s_subb_u32 s15, s3, 0
	s_add_i32 s11, s11, s7
	s_mul_i32 s19, s13, s16
	s_add_i32 s17, s11, s7
	s_mul_hi_u32 s7, s12, s16
	s_mul_i32 s11, s12, s17
	s_mul_i32 s18, s12, s16
	s_add_i32 s7, s7, s11
	s_add_i32 s19, s7, s19
	s_sub_u32 s23, s14, s12
	s_subb_u32 s7, s15, s13
	s_mul_i32 s11, s23, s9
	s_mul_hi_u32 s24, s23, s8
	s_mul_i32 s25, s7, s8
	s_add_i32 s11, s24, s11
	s_mul_i32 s26, s23, s8
	s_add_i32 s11, s11, s25
	s_add_u32 s24, s26, s22
	s_addc_u32 s25, s11, 0
	s_add_u32 s24, s24, s18
	s_addc_u32 s25, s25, s19
	v_mad_u64_u32 v[3:4], null, s26, v2, s[24:25]
	s_mul_hi_u32 s25, s8, s6
	s_mul_i32 s24, s8, s6
	v_mov_b32_e32 v1, v4
	v_mad_u64_u32 v[4:5], null, s11, v2, v[1:2]
	s_mul_i32 s11, s9, s6
	v_cmp_ge_i64_e64 s6, s[0:1], s[2:3]
	s_add_i32 s25, s25, s11
	v_lshlrev_b32_e32 v1, 3, v2
	s_lshl_b64 s[2:3], s[24:25], 3
	s_mov_b32 s11, 0
	s_add_u32 s2, s20, s2
	s_addc_u32 s3, s21, s3
	s_and_b32 vcc_lo, exec_lo, s6
	global_store_dwordx2 v1, v[3:4], s[2:3] offset:8
	s_cbranch_vccnz .LBB204_6
; %bb.4:
	v_mad_u64_u32 v[3:4], null, s8, v0, 0
	v_mad_u64_u32 v[5:6], null, s8, v2, 0
	s_clause 0x3
	s_load_dwordx2 s[20:21], s[4:5], 0x30
	s_load_dwordx2 s[2:3], s[4:5], 0x48
	s_load_dword s6, s[4:5], 0x0
	s_load_dwordx2 s[24:25], s[4:5], 0x20
	s_mul_i32 s26, s8, s13
	s_mul_hi_u32 s27, s8, s12
	s_load_dwordx2 s[4:5], s[4:5], 0x58
	v_mad_u64_u32 v[7:8], null, s9, v0, v[4:5]
	v_mad_u64_u32 v[8:9], null, s9, v2, v[6:7]
	v_mov_b32_e32 v4, v7
	v_lshlrev_b32_e32 v7, 3, v0
	s_waitcnt lgkmcnt(0)
	s_cmp_eq_u32 s6, 0
	v_lshlrev_b64 v[3:4], 3, v[3:4]
	v_mov_b32_e32 v6, v8
	v_add_co_u32 v3, vcc_lo, s24, v3
	v_lshlrev_b64 v[5:6], 3, v[5:6]
	v_add_co_ci_u32_e64 v4, null, s25, v4, vcc_lo
	v_add_co_u32 v5, vcc_lo, s24, v5
	v_add_co_ci_u32_e64 v6, null, s25, v6, vcc_lo
	v_add_co_u32 v8, vcc_lo, v3, v1
	;; [unrolled: 2-line block ×3, first 2 shown]
	v_add_co_ci_u32_e64 v6, null, 0, v6, vcc_lo
	s_cselect_b32 vcc_lo, -1, 0
	s_add_i32 s6, s27, s26
	s_mul_i32 s24, s9, s12
	v_cndmask_b32_e32 v8, v8, v5, vcc_lo
	s_add_i32 s25, s6, s24
	s_mul_i32 s24, s8, s12
	v_cndmask_b32_e32 v6, v9, v6, vcc_lo
	v_mad_u64_u32 v[3:4], null, v2, s23, s[24:25]
	s_lshl_b64 s[18:19], s[18:19], 3
	v_add_co_u32 v0, s6, v0, s22
	s_lshl_b64 s[0:1], s[0:1], 3
	s_lshl_b64 s[22:23], s[10:11], 3
	v_mov_b32_e32 v1, v4
	v_mul_lo_u32 v4, s9, v3
	v_mad_u64_u32 v[1:2], null, v2, s7, v[1:2]
	v_mad_u64_u32 v[2:3], null, s8, v3, 0
	v_mul_lo_u32 v10, s8, v1
	v_add_co_ci_u32_e64 v1, null, 0, 0, s6
	s_lshl_b64 s[6:7], s[16:17], 3
	s_lshl_b64 s[16:17], s[8:9], 3
	s_sub_u32 s0, s0, s22
	s_subb_u32 s1, s1, s23
	s_add_u32 s0, s20, s0
	v_add3_u32 v3, v3, v10, v4
	s_addc_u32 s1, s21, s1
	v_lshlrev_b64 v[4:5], 3, v[2:3]
	v_add_co_u32 v2, vcc_lo, v8, s18
	v_add_co_ci_u32_e64 v3, null, s19, v6, vcc_lo
	v_add_co_u32 v4, vcc_lo, v4, v7
	v_add_co_ci_u32_e64 v5, null, 0, v5, vcc_lo
	s_inst_prefetch 0x1
	.p2align	6
.LBB204_5:                              ; =>This Inner Loop Header: Depth=1
	global_load_dwordx2 v[6:7], v[2:3], off
	s_load_dwordx2 s[18:19], s[0:1], 0x0
	v_add_co_u32 v8, vcc_lo, s4, v4
	v_add_co_ci_u32_e64 v9, null, s5, v5, vcc_lo
	v_add_co_u32 v10, vcc_lo, s2, v4
	v_add_co_ci_u32_e64 v11, null, s3, v5, vcc_lo
	;; [unrolled: 2-line block ×4, first 2 shown]
	s_waitcnt lgkmcnt(0)
	s_sub_u32 s11, s18, s10
	s_subb_u32 s18, s19, 0
	v_mad_u64_u32 v[12:13], null, s11, s8, v[0:1]
	s_add_u32 s12, s12, 1
	s_addc_u32 s13, s13, 0
	s_mul_i32 s11, s11, s9
	v_cmp_lt_i64_e64 s19, s[12:13], s[14:15]
	s_mul_i32 s18, s18, s8
	s_add_u32 s0, s0, 8
	v_add3_u32 v13, s11, s18, v13
	s_addc_u32 s1, s1, 0
	global_store_dwordx2 v[8:9], v[12:13], off
	s_waitcnt vmcnt(0)
	global_store_dwordx2 v[10:11], v[6:7], off
	s_and_b32 vcc_lo, exec_lo, s19
	s_cbranch_vccnz .LBB204_5
.LBB204_6:
	s_inst_prefetch 0x2
	s_endpgm
	.section	.rodata,"a",@progbits
	.p2align	6, 0x0
	.amdhsa_kernel _ZN9rocsparseL33bsr2csr_block_per_row_8_32_kernelILj1024ELj32E21rocsparse_complex_numIfEllEEv20rocsparse_direction_T3_S4_21rocsparse_index_base_PKT1_PKT2_PKS4_S4_S5_PS6_PS9_PS4_
		.amdhsa_group_segment_fixed_size 0
		.amdhsa_private_segment_fixed_size 0
		.amdhsa_kernarg_size 96
		.amdhsa_user_sgpr_count 6
		.amdhsa_user_sgpr_private_segment_buffer 1
		.amdhsa_user_sgpr_dispatch_ptr 0
		.amdhsa_user_sgpr_queue_ptr 0
		.amdhsa_user_sgpr_kernarg_segment_ptr 1
		.amdhsa_user_sgpr_dispatch_id 0
		.amdhsa_user_sgpr_flat_scratch_init 0
		.amdhsa_user_sgpr_private_segment_size 0
		.amdhsa_wavefront_size32 1
		.amdhsa_uses_dynamic_stack 0
		.amdhsa_system_sgpr_private_segment_wavefront_offset 0
		.amdhsa_system_sgpr_workgroup_id_x 1
		.amdhsa_system_sgpr_workgroup_id_y 0
		.amdhsa_system_sgpr_workgroup_id_z 0
		.amdhsa_system_sgpr_workgroup_info 0
		.amdhsa_system_vgpr_workitem_id 0
		.amdhsa_next_free_vgpr 14
		.amdhsa_next_free_sgpr 28
		.amdhsa_reserve_vcc 1
		.amdhsa_reserve_flat_scratch 0
		.amdhsa_float_round_mode_32 0
		.amdhsa_float_round_mode_16_64 0
		.amdhsa_float_denorm_mode_32 3
		.amdhsa_float_denorm_mode_16_64 3
		.amdhsa_dx10_clamp 1
		.amdhsa_ieee_mode 1
		.amdhsa_fp16_overflow 0
		.amdhsa_workgroup_processor_mode 1
		.amdhsa_memory_ordered 1
		.amdhsa_forward_progress 1
		.amdhsa_shared_vgpr_count 0
		.amdhsa_exception_fp_ieee_invalid_op 0
		.amdhsa_exception_fp_denorm_src 0
		.amdhsa_exception_fp_ieee_div_zero 0
		.amdhsa_exception_fp_ieee_overflow 0
		.amdhsa_exception_fp_ieee_underflow 0
		.amdhsa_exception_fp_ieee_inexact 0
		.amdhsa_exception_int_div_zero 0
	.end_amdhsa_kernel
	.section	.text._ZN9rocsparseL33bsr2csr_block_per_row_8_32_kernelILj1024ELj32E21rocsparse_complex_numIfEllEEv20rocsparse_direction_T3_S4_21rocsparse_index_base_PKT1_PKT2_PKS4_S4_S5_PS6_PS9_PS4_,"axG",@progbits,_ZN9rocsparseL33bsr2csr_block_per_row_8_32_kernelILj1024ELj32E21rocsparse_complex_numIfEllEEv20rocsparse_direction_T3_S4_21rocsparse_index_base_PKT1_PKT2_PKS4_S4_S5_PS6_PS9_PS4_,comdat
.Lfunc_end204:
	.size	_ZN9rocsparseL33bsr2csr_block_per_row_8_32_kernelILj1024ELj32E21rocsparse_complex_numIfEllEEv20rocsparse_direction_T3_S4_21rocsparse_index_base_PKT1_PKT2_PKS4_S4_S5_PS6_PS9_PS4_, .Lfunc_end204-_ZN9rocsparseL33bsr2csr_block_per_row_8_32_kernelILj1024ELj32E21rocsparse_complex_numIfEllEEv20rocsparse_direction_T3_S4_21rocsparse_index_base_PKT1_PKT2_PKS4_S4_S5_PS6_PS9_PS4_
                                        ; -- End function
	.set _ZN9rocsparseL33bsr2csr_block_per_row_8_32_kernelILj1024ELj32E21rocsparse_complex_numIfEllEEv20rocsparse_direction_T3_S4_21rocsparse_index_base_PKT1_PKT2_PKS4_S4_S5_PS6_PS9_PS4_.num_vgpr, 14
	.set _ZN9rocsparseL33bsr2csr_block_per_row_8_32_kernelILj1024ELj32E21rocsparse_complex_numIfEllEEv20rocsparse_direction_T3_S4_21rocsparse_index_base_PKT1_PKT2_PKS4_S4_S5_PS6_PS9_PS4_.num_agpr, 0
	.set _ZN9rocsparseL33bsr2csr_block_per_row_8_32_kernelILj1024ELj32E21rocsparse_complex_numIfEllEEv20rocsparse_direction_T3_S4_21rocsparse_index_base_PKT1_PKT2_PKS4_S4_S5_PS6_PS9_PS4_.numbered_sgpr, 28
	.set _ZN9rocsparseL33bsr2csr_block_per_row_8_32_kernelILj1024ELj32E21rocsparse_complex_numIfEllEEv20rocsparse_direction_T3_S4_21rocsparse_index_base_PKT1_PKT2_PKS4_S4_S5_PS6_PS9_PS4_.num_named_barrier, 0
	.set _ZN9rocsparseL33bsr2csr_block_per_row_8_32_kernelILj1024ELj32E21rocsparse_complex_numIfEllEEv20rocsparse_direction_T3_S4_21rocsparse_index_base_PKT1_PKT2_PKS4_S4_S5_PS6_PS9_PS4_.private_seg_size, 0
	.set _ZN9rocsparseL33bsr2csr_block_per_row_8_32_kernelILj1024ELj32E21rocsparse_complex_numIfEllEEv20rocsparse_direction_T3_S4_21rocsparse_index_base_PKT1_PKT2_PKS4_S4_S5_PS6_PS9_PS4_.uses_vcc, 1
	.set _ZN9rocsparseL33bsr2csr_block_per_row_8_32_kernelILj1024ELj32E21rocsparse_complex_numIfEllEEv20rocsparse_direction_T3_S4_21rocsparse_index_base_PKT1_PKT2_PKS4_S4_S5_PS6_PS9_PS4_.uses_flat_scratch, 0
	.set _ZN9rocsparseL33bsr2csr_block_per_row_8_32_kernelILj1024ELj32E21rocsparse_complex_numIfEllEEv20rocsparse_direction_T3_S4_21rocsparse_index_base_PKT1_PKT2_PKS4_S4_S5_PS6_PS9_PS4_.has_dyn_sized_stack, 0
	.set _ZN9rocsparseL33bsr2csr_block_per_row_8_32_kernelILj1024ELj32E21rocsparse_complex_numIfEllEEv20rocsparse_direction_T3_S4_21rocsparse_index_base_PKT1_PKT2_PKS4_S4_S5_PS6_PS9_PS4_.has_recursion, 0
	.set _ZN9rocsparseL33bsr2csr_block_per_row_8_32_kernelILj1024ELj32E21rocsparse_complex_numIfEllEEv20rocsparse_direction_T3_S4_21rocsparse_index_base_PKT1_PKT2_PKS4_S4_S5_PS6_PS9_PS4_.has_indirect_call, 0
	.section	.AMDGPU.csdata,"",@progbits
; Kernel info:
; codeLenInByte = 880
; TotalNumSgprs: 30
; NumVgprs: 14
; ScratchSize: 0
; MemoryBound: 0
; FloatMode: 240
; IeeeMode: 1
; LDSByteSize: 0 bytes/workgroup (compile time only)
; SGPRBlocks: 0
; VGPRBlocks: 1
; NumSGPRsForWavesPerEU: 30
; NumVGPRsForWavesPerEU: 14
; Occupancy: 16
; WaveLimiterHint : 0
; COMPUTE_PGM_RSRC2:SCRATCH_EN: 0
; COMPUTE_PGM_RSRC2:USER_SGPR: 6
; COMPUTE_PGM_RSRC2:TRAP_HANDLER: 0
; COMPUTE_PGM_RSRC2:TGID_X_EN: 1
; COMPUTE_PGM_RSRC2:TGID_Y_EN: 0
; COMPUTE_PGM_RSRC2:TGID_Z_EN: 0
; COMPUTE_PGM_RSRC2:TIDIG_COMP_CNT: 0
	.section	.text._ZN9rocsparseL35bsr2csr_block_per_row_33_256_kernelILj1024ELj64ELj32E21rocsparse_complex_numIfEllEEv20rocsparse_direction_T4_S4_21rocsparse_index_base_PKT2_PKT3_PKS4_S4_S5_PS6_PS9_PS4_,"axG",@progbits,_ZN9rocsparseL35bsr2csr_block_per_row_33_256_kernelILj1024ELj64ELj32E21rocsparse_complex_numIfEllEEv20rocsparse_direction_T4_S4_21rocsparse_index_base_PKT2_PKT3_PKS4_S4_S5_PS6_PS9_PS4_,comdat
	.globl	_ZN9rocsparseL35bsr2csr_block_per_row_33_256_kernelILj1024ELj64ELj32E21rocsparse_complex_numIfEllEEv20rocsparse_direction_T4_S4_21rocsparse_index_base_PKT2_PKT3_PKS4_S4_S5_PS6_PS9_PS4_ ; -- Begin function _ZN9rocsparseL35bsr2csr_block_per_row_33_256_kernelILj1024ELj64ELj32E21rocsparse_complex_numIfEllEEv20rocsparse_direction_T4_S4_21rocsparse_index_base_PKT2_PKT3_PKS4_S4_S5_PS6_PS9_PS4_
	.p2align	8
	.type	_ZN9rocsparseL35bsr2csr_block_per_row_33_256_kernelILj1024ELj64ELj32E21rocsparse_complex_numIfEllEEv20rocsparse_direction_T4_S4_21rocsparse_index_base_PKT2_PKT3_PKS4_S4_S5_PS6_PS9_PS4_,@function
_ZN9rocsparseL35bsr2csr_block_per_row_33_256_kernelILj1024ELj64ELj32E21rocsparse_complex_numIfEllEEv20rocsparse_direction_T4_S4_21rocsparse_index_base_PKT2_PKT3_PKS4_S4_S5_PS6_PS9_PS4_: ; @_ZN9rocsparseL35bsr2csr_block_per_row_33_256_kernelILj1024ELj64ELj32E21rocsparse_complex_numIfEllEEv20rocsparse_direction_T4_S4_21rocsparse_index_base_PKT2_PKT3_PKS4_S4_S5_PS6_PS9_PS4_
; %bb.0:
	s_load_dwordx2 s[0:1], s[4:5], 0x28
	s_mov_b32 s13, 0
	s_clause 0x1
	s_load_dword s14, s[4:5], 0x40
	s_load_dwordx2 s[2:3], s[4:5], 0x50
	s_mov_b32 s7, s13
	v_or_b32_e32 v1, s6, v0
	s_lshl_b64 s[8:9], s[6:7], 3
	s_waitcnt lgkmcnt(0)
	s_add_u32 s0, s0, s8
	s_addc_u32 s1, s1, s9
	s_load_dwordx4 s[8:11], s[0:1], 0x0
	s_mov_b32 s0, exec_lo
	v_cmpx_eq_u32_e32 0, v1
	s_cbranch_execz .LBB205_2
; %bb.1:
	s_mov_b32 s15, s13
	v_mov_b32_e32 v1, s14
	v_mov_b32_e32 v3, 0
	;; [unrolled: 1-line block ×3, first 2 shown]
	global_store_dwordx2 v3, v[1:2], s[2:3]
.LBB205_2:
	s_or_b32 exec_lo, exec_lo, s0
	s_clause 0x1
	s_load_dword s12, s[4:5], 0x18
	s_load_dwordx2 s[16:17], s[4:5], 0x38
	v_mov_b32_e32 v10, 0
	v_lshrrev_b32_e32 v9, 5, v0
	v_lshlrev_b32_e32 v11, 3, v9
	s_waitcnt lgkmcnt(0)
	s_sub_u32 s18, s8, s12
	s_subb_u32 s19, s9, 0
	s_mul_hi_u32 s0, s16, s18
	s_mul_i32 s20, s16, s19
	s_mul_i32 s1, s17, s6
	s_mul_hi_u32 s25, s16, s6
	s_mul_i32 s24, s16, s6
	s_sub_u32 s6, s10, s12
	s_mul_i32 s15, s17, s18
	s_mul_i32 s22, s16, s18
	s_subb_u32 s7, s11, 0
	s_add_i32 s0, s0, s20
	s_mul_i32 s21, s22, s17
	s_mul_hi_u32 s20, s22, s16
	s_add_i32 s23, s0, s15
	s_add_i32 s0, s20, s21
	s_mul_i32 s15, s23, s16
	s_mul_i32 s20, s22, s16
	s_add_i32 s21, s0, s15
	s_sub_u32 s34, s6, s18
	s_subb_u32 s33, s7, s19
	s_mul_i32 s0, s34, s17
	s_mul_hi_u32 s15, s34, s16
	s_mul_i32 s26, s33, s16
	s_add_i32 s0, s15, s0
	s_mul_i32 s15, s34, s16
	s_add_i32 s0, s0, s26
	s_add_u32 s20, s20, s14
	s_addc_u32 s21, s21, 0
	s_add_u32 s20, s20, s15
	s_addc_u32 s21, s21, s0
	s_add_i32 s25, s25, s1
	v_cmp_gt_i64_e64 s1, s[16:17], v[9:10]
	s_lshl_b64 s[24:25], s[24:25], 3
	s_add_u32 s24, s2, s24
	s_addc_u32 s25, s3, s25
	s_and_saveexec_b32 s2, s1
	s_cbranch_execz .LBB205_4
; %bb.3:
	v_mad_u64_u32 v[1:2], null, v9, s15, s[20:21]
	v_mad_u64_u32 v[2:3], null, v9, s0, v[2:3]
	global_store_dwordx2 v11, v[1:2], s[24:25] offset:8
.LBB205_4:
	s_or_b32 exec_lo, exec_lo, s2
	v_or_b32_e32 v1, 32, v9
	v_mov_b32_e32 v2, v10
	v_cmp_gt_i64_e64 s2, s[16:17], v[1:2]
	s_and_saveexec_b32 s3, s2
	s_cbranch_execz .LBB205_6
; %bb.5:
	v_mad_u64_u32 v[2:3], null, v1, s15, s[20:21]
	v_mad_u64_u32 v[3:4], null, v1, s0, v[3:4]
	global_store_dwordx2 v11, v[2:3], s[24:25] offset:264
.LBB205_6:
	s_or_b32 exec_lo, exec_lo, s3
	v_cmp_lt_i64_e64 s0, s[8:9], s[10:11]
	s_and_b32 vcc_lo, exec_lo, s0
	s_cbranch_vccz .LBB205_17
; %bb.7:
	s_clause 0x4
	s_load_dwordx2 s[28:29], s[4:5], 0x30
	s_load_dwordx2 s[24:25], s[4:5], 0x48
	s_load_dword s0, s[4:5], 0x0
	s_load_dwordx2 s[20:21], s[4:5], 0x20
	s_load_dwordx2 s[26:27], s[4:5], 0x58
	v_and_b32_e32 v0, 31, v0
	v_mov_b32_e32 v1, 0
	s_mul_i32 s5, s16, s17
	s_mul_hi_u32 s31, s16, s16
	v_mad_u64_u32 v[14:15], null, v9, s34, s[22:23]
	v_or_b32_e32 v2, 32, v0
	v_mov_b32_e32 v3, v1
	v_cmp_gt_i64_e32 vcc_lo, s[16:17], v[0:1]
	v_mov_b32_e32 v12, v1
	v_lshlrev_b32_e32 v13, 3, v0
	s_mul_i32 s4, s16, s16
	v_cmp_gt_i64_e64 s3, s[16:17], v[2:3]
	v_mul_lo_u32 v25, s17, v14
	s_waitcnt lgkmcnt(0)
	s_cmp_eq_u32 s0, 0
	s_cselect_b32 s0, -1, 0
	s_lshl_b64 s[36:37], s[22:23], 3
	s_add_i32 s35, s31, s5
	v_add_co_u32 v1, s30, s36, v11
	v_add_co_ci_u32_e64 v5, null, s37, 0, s30
	s_and_b32 s15, s1, vcc_lo
	s_and_b32 s30, s1, s3
	v_add_co_u32 v3, s1, 0x100, v1
	s_add_i32 s5, s35, s5
	v_add_co_ci_u32_e64 v4, null, 0, v5, s1
	s_and_b32 s1, s2, vcc_lo
	s_and_b32 s31, s2, s3
	s_lshl_b64 s[2:3], s[4:5], 3
	v_add_co_u32 v19, s4, s36, v13
	v_add_co_ci_u32_e64 v10, null, s37, 0, s4
	v_mul_lo_u32 v20, s16, v5
	v_mul_lo_u32 v21, s17, v1
	v_mad_u64_u32 v[5:6], null, s16, v1, s[20:21]
	v_mov_b32_e32 v1, v15
	v_add_co_u32 v7, vcc_lo, 0x100, v19
	s_lshl_b64 s[4:5], s[8:9], 3
	s_lshl_b64 s[22:23], s[12:13], 3
	v_add_co_ci_u32_e64 v8, null, 0, v10, vcc_lo
	v_mul_lo_u32 v24, s16, v10
	v_mad_u64_u32 v[9:10], null, v9, s33, v[1:2]
	s_sub_u32 s4, s4, s22
	s_subb_u32 s5, s5, s23
	s_add_u32 s4, s28, s4
	s_addc_u32 s5, s29, s5
	s_lshl_b64 s[10:11], s[10:11], 5
	s_lshl_b64 s[8:9], s[8:9], 5
	v_add_co_u32 v10, vcc_lo, v14, s10
	v_mul_lo_u32 v26, s16, v9
	v_add_co_ci_u32_e64 v9, null, s11, v9, vcc_lo
	v_mad_u64_u32 v[15:16], null, s16, v14, 0
	v_sub_co_u32 v14, vcc_lo, v10, s8
	v_subrev_co_ci_u32_e64 v27, null, s9, v9, vcc_lo
	v_mul_lo_u32 v22, s16, v8
	v_mul_lo_u32 v23, s17, v7
	v_mad_u64_u32 v[7:8], null, s16, v7, v[11:12]
	v_mul_lo_u32 v1, s17, v19
	v_mad_u64_u32 v[9:10], null, s16, v19, v[11:12]
	v_add3_u32 v16, v16, v26, v25
	v_mul_lo_u32 v19, s17, v14
	v_mul_lo_u32 v25, s16, v27
	v_mad_u64_u32 v[11:12], null, s16, v14, 0
	v_mul_lo_u32 v17, s16, v4
	v_mul_lo_u32 v18, s17, v3
	v_mad_u64_u32 v[3:4], null, s16, v3, s[20:21]
	v_lshlrev_b64 v[14:15], 3, v[15:16]
	v_add3_u32 v10, v1, v10, v24
	v_add3_u32 v12, v12, v25, v19
	;; [unrolled: 1-line block ×4, first 2 shown]
	s_lshl_b64 s[8:9], s[16:17], 3
	v_add3_u32 v4, v18, v4, v17
	v_add_co_u32 v17, vcc_lo, 0x100, v14
	v_add_co_ci_u32_e64 v18, null, 0, v15, vcc_lo
	v_lshlrev_b64 v[15:16], 3, v[11:12]
	v_add_co_u32 v1, vcc_lo, s26, v17
	v_add_co_ci_u32_e64 v11, null, s27, v18, vcc_lo
	v_add_co_u32 v12, vcc_lo, s24, v15
	v_add_co_ci_u32_e64 v14, null, s25, v16, vcc_lo
	v_add_co_u32 v15, vcc_lo, s26, v15
	v_add_co_ci_u32_e64 v16, null, s27, v16, vcc_lo
	v_add_co_u32 v17, vcc_lo, s24, v17
	v_add_co_ci_u32_e64 v18, null, s25, v18, vcc_lo
	s_branch .LBB205_9
.LBB205_8:                              ;   in Loop: Header=BB205_9 Depth=1
	s_or_b32 exec_lo, exec_lo, s13
	v_add_co_u32 v3, vcc_lo, v3, s2
	v_add_co_ci_u32_e64 v4, null, s3, v4, vcc_lo
	v_add_co_u32 v5, vcc_lo, v5, s2
	v_add_co_ci_u32_e64 v6, null, s3, v6, vcc_lo
	v_add_co_u32 v1, vcc_lo, v1, s8
	s_add_u32 s18, s18, 1
	v_add_co_ci_u32_e64 v11, null, s9, v11, vcc_lo
	v_add_co_u32 v12, vcc_lo, v12, s8
	s_addc_u32 s19, s19, 0
	v_add_co_ci_u32_e64 v14, null, s9, v14, vcc_lo
	v_add_co_u32 v15, vcc_lo, v15, s8
	v_cmp_ge_i64_e64 s10, s[18:19], s[6:7]
	v_add_co_ci_u32_e64 v16, null, s9, v16, vcc_lo
	v_add_co_u32 v17, vcc_lo, v17, s8
	s_add_u32 s20, s20, s2
	v_add_co_ci_u32_e64 v18, null, s9, v18, vcc_lo
	s_addc_u32 s21, s21, s3
	s_add_u32 s4, s4, 8
	s_addc_u32 s5, s5, 0
	s_and_b32 vcc_lo, exec_lo, s10
	s_cbranch_vccnz .LBB205_17
.LBB205_9:                              ; =>This Inner Loop Header: Depth=1
	s_load_dwordx2 s[10:11], s[4:5], 0x0
	s_waitcnt lgkmcnt(0)
	s_sub_u32 s10, s10, s12
	s_subb_u32 s11, s11, 0
	s_mul_i32 s13, s10, s17
	s_mul_hi_u32 s22, s10, s16
	s_mul_i32 s11, s11, s16
	s_add_i32 s13, s22, s13
	s_mul_i32 s10, s10, s16
	s_add_i32 s13, s13, s11
	s_add_u32 s10, s10, s14
	s_addc_u32 s11, s13, 0
	s_and_saveexec_b32 s13, s15
	s_cbranch_execnz .LBB205_13
; %bb.10:                               ;   in Loop: Header=BB205_9 Depth=1
	s_or_b32 exec_lo, exec_lo, s13
	s_and_saveexec_b32 s13, s30
	s_cbranch_execnz .LBB205_14
.LBB205_11:                             ;   in Loop: Header=BB205_9 Depth=1
	s_or_b32 exec_lo, exec_lo, s13
	s_and_saveexec_b32 s13, s1
	s_cbranch_execnz .LBB205_15
.LBB205_12:                             ;   in Loop: Header=BB205_9 Depth=1
	s_or_b32 exec_lo, exec_lo, s13
	s_and_saveexec_b32 s13, s31
	s_cbranch_execz .LBB205_8
	s_branch .LBB205_16
.LBB205_13:                             ;   in Loop: Header=BB205_9 Depth=1
	v_add_co_u32 v19, vcc_lo, v5, v13
	v_add_co_ci_u32_e64 v20, null, 0, v6, vcc_lo
	v_add_co_u32 v21, vcc_lo, s20, v9
	v_add_co_ci_u32_e64 v22, null, s21, v10, vcc_lo
	v_add_co_u32 v23, vcc_lo, v1, v13
	v_cndmask_b32_e64 v19, v21, v19, s0
	v_cndmask_b32_e64 v20, v22, v20, s0
	v_add_co_u32 v21, s22, s10, v0
	v_add_co_ci_u32_e64 v24, null, 0, v11, vcc_lo
	global_load_dwordx2 v[19:20], v[19:20], off
	v_add_co_u32 v25, vcc_lo, v17, v13
	v_add_co_ci_u32_e64 v22, null, s11, 0, s22
	v_add_co_ci_u32_e64 v26, null, 0, v18, vcc_lo
	global_store_dwordx2 v[23:24], v[21:22], off offset:-256
	s_waitcnt vmcnt(0)
	global_store_dwordx2 v[25:26], v[19:20], off offset:-256
	s_or_b32 exec_lo, exec_lo, s13
	s_and_saveexec_b32 s13, s30
	s_cbranch_execz .LBB205_11
.LBB205_14:                             ;   in Loop: Header=BB205_9 Depth=1
	v_add_co_u32 v19, vcc_lo, v5, v13
	v_add_co_ci_u32_e64 v20, null, 0, v6, vcc_lo
	v_add_co_u32 v19, vcc_lo, 0x100, v19
	v_add_co_ci_u32_e64 v20, null, 0, v20, vcc_lo
	;; [unrolled: 2-line block ×3, first 2 shown]
	v_add_co_u32 v23, vcc_lo, v1, v13
	v_cndmask_b32_e64 v19, v21, v19, s0
	v_cndmask_b32_e64 v20, v22, v20, s0
	v_add_co_u32 v21, s22, s10, v2
	v_add_co_ci_u32_e64 v24, null, 0, v11, vcc_lo
	global_load_dwordx2 v[19:20], v[19:20], off
	v_add_co_u32 v25, vcc_lo, v17, v13
	v_add_co_ci_u32_e64 v22, null, s11, 0, s22
	v_add_co_ci_u32_e64 v26, null, 0, v18, vcc_lo
	global_store_dwordx2 v[23:24], v[21:22], off
	s_waitcnt vmcnt(0)
	global_store_dwordx2 v[25:26], v[19:20], off
	s_or_b32 exec_lo, exec_lo, s13
	s_and_saveexec_b32 s13, s1
	s_cbranch_execz .LBB205_12
.LBB205_15:                             ;   in Loop: Header=BB205_9 Depth=1
	v_add_co_u32 v19, vcc_lo, s20, v9
	v_add_co_ci_u32_e64 v20, null, s21, v10, vcc_lo
	v_add_co_u32 v21, vcc_lo, v3, v13
	v_add_co_ci_u32_e64 v22, null, 0, v4, vcc_lo
	;; [unrolled: 2-line block ×3, first 2 shown]
	v_add_co_u32 v23, vcc_lo, v15, v13
	v_cndmask_b32_e64 v19, v19, v21, s0
	v_cndmask_b32_e64 v20, v20, v22, s0
	v_add_co_u32 v21, s22, s10, v0
	v_add_co_ci_u32_e64 v24, null, 0, v16, vcc_lo
	global_load_dwordx2 v[19:20], v[19:20], off
	v_add_co_u32 v25, vcc_lo, v12, v13
	v_add_co_ci_u32_e64 v22, null, s11, 0, s22
	v_add_co_ci_u32_e64 v26, null, 0, v14, vcc_lo
	global_store_dwordx2 v[23:24], v[21:22], off
	s_waitcnt vmcnt(0)
	global_store_dwordx2 v[25:26], v[19:20], off
	s_or_b32 exec_lo, exec_lo, s13
	s_and_saveexec_b32 s13, s31
	s_cbranch_execz .LBB205_8
.LBB205_16:                             ;   in Loop: Header=BB205_9 Depth=1
	v_add_co_u32 v19, vcc_lo, v3, v13
	v_add_co_ci_u32_e64 v20, null, 0, v4, vcc_lo
	v_add_co_u32 v21, vcc_lo, s20, v7
	v_add_co_ci_u32_e64 v22, null, s21, v8, vcc_lo
	v_add_co_u32 v23, vcc_lo, v15, v13
	v_cndmask_b32_e64 v19, v21, v19, s0
	v_cndmask_b32_e64 v20, v22, v20, s0
	v_add_co_u32 v21, s10, s10, v2
	v_add_co_ci_u32_e64 v24, null, 0, v16, vcc_lo
	global_load_dwordx2 v[19:20], v[19:20], off offset:256
	v_add_co_u32 v25, vcc_lo, v12, v13
	v_add_co_ci_u32_e64 v22, null, s11, 0, s10
	v_add_co_ci_u32_e64 v26, null, 0, v14, vcc_lo
	global_store_dwordx2 v[23:24], v[21:22], off offset:256
	s_waitcnt vmcnt(0)
	global_store_dwordx2 v[25:26], v[19:20], off offset:256
	s_branch .LBB205_8
.LBB205_17:
	s_endpgm
	.section	.rodata,"a",@progbits
	.p2align	6, 0x0
	.amdhsa_kernel _ZN9rocsparseL35bsr2csr_block_per_row_33_256_kernelILj1024ELj64ELj32E21rocsparse_complex_numIfEllEEv20rocsparse_direction_T4_S4_21rocsparse_index_base_PKT2_PKT3_PKS4_S4_S5_PS6_PS9_PS4_
		.amdhsa_group_segment_fixed_size 0
		.amdhsa_private_segment_fixed_size 0
		.amdhsa_kernarg_size 96
		.amdhsa_user_sgpr_count 6
		.amdhsa_user_sgpr_private_segment_buffer 1
		.amdhsa_user_sgpr_dispatch_ptr 0
		.amdhsa_user_sgpr_queue_ptr 0
		.amdhsa_user_sgpr_kernarg_segment_ptr 1
		.amdhsa_user_sgpr_dispatch_id 0
		.amdhsa_user_sgpr_flat_scratch_init 0
		.amdhsa_user_sgpr_private_segment_size 0
		.amdhsa_wavefront_size32 1
		.amdhsa_uses_dynamic_stack 0
		.amdhsa_system_sgpr_private_segment_wavefront_offset 0
		.amdhsa_system_sgpr_workgroup_id_x 1
		.amdhsa_system_sgpr_workgroup_id_y 0
		.amdhsa_system_sgpr_workgroup_id_z 0
		.amdhsa_system_sgpr_workgroup_info 0
		.amdhsa_system_vgpr_workitem_id 0
		.amdhsa_next_free_vgpr 28
		.amdhsa_next_free_sgpr 38
		.amdhsa_reserve_vcc 1
		.amdhsa_reserve_flat_scratch 0
		.amdhsa_float_round_mode_32 0
		.amdhsa_float_round_mode_16_64 0
		.amdhsa_float_denorm_mode_32 3
		.amdhsa_float_denorm_mode_16_64 3
		.amdhsa_dx10_clamp 1
		.amdhsa_ieee_mode 1
		.amdhsa_fp16_overflow 0
		.amdhsa_workgroup_processor_mode 1
		.amdhsa_memory_ordered 1
		.amdhsa_forward_progress 1
		.amdhsa_shared_vgpr_count 0
		.amdhsa_exception_fp_ieee_invalid_op 0
		.amdhsa_exception_fp_denorm_src 0
		.amdhsa_exception_fp_ieee_div_zero 0
		.amdhsa_exception_fp_ieee_overflow 0
		.amdhsa_exception_fp_ieee_underflow 0
		.amdhsa_exception_fp_ieee_inexact 0
		.amdhsa_exception_int_div_zero 0
	.end_amdhsa_kernel
	.section	.text._ZN9rocsparseL35bsr2csr_block_per_row_33_256_kernelILj1024ELj64ELj32E21rocsparse_complex_numIfEllEEv20rocsparse_direction_T4_S4_21rocsparse_index_base_PKT2_PKT3_PKS4_S4_S5_PS6_PS9_PS4_,"axG",@progbits,_ZN9rocsparseL35bsr2csr_block_per_row_33_256_kernelILj1024ELj64ELj32E21rocsparse_complex_numIfEllEEv20rocsparse_direction_T4_S4_21rocsparse_index_base_PKT2_PKT3_PKS4_S4_S5_PS6_PS9_PS4_,comdat
.Lfunc_end205:
	.size	_ZN9rocsparseL35bsr2csr_block_per_row_33_256_kernelILj1024ELj64ELj32E21rocsparse_complex_numIfEllEEv20rocsparse_direction_T4_S4_21rocsparse_index_base_PKT2_PKT3_PKS4_S4_S5_PS6_PS9_PS4_, .Lfunc_end205-_ZN9rocsparseL35bsr2csr_block_per_row_33_256_kernelILj1024ELj64ELj32E21rocsparse_complex_numIfEllEEv20rocsparse_direction_T4_S4_21rocsparse_index_base_PKT2_PKT3_PKS4_S4_S5_PS6_PS9_PS4_
                                        ; -- End function
	.set _ZN9rocsparseL35bsr2csr_block_per_row_33_256_kernelILj1024ELj64ELj32E21rocsparse_complex_numIfEllEEv20rocsparse_direction_T4_S4_21rocsparse_index_base_PKT2_PKT3_PKS4_S4_S5_PS6_PS9_PS4_.num_vgpr, 28
	.set _ZN9rocsparseL35bsr2csr_block_per_row_33_256_kernelILj1024ELj64ELj32E21rocsparse_complex_numIfEllEEv20rocsparse_direction_T4_S4_21rocsparse_index_base_PKT2_PKT3_PKS4_S4_S5_PS6_PS9_PS4_.num_agpr, 0
	.set _ZN9rocsparseL35bsr2csr_block_per_row_33_256_kernelILj1024ELj64ELj32E21rocsparse_complex_numIfEllEEv20rocsparse_direction_T4_S4_21rocsparse_index_base_PKT2_PKT3_PKS4_S4_S5_PS6_PS9_PS4_.numbered_sgpr, 38
	.set _ZN9rocsparseL35bsr2csr_block_per_row_33_256_kernelILj1024ELj64ELj32E21rocsparse_complex_numIfEllEEv20rocsparse_direction_T4_S4_21rocsparse_index_base_PKT2_PKT3_PKS4_S4_S5_PS6_PS9_PS4_.num_named_barrier, 0
	.set _ZN9rocsparseL35bsr2csr_block_per_row_33_256_kernelILj1024ELj64ELj32E21rocsparse_complex_numIfEllEEv20rocsparse_direction_T4_S4_21rocsparse_index_base_PKT2_PKT3_PKS4_S4_S5_PS6_PS9_PS4_.private_seg_size, 0
	.set _ZN9rocsparseL35bsr2csr_block_per_row_33_256_kernelILj1024ELj64ELj32E21rocsparse_complex_numIfEllEEv20rocsparse_direction_T4_S4_21rocsparse_index_base_PKT2_PKT3_PKS4_S4_S5_PS6_PS9_PS4_.uses_vcc, 1
	.set _ZN9rocsparseL35bsr2csr_block_per_row_33_256_kernelILj1024ELj64ELj32E21rocsparse_complex_numIfEllEEv20rocsparse_direction_T4_S4_21rocsparse_index_base_PKT2_PKT3_PKS4_S4_S5_PS6_PS9_PS4_.uses_flat_scratch, 0
	.set _ZN9rocsparseL35bsr2csr_block_per_row_33_256_kernelILj1024ELj64ELj32E21rocsparse_complex_numIfEllEEv20rocsparse_direction_T4_S4_21rocsparse_index_base_PKT2_PKT3_PKS4_S4_S5_PS6_PS9_PS4_.has_dyn_sized_stack, 0
	.set _ZN9rocsparseL35bsr2csr_block_per_row_33_256_kernelILj1024ELj64ELj32E21rocsparse_complex_numIfEllEEv20rocsparse_direction_T4_S4_21rocsparse_index_base_PKT2_PKT3_PKS4_S4_S5_PS6_PS9_PS4_.has_recursion, 0
	.set _ZN9rocsparseL35bsr2csr_block_per_row_33_256_kernelILj1024ELj64ELj32E21rocsparse_complex_numIfEllEEv20rocsparse_direction_T4_S4_21rocsparse_index_base_PKT2_PKT3_PKS4_S4_S5_PS6_PS9_PS4_.has_indirect_call, 0
	.section	.AMDGPU.csdata,"",@progbits
; Kernel info:
; codeLenInByte = 1804
; TotalNumSgprs: 40
; NumVgprs: 28
; ScratchSize: 0
; MemoryBound: 0
; FloatMode: 240
; IeeeMode: 1
; LDSByteSize: 0 bytes/workgroup (compile time only)
; SGPRBlocks: 0
; VGPRBlocks: 3
; NumSGPRsForWavesPerEU: 40
; NumVGPRsForWavesPerEU: 28
; Occupancy: 16
; WaveLimiterHint : 1
; COMPUTE_PGM_RSRC2:SCRATCH_EN: 0
; COMPUTE_PGM_RSRC2:USER_SGPR: 6
; COMPUTE_PGM_RSRC2:TRAP_HANDLER: 0
; COMPUTE_PGM_RSRC2:TGID_X_EN: 1
; COMPUTE_PGM_RSRC2:TGID_Y_EN: 0
; COMPUTE_PGM_RSRC2:TGID_Z_EN: 0
; COMPUTE_PGM_RSRC2:TIDIG_COMP_CNT: 0
	.section	.text._ZN9rocsparseL35bsr2csr_block_per_row_33_256_kernelILj1024ELj128ELj32E21rocsparse_complex_numIfEllEEv20rocsparse_direction_T4_S4_21rocsparse_index_base_PKT2_PKT3_PKS4_S4_S5_PS6_PS9_PS4_,"axG",@progbits,_ZN9rocsparseL35bsr2csr_block_per_row_33_256_kernelILj1024ELj128ELj32E21rocsparse_complex_numIfEllEEv20rocsparse_direction_T4_S4_21rocsparse_index_base_PKT2_PKT3_PKS4_S4_S5_PS6_PS9_PS4_,comdat
	.globl	_ZN9rocsparseL35bsr2csr_block_per_row_33_256_kernelILj1024ELj128ELj32E21rocsparse_complex_numIfEllEEv20rocsparse_direction_T4_S4_21rocsparse_index_base_PKT2_PKT3_PKS4_S4_S5_PS6_PS9_PS4_ ; -- Begin function _ZN9rocsparseL35bsr2csr_block_per_row_33_256_kernelILj1024ELj128ELj32E21rocsparse_complex_numIfEllEEv20rocsparse_direction_T4_S4_21rocsparse_index_base_PKT2_PKT3_PKS4_S4_S5_PS6_PS9_PS4_
	.p2align	8
	.type	_ZN9rocsparseL35bsr2csr_block_per_row_33_256_kernelILj1024ELj128ELj32E21rocsparse_complex_numIfEllEEv20rocsparse_direction_T4_S4_21rocsparse_index_base_PKT2_PKT3_PKS4_S4_S5_PS6_PS9_PS4_,@function
_ZN9rocsparseL35bsr2csr_block_per_row_33_256_kernelILj1024ELj128ELj32E21rocsparse_complex_numIfEllEEv20rocsparse_direction_T4_S4_21rocsparse_index_base_PKT2_PKT3_PKS4_S4_S5_PS6_PS9_PS4_: ; @_ZN9rocsparseL35bsr2csr_block_per_row_33_256_kernelILj1024ELj128ELj32E21rocsparse_complex_numIfEllEEv20rocsparse_direction_T4_S4_21rocsparse_index_base_PKT2_PKT3_PKS4_S4_S5_PS6_PS9_PS4_
; %bb.0:
	s_load_dwordx2 s[0:1], s[4:5], 0x28
	s_mov_b32 s11, 0
	s_clause 0x1
	s_load_dword s16, s[4:5], 0x40
	s_load_dwordx2 s[2:3], s[4:5], 0x50
	s_mov_b32 s7, s11
	v_or_b32_e32 v1, s6, v0
	s_lshl_b64 s[8:9], s[6:7], 3
	s_waitcnt lgkmcnt(0)
	s_add_u32 s0, s0, s8
	s_addc_u32 s1, s1, s9
	s_load_dwordx4 s[12:15], s[0:1], 0x0
	s_mov_b32 s0, exec_lo
	v_cmpx_eq_u32_e32 0, v1
	s_cbranch_execz .LBB206_2
; %bb.1:
	s_mov_b32 s17, s11
	v_mov_b32_e32 v1, s16
	v_mov_b32_e32 v3, 0
	;; [unrolled: 1-line block ×3, first 2 shown]
	global_store_dwordx2 v3, v[1:2], s[2:3]
.LBB206_2:
	s_or_b32 exec_lo, exec_lo, s0
	s_clause 0x1
	s_load_dword s10, s[4:5], 0x18
	s_load_dwordx2 s[18:19], s[4:5], 0x38
	v_mov_b32_e32 v22, 0
	v_lshrrev_b32_e32 v21, 5, v0
	v_lshlrev_b32_e32 v23, 3, v21
	s_waitcnt lgkmcnt(0)
	s_sub_u32 s20, s12, s10
	s_subb_u32 s21, s13, 0
	s_mul_hi_u32 s0, s18, s20
	s_mul_i32 s7, s18, s21
	s_sub_u32 s22, s14, s10
	s_mul_i32 s1, s19, s6
	s_mul_hi_u32 s17, s18, s6
	s_mul_i32 s24, s18, s6
	s_mul_i32 s6, s19, s20
	;; [unrolled: 1-line block ×3, first 2 shown]
	s_subb_u32 s23, s15, 0
	s_add_i32 s0, s0, s7
	s_mul_i32 s8, s28, s19
	s_mul_hi_u32 s7, s28, s18
	s_add_i32 s29, s0, s6
	s_add_i32 s0, s7, s8
	s_mul_i32 s6, s29, s18
	s_mul_i32 s8, s28, s18
	s_add_i32 s6, s0, s6
	s_sub_u32 s48, s22, s20
	s_subb_u32 s47, s23, s21
	s_mul_i32 s0, s48, s19
	s_mul_hi_u32 s7, s48, s18
	s_mul_i32 s9, s47, s18
	s_add_i32 s0, s7, s0
	s_mul_i32 s7, s48, s18
	s_add_i32 s0, s0, s9
	s_add_u32 s8, s8, s16
	s_addc_u32 s6, s6, 0
	s_add_u32 s8, s8, s7
	s_addc_u32 s9, s6, s0
	s_add_i32 s25, s17, s1
	v_cmp_gt_i64_e64 s1, s[18:19], v[21:22]
	s_lshl_b64 s[24:25], s[24:25], 3
	s_add_u32 s24, s2, s24
	s_addc_u32 s25, s3, s25
	s_and_saveexec_b32 s2, s1
	s_cbranch_execz .LBB206_4
; %bb.3:
	v_mad_u64_u32 v[1:2], null, v21, s7, s[8:9]
	v_mad_u64_u32 v[2:3], null, v21, s0, v[2:3]
	global_store_dwordx2 v23, v[1:2], s[24:25] offset:8
.LBB206_4:
	s_or_b32 exec_lo, exec_lo, s2
	v_or_b32_e32 v1, 32, v21
	v_mov_b32_e32 v2, v22
	v_cmp_gt_i64_e64 s2, s[18:19], v[1:2]
	s_and_saveexec_b32 s3, s2
	s_cbranch_execz .LBB206_6
; %bb.5:
	v_mad_u64_u32 v[2:3], null, v1, s7, s[8:9]
	v_mad_u64_u32 v[3:4], null, v1, s0, v[3:4]
	global_store_dwordx2 v23, v[2:3], s[24:25] offset:264
.LBB206_6:
	s_or_b32 exec_lo, exec_lo, s3
	v_or_b32_e32 v1, 64, v21
	v_mov_b32_e32 v2, v22
	v_cmp_gt_i64_e64 s3, s[18:19], v[1:2]
	;; [unrolled: 11-line block ×3, first 2 shown]
	s_and_saveexec_b32 s17, s6
	s_cbranch_execz .LBB206_10
; %bb.9:
	v_mad_u64_u32 v[2:3], null, v1, s7, s[8:9]
	v_mad_u64_u32 v[3:4], null, v1, s0, v[3:4]
	global_store_dwordx2 v23, v[2:3], s[24:25] offset:776
.LBB206_10:
	s_or_b32 exec_lo, exec_lo, s17
	v_cmp_lt_i64_e64 s0, s[12:13], s[14:15]
	s_and_b32 vcc_lo, exec_lo, s0
	s_cbranch_vccz .LBB206_45
; %bb.11:
	s_clause 0x2
	s_load_dwordx2 s[34:35], s[4:5], 0x30
	s_load_dwordx2 s[26:27], s[4:5], 0x48
	s_load_dword s0, s[4:5], 0x0
	v_and_b32_e32 v0, 31, v0
	v_mov_b32_e32 v1, 0
	s_clause 0x1
	s_load_dwordx2 s[24:25], s[4:5], 0x20
	s_load_dwordx2 s[30:31], s[4:5], 0x58
	v_or_b32_e32 v2, 32, v0
	v_mov_b32_e32 v3, v1
	v_or_b32_e32 v4, 64, v0
	v_mov_b32_e32 v5, v1
	;; [unrolled: 2-line block ×3, first 2 shown]
	v_cmp_gt_i64_e32 vcc_lo, s[18:19], v[0:1]
	v_cmp_gt_i64_e64 s7, s[18:19], v[2:3]
	v_cmp_gt_i64_e64 s8, s[18:19], v[4:5]
	v_mov_b32_e32 v24, v1
	v_cmp_gt_i64_e64 s9, s[18:19], v[6:7]
	s_waitcnt lgkmcnt(0)
	s_cmp_eq_u32 s0, 0
	s_cselect_b32 s0, -1, 0
	s_lshl_b64 s[4:5], s[28:29], 3
	s_and_b32 s17, s1, vcc_lo
	s_and_b32 s33, s1, s7
	s_and_b32 s36, s1, s8
	s_and_b32 s37, s1, s9
	v_add_co_u32 v5, s1, s4, v23
	v_add_co_ci_u32_e64 v13, null, s5, 0, s1
	s_and_b32 s38, s2, vcc_lo
	v_add_co_u32 v3, s1, 0x300, v5
	v_add_co_ci_u32_e64 v7, null, 0, v13, s1
	s_and_b32 s42, s3, vcc_lo
	v_mul_lo_u32 v10, s19, v3
	s_and_b32 s1, s6, vcc_lo
	v_mul_lo_u32 v9, s18, v7
	v_mad_u64_u32 v[7:8], null, s18, v3, s[24:25]
	v_lshlrev_b32_e32 v3, 3, v0
	v_add_co_u32 v1, vcc_lo, 0x200, v5
	v_mul_lo_u32 v20, s18, v13
	v_mul_lo_u32 v25, s19, v5
	v_add_co_u32 v22, s4, s4, v3
	v_add3_u32 v8, v10, v8, v9
	v_add_co_ci_u32_e64 v9, null, 0, v13, vcc_lo
	v_add_co_u32 v11, vcc_lo, 0x100, v5
	v_add_co_ci_u32_e64 v27, null, s5, 0, s4
	v_add_co_ci_u32_e64 v12, null, 0, v13, vcc_lo
	v_mad_u64_u32 v[13:14], null, s18, v5, s[24:25]
	v_mul_lo_u32 v5, s18, v27
	v_mul_lo_u32 v26, s19, v22
	v_mad_u64_u32 v[15:16], null, s18, v22, v[23:24]
	v_mul_lo_u32 v17, s18, v9
	v_mul_lo_u32 v18, s19, v1
	;; [unrolled: 3-line block ×3, first 2 shown]
	v_mad_u64_u32 v[11:12], null, s18, v11, s[24:25]
	v_add_co_u32 v28, vcc_lo, 0x100, v22
	v_add3_u32 v14, v25, v14, v20
	v_add3_u32 v16, v26, v16, v5
	v_mad_u64_u32 v[25:26], null, v21, s48, s[28:29]
	v_add_co_ci_u32_e64 v29, null, 0, v27, vcc_lo
	v_add3_u32 v12, v19, v12, v1
	v_add_co_u32 v1, vcc_lo, 0x200, v22
	v_add_co_ci_u32_e64 v19, null, 0, v27, vcc_lo
	v_add_co_u32 v22, vcc_lo, 0x300, v22
	v_mul_lo_u32 v31, s19, v1
	v_mul_lo_u32 v30, s18, v19
	v_mad_u64_u32 v[19:20], null, s18, v1, v[23:24]
	v_mov_b32_e32 v1, v26
	v_add3_u32 v10, v18, v10, v17
	v_mul_lo_u32 v5, s18, v29
	v_mul_lo_u32 v29, s19, v28
	v_mad_u64_u32 v[17:18], null, s18, v28, v[23:24]
	v_add_co_ci_u32_e64 v26, null, 0, v27, vcc_lo
	v_mad_u64_u32 v[27:28], null, v21, s47, v[1:2]
	s_and_b32 s39, s2, s7
	s_and_b32 s40, s2, s8
	;; [unrolled: 1-line block ×6, first 2 shown]
	s_mul_i32 s2, s18, s19
	s_mul_hi_u32 s3, s18, s18
	s_and_b32 s46, s6, s7
	s_add_i32 s3, s3, s2
	s_and_b32 s8, s6, s8
	s_add_i32 s3, s3, s2
	s_mul_i32 s2, s18, s18
	s_and_b32 s9, s6, s9
	s_lshl_b64 s[4:5], s[12:13], 3
	s_lshl_b64 s[6:7], s[10:11], 3
	;; [unrolled: 1-line block ×3, first 2 shown]
	v_add3_u32 v18, v29, v18, v5
	v_add3_u32 v20, v31, v20, v30
	v_mul_lo_u32 v1, s18, v26
	v_mul_lo_u32 v30, s19, v25
	;; [unrolled: 1-line block ×3, first 2 shown]
	v_mad_u64_u32 v[28:29], null, s18, v25, 0
	v_mov_b32_e32 v26, v27
	s_sub_u32 s4, s4, s6
	s_subb_u32 s5, s5, s7
	s_add_u32 s4, s34, s4
	s_addc_u32 s5, s35, s5
	s_lshl_b64 s[6:7], s[14:15], 5
	v_mul_lo_u32 v5, s19, v22
	v_mad_u64_u32 v[21:22], null, s18, v22, v[23:24]
	v_mad_u64_u32 v[23:24], null, 0x60, s14, v[25:26]
	v_add_co_u32 v26, vcc_lo, v25, s6
	v_add3_u32 v29, v29, v31, v30
	v_add_co_ci_u32_e64 v30, null, s7, v27, vcc_lo
	s_lshl_b64 s[6:7], s[12:13], 5
	v_add3_u32 v22, v5, v22, v1
	v_sub_co_u32 v26, vcc_lo, v26, s6
	v_subrev_co_ci_u32_e64 v30, null, s7, v30, vcc_lo
	v_mov_b32_e32 v1, v24
	s_mul_i32 s6, s13, 0x60
	s_mul_hi_u32 s7, s12, 0x60
	v_mul_lo_u32 v33, s18, v30
	v_lshlrev_b64 v[28:29], 3, v[28:29]
	v_mad_u64_u32 v[30:31], null, 0x60, s15, v[1:2]
	v_mul_lo_u32 v24, s19, v26
	v_mad_u64_u32 v[31:32], null, s18, v26, 0
	s_add_i32 s7, s7, s6
	s_mul_i32 s6, s12, 0x60
	v_sub_co_u32 v23, vcc_lo, v23, s6
	v_subrev_co_ci_u32_e64 v26, null, s7, v30, vcc_lo
	v_add_co_u32 v1, vcc_lo, s30, v28
	s_lshl_b64 s[6:7], s[14:15], 6
	v_add_co_ci_u32_e64 v5, null, s31, v29, vcc_lo
	v_add3_u32 v32, v32, v33, v24
	v_mul_lo_u32 v30, s19, v23
	v_mad_u64_u32 v[33:34], null, s18, v23, 0
	v_add_co_u32 v23, vcc_lo, v25, s6
	v_add_co_ci_u32_e64 v24, null, s7, v27, vcc_lo
	s_lshl_b64 s[6:7], s[12:13], 6
	v_mul_lo_u32 v26, s18, v26
	v_sub_co_u32 v25, vcc_lo, v23, s6
	v_subrev_co_ci_u32_e64 v35, null, s7, v24, vcc_lo
	v_add_co_u32 v23, vcc_lo, s26, v28
	v_add_co_ci_u32_e64 v24, null, s27, v29, vcc_lo
	v_lshlrev_b64 v[27:28], 3, v[31:32]
	v_add3_u32 v34, v34, v26, v30
	v_mul_lo_u32 v29, s19, v25
	v_mul_lo_u32 v30, s18, v35
	v_mad_u64_u32 v[31:32], null, s18, v25, 0
	v_lshlrev_b64 v[33:34], 3, v[33:34]
	v_add_co_u32 v25, vcc_lo, s26, v27
	v_add_co_ci_u32_e64 v26, null, s27, v28, vcc_lo
	v_add_co_u32 v27, vcc_lo, s30, v27
	v_add3_u32 v32, v32, v30, v29
	v_add_co_ci_u32_e64 v28, null, s31, v28, vcc_lo
	v_add_co_u32 v29, vcc_lo, s30, v33
	v_lshlrev_b64 v[35:36], 3, v[31:32]
	v_add_co_ci_u32_e64 v30, null, s31, v34, vcc_lo
	v_add_co_u32 v31, vcc_lo, s26, v33
	v_add_co_ci_u32_e64 v32, null, s27, v34, vcc_lo
	v_add_co_u32 v33, vcc_lo, s26, v35
	;; [unrolled: 2-line block ×3, first 2 shown]
	v_add_co_ci_u32_e64 v36, null, s31, v36, vcc_lo
	s_lshl_b64 s[6:7], s[18:19], 3
	s_branch .LBB206_13
.LBB206_12:                             ;   in Loop: Header=BB206_13 Depth=1
	s_or_b32 exec_lo, exec_lo, s13
	v_add_co_u32 v7, vcc_lo, v7, s2
	v_add_co_ci_u32_e64 v8, null, s3, v8, vcc_lo
	v_add_co_u32 v9, vcc_lo, v9, s2
	v_add_co_ci_u32_e64 v10, null, s3, v10, vcc_lo
	;; [unrolled: 2-line block ×8, first 2 shown]
	v_add_co_u32 v29, vcc_lo, v29, s6
	s_add_u32 s20, s20, 1
	v_add_co_ci_u32_e64 v30, null, s7, v30, vcc_lo
	v_add_co_u32 v31, vcc_lo, v31, s6
	s_addc_u32 s21, s21, 0
	v_add_co_ci_u32_e64 v32, null, s7, v32, vcc_lo
	v_add_co_u32 v33, vcc_lo, v33, s6
	v_cmp_ge_i64_e64 s11, s[20:21], s[22:23]
	v_add_co_ci_u32_e64 v34, null, s7, v34, vcc_lo
	v_add_co_u32 v35, vcc_lo, v35, s6
	s_add_u32 s24, s24, s2
	v_add_co_ci_u32_e64 v36, null, s7, v36, vcc_lo
	s_addc_u32 s25, s25, s3
	s_add_u32 s4, s4, 8
	s_addc_u32 s5, s5, 0
	s_and_b32 vcc_lo, exec_lo, s11
	s_cbranch_vccnz .LBB206_45
.LBB206_13:                             ; =>This Inner Loop Header: Depth=1
	s_load_dwordx2 s[12:13], s[4:5], 0x0
	s_waitcnt lgkmcnt(0)
	s_sub_u32 s11, s12, s10
	s_subb_u32 s13, s13, 0
	s_mul_i32 s12, s11, s19
	s_mul_hi_u32 s14, s11, s18
	s_mul_i32 s13, s13, s18
	s_add_i32 s12, s14, s12
	s_mul_i32 s11, s11, s18
	s_add_i32 s12, s12, s13
	s_add_u32 s11, s11, s16
	s_addc_u32 s12, s12, 0
	s_and_saveexec_b32 s13, s17
	s_cbranch_execnz .LBB206_29
; %bb.14:                               ;   in Loop: Header=BB206_13 Depth=1
	s_or_b32 exec_lo, exec_lo, s13
	s_and_saveexec_b32 s13, s33
	s_cbranch_execnz .LBB206_30
.LBB206_15:                             ;   in Loop: Header=BB206_13 Depth=1
	s_or_b32 exec_lo, exec_lo, s13
	s_and_saveexec_b32 s13, s36
	s_cbranch_execnz .LBB206_31
.LBB206_16:                             ;   in Loop: Header=BB206_13 Depth=1
	s_or_b32 exec_lo, exec_lo, s13
	s_and_saveexec_b32 s13, s37
	s_cbranch_execnz .LBB206_32
.LBB206_17:                             ;   in Loop: Header=BB206_13 Depth=1
	s_or_b32 exec_lo, exec_lo, s13
	s_and_saveexec_b32 s13, s38
	s_cbranch_execnz .LBB206_33
.LBB206_18:                             ;   in Loop: Header=BB206_13 Depth=1
	s_or_b32 exec_lo, exec_lo, s13
	s_and_saveexec_b32 s13, s39
	s_cbranch_execnz .LBB206_34
.LBB206_19:                             ;   in Loop: Header=BB206_13 Depth=1
	s_or_b32 exec_lo, exec_lo, s13
	s_and_saveexec_b32 s13, s40
	s_cbranch_execnz .LBB206_35
.LBB206_20:                             ;   in Loop: Header=BB206_13 Depth=1
	s_or_b32 exec_lo, exec_lo, s13
	s_and_saveexec_b32 s13, s41
	s_cbranch_execnz .LBB206_36
.LBB206_21:                             ;   in Loop: Header=BB206_13 Depth=1
	s_or_b32 exec_lo, exec_lo, s13
	s_and_saveexec_b32 s13, s42
	s_cbranch_execnz .LBB206_37
.LBB206_22:                             ;   in Loop: Header=BB206_13 Depth=1
	s_or_b32 exec_lo, exec_lo, s13
	s_and_saveexec_b32 s13, s43
	s_cbranch_execnz .LBB206_38
.LBB206_23:                             ;   in Loop: Header=BB206_13 Depth=1
	s_or_b32 exec_lo, exec_lo, s13
	s_and_saveexec_b32 s13, s44
	s_cbranch_execnz .LBB206_39
.LBB206_24:                             ;   in Loop: Header=BB206_13 Depth=1
	s_or_b32 exec_lo, exec_lo, s13
	s_and_saveexec_b32 s13, s45
	s_cbranch_execnz .LBB206_40
.LBB206_25:                             ;   in Loop: Header=BB206_13 Depth=1
	s_or_b32 exec_lo, exec_lo, s13
	s_and_saveexec_b32 s13, s1
	s_cbranch_execnz .LBB206_41
.LBB206_26:                             ;   in Loop: Header=BB206_13 Depth=1
	s_or_b32 exec_lo, exec_lo, s13
	s_and_saveexec_b32 s13, s46
	s_cbranch_execnz .LBB206_42
.LBB206_27:                             ;   in Loop: Header=BB206_13 Depth=1
	s_or_b32 exec_lo, exec_lo, s13
	s_and_saveexec_b32 s13, s8
	s_cbranch_execnz .LBB206_43
.LBB206_28:                             ;   in Loop: Header=BB206_13 Depth=1
	s_or_b32 exec_lo, exec_lo, s13
	s_and_saveexec_b32 s13, s9
	s_cbranch_execz .LBB206_12
	s_branch .LBB206_44
.LBB206_29:                             ;   in Loop: Header=BB206_13 Depth=1
	v_add_co_u32 v37, vcc_lo, v13, v3
	v_add_co_ci_u32_e64 v38, null, 0, v14, vcc_lo
	v_add_co_u32 v39, vcc_lo, s24, v15
	v_add_co_ci_u32_e64 v40, null, s25, v16, vcc_lo
	v_add_co_u32 v41, vcc_lo, v1, v3
	v_cndmask_b32_e64 v37, v39, v37, s0
	v_cndmask_b32_e64 v38, v40, v38, s0
	v_add_co_u32 v39, s14, s11, v0
	v_add_co_ci_u32_e64 v42, null, 0, v5, vcc_lo
	global_load_dwordx2 v[37:38], v[37:38], off
	v_add_co_u32 v43, vcc_lo, v23, v3
	v_add_co_ci_u32_e64 v40, null, s12, 0, s14
	v_add_co_ci_u32_e64 v44, null, 0, v24, vcc_lo
	global_store_dwordx2 v[41:42], v[39:40], off
	s_waitcnt vmcnt(0)
	global_store_dwordx2 v[43:44], v[37:38], off
	s_or_b32 exec_lo, exec_lo, s13
	s_and_saveexec_b32 s13, s33
	s_cbranch_execz .LBB206_15
.LBB206_30:                             ;   in Loop: Header=BB206_13 Depth=1
	v_add_co_u32 v37, vcc_lo, v13, v3
	v_add_co_ci_u32_e64 v38, null, 0, v14, vcc_lo
	v_add_co_u32 v37, vcc_lo, 0x100, v37
	v_add_co_ci_u32_e64 v38, null, 0, v38, vcc_lo
	;; [unrolled: 2-line block ×3, first 2 shown]
	v_add_co_u32 v41, vcc_lo, v1, v3
	v_cndmask_b32_e64 v37, v39, v37, s0
	v_cndmask_b32_e64 v38, v40, v38, s0
	v_add_co_u32 v39, s14, s11, v2
	v_add_co_ci_u32_e64 v42, null, 0, v5, vcc_lo
	global_load_dwordx2 v[37:38], v[37:38], off
	v_add_co_u32 v43, vcc_lo, v23, v3
	v_add_co_ci_u32_e64 v40, null, s12, 0, s14
	v_add_co_ci_u32_e64 v44, null, 0, v24, vcc_lo
	global_store_dwordx2 v[41:42], v[39:40], off offset:256
	s_waitcnt vmcnt(0)
	global_store_dwordx2 v[43:44], v[37:38], off offset:256
	s_or_b32 exec_lo, exec_lo, s13
	s_and_saveexec_b32 s13, s36
	s_cbranch_execz .LBB206_16
.LBB206_31:                             ;   in Loop: Header=BB206_13 Depth=1
	v_add_co_u32 v37, vcc_lo, v13, v3
	v_add_co_ci_u32_e64 v38, null, 0, v14, vcc_lo
	v_add_co_u32 v37, vcc_lo, 0x200, v37
	v_add_co_ci_u32_e64 v38, null, 0, v38, vcc_lo
	;; [unrolled: 2-line block ×3, first 2 shown]
	v_add_co_u32 v41, vcc_lo, v1, v3
	v_cndmask_b32_e64 v37, v39, v37, s0
	v_cndmask_b32_e64 v38, v40, v38, s0
	v_add_co_u32 v39, s14, s11, v4
	v_add_co_ci_u32_e64 v42, null, 0, v5, vcc_lo
	global_load_dwordx2 v[37:38], v[37:38], off
	v_add_co_u32 v43, vcc_lo, v23, v3
	v_add_co_ci_u32_e64 v40, null, s12, 0, s14
	v_add_co_ci_u32_e64 v44, null, 0, v24, vcc_lo
	global_store_dwordx2 v[41:42], v[39:40], off offset:512
	s_waitcnt vmcnt(0)
	global_store_dwordx2 v[43:44], v[37:38], off offset:512
	s_or_b32 exec_lo, exec_lo, s13
	s_and_saveexec_b32 s13, s37
	s_cbranch_execz .LBB206_17
.LBB206_32:                             ;   in Loop: Header=BB206_13 Depth=1
	v_add_co_u32 v37, vcc_lo, v13, v3
	v_add_co_ci_u32_e64 v38, null, 0, v14, vcc_lo
	v_add_co_u32 v37, vcc_lo, 0x300, v37
	v_add_co_ci_u32_e64 v38, null, 0, v38, vcc_lo
	;; [unrolled: 2-line block ×3, first 2 shown]
	v_add_co_u32 v41, vcc_lo, v1, v3
	v_cndmask_b32_e64 v37, v39, v37, s0
	v_cndmask_b32_e64 v38, v40, v38, s0
	v_add_co_u32 v39, s14, s11, v6
	v_add_co_ci_u32_e64 v42, null, 0, v5, vcc_lo
	global_load_dwordx2 v[37:38], v[37:38], off
	v_add_co_u32 v43, vcc_lo, v23, v3
	v_add_co_ci_u32_e64 v40, null, s12, 0, s14
	v_add_co_ci_u32_e64 v44, null, 0, v24, vcc_lo
	global_store_dwordx2 v[41:42], v[39:40], off offset:768
	s_waitcnt vmcnt(0)
	global_store_dwordx2 v[43:44], v[37:38], off offset:768
	s_or_b32 exec_lo, exec_lo, s13
	s_and_saveexec_b32 s13, s38
	s_cbranch_execz .LBB206_18
.LBB206_33:                             ;   in Loop: Header=BB206_13 Depth=1
	v_add_co_u32 v37, vcc_lo, s24, v15
	v_add_co_ci_u32_e64 v38, null, s25, v16, vcc_lo
	v_add_co_u32 v39, vcc_lo, v11, v3
	v_add_co_ci_u32_e64 v40, null, 0, v12, vcc_lo
	;; [unrolled: 2-line block ×3, first 2 shown]
	v_add_co_u32 v41, vcc_lo, v27, v3
	v_cndmask_b32_e64 v37, v37, v39, s0
	v_cndmask_b32_e64 v38, v38, v40, s0
	v_add_co_u32 v39, s14, s11, v0
	v_add_co_ci_u32_e64 v42, null, 0, v28, vcc_lo
	global_load_dwordx2 v[37:38], v[37:38], off
	v_add_co_u32 v43, vcc_lo, v25, v3
	v_add_co_ci_u32_e64 v40, null, s12, 0, s14
	v_add_co_ci_u32_e64 v44, null, 0, v26, vcc_lo
	global_store_dwordx2 v[41:42], v[39:40], off
	s_waitcnt vmcnt(0)
	global_store_dwordx2 v[43:44], v[37:38], off
	s_or_b32 exec_lo, exec_lo, s13
	s_and_saveexec_b32 s13, s39
	s_cbranch_execz .LBB206_19
.LBB206_34:                             ;   in Loop: Header=BB206_13 Depth=1
	v_add_co_u32 v37, vcc_lo, v11, v3
	v_add_co_ci_u32_e64 v38, null, 0, v12, vcc_lo
	v_add_co_u32 v39, vcc_lo, s24, v17
	v_add_co_ci_u32_e64 v40, null, s25, v18, vcc_lo
	v_add_co_u32 v41, vcc_lo, v27, v3
	v_cndmask_b32_e64 v37, v39, v37, s0
	v_cndmask_b32_e64 v38, v40, v38, s0
	v_add_co_u32 v39, s14, s11, v2
	v_add_co_ci_u32_e64 v42, null, 0, v28, vcc_lo
	global_load_dwordx2 v[37:38], v[37:38], off offset:256
	v_add_co_u32 v43, vcc_lo, v25, v3
	v_add_co_ci_u32_e64 v40, null, s12, 0, s14
	v_add_co_ci_u32_e64 v44, null, 0, v26, vcc_lo
	global_store_dwordx2 v[41:42], v[39:40], off offset:256
	s_waitcnt vmcnt(0)
	global_store_dwordx2 v[43:44], v[37:38], off offset:256
	s_or_b32 exec_lo, exec_lo, s13
	s_and_saveexec_b32 s13, s40
	s_cbranch_execz .LBB206_20
.LBB206_35:                             ;   in Loop: Header=BB206_13 Depth=1
	v_add_co_u32 v37, vcc_lo, v11, v3
	v_add_co_ci_u32_e64 v38, null, 0, v12, vcc_lo
	v_add_co_u32 v39, vcc_lo, s24, v19
	v_add_co_ci_u32_e64 v40, null, s25, v20, vcc_lo
	;; [unrolled: 2-line block ×4, first 2 shown]
	v_add_co_u32 v41, vcc_lo, v27, v3
	v_cndmask_b32_e64 v37, v39, v37, s0
	v_cndmask_b32_e64 v38, v40, v38, s0
	v_add_co_u32 v39, s14, s11, v4
	v_add_co_ci_u32_e64 v42, null, 0, v28, vcc_lo
	global_load_dwordx2 v[37:38], v[37:38], off
	v_add_co_u32 v43, vcc_lo, v25, v3
	v_add_co_ci_u32_e64 v40, null, s12, 0, s14
	v_add_co_ci_u32_e64 v44, null, 0, v26, vcc_lo
	global_store_dwordx2 v[41:42], v[39:40], off offset:512
	s_waitcnt vmcnt(0)
	global_store_dwordx2 v[43:44], v[37:38], off offset:512
	s_or_b32 exec_lo, exec_lo, s13
	s_and_saveexec_b32 s13, s41
	s_cbranch_execz .LBB206_21
.LBB206_36:                             ;   in Loop: Header=BB206_13 Depth=1
	v_add_co_u32 v37, vcc_lo, v11, v3
	v_add_co_ci_u32_e64 v38, null, 0, v12, vcc_lo
	v_add_co_u32 v39, vcc_lo, s24, v21
	v_add_co_ci_u32_e64 v40, null, s25, v22, vcc_lo
	;; [unrolled: 2-line block ×4, first 2 shown]
	v_add_co_u32 v41, vcc_lo, v27, v3
	v_cndmask_b32_e64 v37, v39, v37, s0
	v_cndmask_b32_e64 v38, v40, v38, s0
	v_add_co_u32 v39, s14, s11, v6
	v_add_co_ci_u32_e64 v42, null, 0, v28, vcc_lo
	global_load_dwordx2 v[37:38], v[37:38], off
	v_add_co_u32 v43, vcc_lo, v25, v3
	v_add_co_ci_u32_e64 v40, null, s12, 0, s14
	v_add_co_ci_u32_e64 v44, null, 0, v26, vcc_lo
	global_store_dwordx2 v[41:42], v[39:40], off offset:768
	s_waitcnt vmcnt(0)
	global_store_dwordx2 v[43:44], v[37:38], off offset:768
	s_or_b32 exec_lo, exec_lo, s13
	s_and_saveexec_b32 s13, s42
	s_cbranch_execz .LBB206_22
.LBB206_37:                             ;   in Loop: Header=BB206_13 Depth=1
	v_add_co_u32 v37, vcc_lo, s24, v15
	v_add_co_ci_u32_e64 v38, null, s25, v16, vcc_lo
	v_add_co_u32 v39, vcc_lo, v9, v3
	v_add_co_ci_u32_e64 v40, null, 0, v10, vcc_lo
	;; [unrolled: 2-line block ×3, first 2 shown]
	v_add_co_u32 v41, vcc_lo, v35, v3
	v_cndmask_b32_e64 v37, v37, v39, s0
	v_cndmask_b32_e64 v38, v38, v40, s0
	v_add_co_u32 v39, s14, s11, v0
	v_add_co_ci_u32_e64 v42, null, 0, v36, vcc_lo
	global_load_dwordx2 v[37:38], v[37:38], off
	v_add_co_u32 v43, vcc_lo, v33, v3
	v_add_co_ci_u32_e64 v40, null, s12, 0, s14
	v_add_co_ci_u32_e64 v44, null, 0, v34, vcc_lo
	global_store_dwordx2 v[41:42], v[39:40], off
	s_waitcnt vmcnt(0)
	global_store_dwordx2 v[43:44], v[37:38], off
	s_or_b32 exec_lo, exec_lo, s13
	s_and_saveexec_b32 s13, s43
	s_cbranch_execz .LBB206_23
.LBB206_38:                             ;   in Loop: Header=BB206_13 Depth=1
	v_add_co_u32 v37, vcc_lo, v9, v3
	v_add_co_ci_u32_e64 v38, null, 0, v10, vcc_lo
	v_add_co_u32 v39, vcc_lo, s24, v17
	v_add_co_ci_u32_e64 v40, null, s25, v18, vcc_lo
	;; [unrolled: 2-line block ×4, first 2 shown]
	v_add_co_u32 v41, vcc_lo, v35, v3
	v_cndmask_b32_e64 v37, v39, v37, s0
	v_cndmask_b32_e64 v38, v40, v38, s0
	v_add_co_u32 v39, s14, s11, v2
	v_add_co_ci_u32_e64 v42, null, 0, v36, vcc_lo
	global_load_dwordx2 v[37:38], v[37:38], off
	v_add_co_u32 v43, vcc_lo, v33, v3
	v_add_co_ci_u32_e64 v40, null, s12, 0, s14
	v_add_co_ci_u32_e64 v44, null, 0, v34, vcc_lo
	global_store_dwordx2 v[41:42], v[39:40], off offset:256
	s_waitcnt vmcnt(0)
	global_store_dwordx2 v[43:44], v[37:38], off offset:256
	s_or_b32 exec_lo, exec_lo, s13
	s_and_saveexec_b32 s13, s44
	s_cbranch_execz .LBB206_24
.LBB206_39:                             ;   in Loop: Header=BB206_13 Depth=1
	v_add_co_u32 v37, vcc_lo, v9, v3
	v_add_co_ci_u32_e64 v38, null, 0, v10, vcc_lo
	v_add_co_u32 v39, vcc_lo, s24, v19
	v_add_co_ci_u32_e64 v40, null, s25, v20, vcc_lo
	v_add_co_u32 v41, vcc_lo, v35, v3
	v_cndmask_b32_e64 v37, v39, v37, s0
	v_cndmask_b32_e64 v38, v40, v38, s0
	v_add_co_u32 v39, s14, s11, v4
	v_add_co_ci_u32_e64 v42, null, 0, v36, vcc_lo
	global_load_dwordx2 v[37:38], v[37:38], off offset:512
	v_add_co_u32 v43, vcc_lo, v33, v3
	v_add_co_ci_u32_e64 v40, null, s12, 0, s14
	v_add_co_ci_u32_e64 v44, null, 0, v34, vcc_lo
	global_store_dwordx2 v[41:42], v[39:40], off offset:512
	s_waitcnt vmcnt(0)
	global_store_dwordx2 v[43:44], v[37:38], off offset:512
	s_or_b32 exec_lo, exec_lo, s13
	s_and_saveexec_b32 s13, s45
	s_cbranch_execz .LBB206_25
.LBB206_40:                             ;   in Loop: Header=BB206_13 Depth=1
	v_add_co_u32 v37, vcc_lo, v9, v3
	v_add_co_ci_u32_e64 v38, null, 0, v10, vcc_lo
	v_add_co_u32 v39, vcc_lo, s24, v21
	v_add_co_ci_u32_e64 v40, null, s25, v22, vcc_lo
	;; [unrolled: 2-line block ×4, first 2 shown]
	v_add_co_u32 v41, vcc_lo, v35, v3
	v_cndmask_b32_e64 v37, v39, v37, s0
	v_cndmask_b32_e64 v38, v40, v38, s0
	v_add_co_u32 v39, s14, s11, v6
	v_add_co_ci_u32_e64 v42, null, 0, v36, vcc_lo
	global_load_dwordx2 v[37:38], v[37:38], off
	v_add_co_u32 v43, vcc_lo, v33, v3
	v_add_co_ci_u32_e64 v40, null, s12, 0, s14
	v_add_co_ci_u32_e64 v44, null, 0, v34, vcc_lo
	global_store_dwordx2 v[41:42], v[39:40], off offset:768
	s_waitcnt vmcnt(0)
	global_store_dwordx2 v[43:44], v[37:38], off offset:768
	s_or_b32 exec_lo, exec_lo, s13
	s_and_saveexec_b32 s13, s1
	s_cbranch_execz .LBB206_26
.LBB206_41:                             ;   in Loop: Header=BB206_13 Depth=1
	v_add_co_u32 v37, vcc_lo, s24, v15
	v_add_co_ci_u32_e64 v38, null, s25, v16, vcc_lo
	v_add_co_u32 v39, vcc_lo, v7, v3
	v_add_co_ci_u32_e64 v40, null, 0, v8, vcc_lo
	;; [unrolled: 2-line block ×3, first 2 shown]
	v_add_co_u32 v41, vcc_lo, v29, v3
	v_cndmask_b32_e64 v37, v37, v39, s0
	v_cndmask_b32_e64 v38, v38, v40, s0
	v_add_co_u32 v39, s14, s11, v0
	v_add_co_ci_u32_e64 v42, null, 0, v30, vcc_lo
	global_load_dwordx2 v[37:38], v[37:38], off
	v_add_co_u32 v43, vcc_lo, v31, v3
	v_add_co_ci_u32_e64 v40, null, s12, 0, s14
	v_add_co_ci_u32_e64 v44, null, 0, v32, vcc_lo
	global_store_dwordx2 v[41:42], v[39:40], off
	s_waitcnt vmcnt(0)
	global_store_dwordx2 v[43:44], v[37:38], off
	s_or_b32 exec_lo, exec_lo, s13
	s_and_saveexec_b32 s13, s46
	s_cbranch_execz .LBB206_27
.LBB206_42:                             ;   in Loop: Header=BB206_13 Depth=1
	v_add_co_u32 v37, vcc_lo, v7, v3
	v_add_co_ci_u32_e64 v38, null, 0, v8, vcc_lo
	v_add_co_u32 v39, vcc_lo, s24, v17
	v_add_co_ci_u32_e64 v40, null, s25, v18, vcc_lo
	;; [unrolled: 2-line block ×4, first 2 shown]
	v_add_co_u32 v41, vcc_lo, v29, v3
	v_cndmask_b32_e64 v37, v39, v37, s0
	v_cndmask_b32_e64 v38, v40, v38, s0
	v_add_co_u32 v39, s14, s11, v2
	v_add_co_ci_u32_e64 v42, null, 0, v30, vcc_lo
	global_load_dwordx2 v[37:38], v[37:38], off
	v_add_co_u32 v43, vcc_lo, v31, v3
	v_add_co_ci_u32_e64 v40, null, s12, 0, s14
	v_add_co_ci_u32_e64 v44, null, 0, v32, vcc_lo
	global_store_dwordx2 v[41:42], v[39:40], off offset:256
	s_waitcnt vmcnt(0)
	global_store_dwordx2 v[43:44], v[37:38], off offset:256
	s_or_b32 exec_lo, exec_lo, s13
	s_and_saveexec_b32 s13, s8
	s_cbranch_execz .LBB206_28
.LBB206_43:                             ;   in Loop: Header=BB206_13 Depth=1
	v_add_co_u32 v37, vcc_lo, v7, v3
	v_add_co_ci_u32_e64 v38, null, 0, v8, vcc_lo
	v_add_co_u32 v39, vcc_lo, s24, v19
	v_add_co_ci_u32_e64 v40, null, s25, v20, vcc_lo
	;; [unrolled: 2-line block ×4, first 2 shown]
	v_add_co_u32 v41, vcc_lo, v29, v3
	v_cndmask_b32_e64 v37, v39, v37, s0
	v_cndmask_b32_e64 v38, v40, v38, s0
	v_add_co_u32 v39, s14, s11, v4
	v_add_co_ci_u32_e64 v42, null, 0, v30, vcc_lo
	global_load_dwordx2 v[37:38], v[37:38], off
	v_add_co_u32 v43, vcc_lo, v31, v3
	v_add_co_ci_u32_e64 v40, null, s12, 0, s14
	v_add_co_ci_u32_e64 v44, null, 0, v32, vcc_lo
	global_store_dwordx2 v[41:42], v[39:40], off offset:512
	s_waitcnt vmcnt(0)
	global_store_dwordx2 v[43:44], v[37:38], off offset:512
	s_or_b32 exec_lo, exec_lo, s13
	s_and_saveexec_b32 s13, s9
	s_cbranch_execz .LBB206_12
.LBB206_44:                             ;   in Loop: Header=BB206_13 Depth=1
	v_add_co_u32 v37, vcc_lo, v7, v3
	v_add_co_ci_u32_e64 v38, null, 0, v8, vcc_lo
	v_add_co_u32 v39, vcc_lo, s24, v21
	v_add_co_ci_u32_e64 v40, null, s25, v22, vcc_lo
	v_add_co_u32 v41, vcc_lo, v29, v3
	v_cndmask_b32_e64 v37, v39, v37, s0
	v_cndmask_b32_e64 v38, v40, v38, s0
	v_add_co_u32 v39, s11, s11, v6
	v_add_co_ci_u32_e64 v42, null, 0, v30, vcc_lo
	global_load_dwordx2 v[37:38], v[37:38], off offset:768
	v_add_co_u32 v43, vcc_lo, v31, v3
	v_add_co_ci_u32_e64 v40, null, s12, 0, s11
	v_add_co_ci_u32_e64 v44, null, 0, v32, vcc_lo
	global_store_dwordx2 v[41:42], v[39:40], off offset:768
	s_waitcnt vmcnt(0)
	global_store_dwordx2 v[43:44], v[37:38], off offset:768
	s_branch .LBB206_12
.LBB206_45:
	s_endpgm
	.section	.rodata,"a",@progbits
	.p2align	6, 0x0
	.amdhsa_kernel _ZN9rocsparseL35bsr2csr_block_per_row_33_256_kernelILj1024ELj128ELj32E21rocsparse_complex_numIfEllEEv20rocsparse_direction_T4_S4_21rocsparse_index_base_PKT2_PKT3_PKS4_S4_S5_PS6_PS9_PS4_
		.amdhsa_group_segment_fixed_size 0
		.amdhsa_private_segment_fixed_size 0
		.amdhsa_kernarg_size 96
		.amdhsa_user_sgpr_count 6
		.amdhsa_user_sgpr_private_segment_buffer 1
		.amdhsa_user_sgpr_dispatch_ptr 0
		.amdhsa_user_sgpr_queue_ptr 0
		.amdhsa_user_sgpr_kernarg_segment_ptr 1
		.amdhsa_user_sgpr_dispatch_id 0
		.amdhsa_user_sgpr_flat_scratch_init 0
		.amdhsa_user_sgpr_private_segment_size 0
		.amdhsa_wavefront_size32 1
		.amdhsa_uses_dynamic_stack 0
		.amdhsa_system_sgpr_private_segment_wavefront_offset 0
		.amdhsa_system_sgpr_workgroup_id_x 1
		.amdhsa_system_sgpr_workgroup_id_y 0
		.amdhsa_system_sgpr_workgroup_id_z 0
		.amdhsa_system_sgpr_workgroup_info 0
		.amdhsa_system_vgpr_workitem_id 0
		.amdhsa_next_free_vgpr 45
		.amdhsa_next_free_sgpr 49
		.amdhsa_reserve_vcc 1
		.amdhsa_reserve_flat_scratch 0
		.amdhsa_float_round_mode_32 0
		.amdhsa_float_round_mode_16_64 0
		.amdhsa_float_denorm_mode_32 3
		.amdhsa_float_denorm_mode_16_64 3
		.amdhsa_dx10_clamp 1
		.amdhsa_ieee_mode 1
		.amdhsa_fp16_overflow 0
		.amdhsa_workgroup_processor_mode 1
		.amdhsa_memory_ordered 1
		.amdhsa_forward_progress 1
		.amdhsa_shared_vgpr_count 0
		.amdhsa_exception_fp_ieee_invalid_op 0
		.amdhsa_exception_fp_denorm_src 0
		.amdhsa_exception_fp_ieee_div_zero 0
		.amdhsa_exception_fp_ieee_overflow 0
		.amdhsa_exception_fp_ieee_underflow 0
		.amdhsa_exception_fp_ieee_inexact 0
		.amdhsa_exception_int_div_zero 0
	.end_amdhsa_kernel
	.section	.text._ZN9rocsparseL35bsr2csr_block_per_row_33_256_kernelILj1024ELj128ELj32E21rocsparse_complex_numIfEllEEv20rocsparse_direction_T4_S4_21rocsparse_index_base_PKT2_PKT3_PKS4_S4_S5_PS6_PS9_PS4_,"axG",@progbits,_ZN9rocsparseL35bsr2csr_block_per_row_33_256_kernelILj1024ELj128ELj32E21rocsparse_complex_numIfEllEEv20rocsparse_direction_T4_S4_21rocsparse_index_base_PKT2_PKT3_PKS4_S4_S5_PS6_PS9_PS4_,comdat
.Lfunc_end206:
	.size	_ZN9rocsparseL35bsr2csr_block_per_row_33_256_kernelILj1024ELj128ELj32E21rocsparse_complex_numIfEllEEv20rocsparse_direction_T4_S4_21rocsparse_index_base_PKT2_PKT3_PKS4_S4_S5_PS6_PS9_PS4_, .Lfunc_end206-_ZN9rocsparseL35bsr2csr_block_per_row_33_256_kernelILj1024ELj128ELj32E21rocsparse_complex_numIfEllEEv20rocsparse_direction_T4_S4_21rocsparse_index_base_PKT2_PKT3_PKS4_S4_S5_PS6_PS9_PS4_
                                        ; -- End function
	.set _ZN9rocsparseL35bsr2csr_block_per_row_33_256_kernelILj1024ELj128ELj32E21rocsparse_complex_numIfEllEEv20rocsparse_direction_T4_S4_21rocsparse_index_base_PKT2_PKT3_PKS4_S4_S5_PS6_PS9_PS4_.num_vgpr, 45
	.set _ZN9rocsparseL35bsr2csr_block_per_row_33_256_kernelILj1024ELj128ELj32E21rocsparse_complex_numIfEllEEv20rocsparse_direction_T4_S4_21rocsparse_index_base_PKT2_PKT3_PKS4_S4_S5_PS6_PS9_PS4_.num_agpr, 0
	.set _ZN9rocsparseL35bsr2csr_block_per_row_33_256_kernelILj1024ELj128ELj32E21rocsparse_complex_numIfEllEEv20rocsparse_direction_T4_S4_21rocsparse_index_base_PKT2_PKT3_PKS4_S4_S5_PS6_PS9_PS4_.numbered_sgpr, 49
	.set _ZN9rocsparseL35bsr2csr_block_per_row_33_256_kernelILj1024ELj128ELj32E21rocsparse_complex_numIfEllEEv20rocsparse_direction_T4_S4_21rocsparse_index_base_PKT2_PKT3_PKS4_S4_S5_PS6_PS9_PS4_.num_named_barrier, 0
	.set _ZN9rocsparseL35bsr2csr_block_per_row_33_256_kernelILj1024ELj128ELj32E21rocsparse_complex_numIfEllEEv20rocsparse_direction_T4_S4_21rocsparse_index_base_PKT2_PKT3_PKS4_S4_S5_PS6_PS9_PS4_.private_seg_size, 0
	.set _ZN9rocsparseL35bsr2csr_block_per_row_33_256_kernelILj1024ELj128ELj32E21rocsparse_complex_numIfEllEEv20rocsparse_direction_T4_S4_21rocsparse_index_base_PKT2_PKT3_PKS4_S4_S5_PS6_PS9_PS4_.uses_vcc, 1
	.set _ZN9rocsparseL35bsr2csr_block_per_row_33_256_kernelILj1024ELj128ELj32E21rocsparse_complex_numIfEllEEv20rocsparse_direction_T4_S4_21rocsparse_index_base_PKT2_PKT3_PKS4_S4_S5_PS6_PS9_PS4_.uses_flat_scratch, 0
	.set _ZN9rocsparseL35bsr2csr_block_per_row_33_256_kernelILj1024ELj128ELj32E21rocsparse_complex_numIfEllEEv20rocsparse_direction_T4_S4_21rocsparse_index_base_PKT2_PKT3_PKS4_S4_S5_PS6_PS9_PS4_.has_dyn_sized_stack, 0
	.set _ZN9rocsparseL35bsr2csr_block_per_row_33_256_kernelILj1024ELj128ELj32E21rocsparse_complex_numIfEllEEv20rocsparse_direction_T4_S4_21rocsparse_index_base_PKT2_PKT3_PKS4_S4_S5_PS6_PS9_PS4_.has_recursion, 0
	.set _ZN9rocsparseL35bsr2csr_block_per_row_33_256_kernelILj1024ELj128ELj32E21rocsparse_complex_numIfEllEEv20rocsparse_direction_T4_S4_21rocsparse_index_base_PKT2_PKT3_PKS4_S4_S5_PS6_PS9_PS4_.has_indirect_call, 0
	.section	.AMDGPU.csdata,"",@progbits
; Kernel info:
; codeLenInByte = 4640
; TotalNumSgprs: 51
; NumVgprs: 45
; ScratchSize: 0
; MemoryBound: 0
; FloatMode: 240
; IeeeMode: 1
; LDSByteSize: 0 bytes/workgroup (compile time only)
; SGPRBlocks: 0
; VGPRBlocks: 5
; NumSGPRsForWavesPerEU: 51
; NumVGPRsForWavesPerEU: 45
; Occupancy: 16
; WaveLimiterHint : 1
; COMPUTE_PGM_RSRC2:SCRATCH_EN: 0
; COMPUTE_PGM_RSRC2:USER_SGPR: 6
; COMPUTE_PGM_RSRC2:TRAP_HANDLER: 0
; COMPUTE_PGM_RSRC2:TGID_X_EN: 1
; COMPUTE_PGM_RSRC2:TGID_Y_EN: 0
; COMPUTE_PGM_RSRC2:TGID_Z_EN: 0
; COMPUTE_PGM_RSRC2:TIDIG_COMP_CNT: 0
	.section	.text._ZN9rocsparseL35bsr2csr_block_per_row_33_256_kernelILj1024ELj256ELj32E21rocsparse_complex_numIfEllEEv20rocsparse_direction_T4_S4_21rocsparse_index_base_PKT2_PKT3_PKS4_S4_S5_PS6_PS9_PS4_,"axG",@progbits,_ZN9rocsparseL35bsr2csr_block_per_row_33_256_kernelILj1024ELj256ELj32E21rocsparse_complex_numIfEllEEv20rocsparse_direction_T4_S4_21rocsparse_index_base_PKT2_PKT3_PKS4_S4_S5_PS6_PS9_PS4_,comdat
	.globl	_ZN9rocsparseL35bsr2csr_block_per_row_33_256_kernelILj1024ELj256ELj32E21rocsparse_complex_numIfEllEEv20rocsparse_direction_T4_S4_21rocsparse_index_base_PKT2_PKT3_PKS4_S4_S5_PS6_PS9_PS4_ ; -- Begin function _ZN9rocsparseL35bsr2csr_block_per_row_33_256_kernelILj1024ELj256ELj32E21rocsparse_complex_numIfEllEEv20rocsparse_direction_T4_S4_21rocsparse_index_base_PKT2_PKT3_PKS4_S4_S5_PS6_PS9_PS4_
	.p2align	8
	.type	_ZN9rocsparseL35bsr2csr_block_per_row_33_256_kernelILj1024ELj256ELj32E21rocsparse_complex_numIfEllEEv20rocsparse_direction_T4_S4_21rocsparse_index_base_PKT2_PKT3_PKS4_S4_S5_PS6_PS9_PS4_,@function
_ZN9rocsparseL35bsr2csr_block_per_row_33_256_kernelILj1024ELj256ELj32E21rocsparse_complex_numIfEllEEv20rocsparse_direction_T4_S4_21rocsparse_index_base_PKT2_PKT3_PKS4_S4_S5_PS6_PS9_PS4_: ; @_ZN9rocsparseL35bsr2csr_block_per_row_33_256_kernelILj1024ELj256ELj32E21rocsparse_complex_numIfEllEEv20rocsparse_direction_T4_S4_21rocsparse_index_base_PKT2_PKT3_PKS4_S4_S5_PS6_PS9_PS4_
; %bb.0:
	s_load_dwordx2 s[0:1], s[4:5], 0x28
	s_mov_b32 s19, 0
	s_clause 0x1
	s_load_dword s18, s[4:5], 0x40
	s_load_dwordx2 s[2:3], s[4:5], 0x50
	s_mov_b32 s7, s19
	v_or_b32_e32 v1, s6, v0
	s_lshl_b64 s[8:9], s[6:7], 3
	s_waitcnt lgkmcnt(0)
	s_add_u32 s0, s0, s8
	s_addc_u32 s1, s1, s9
	s_load_dwordx4 s[12:15], s[0:1], 0x0
	s_mov_b32 s0, exec_lo
	v_cmpx_eq_u32_e32 0, v1
	s_cbranch_execz .LBB207_2
; %bb.1:
	v_mov_b32_e32 v1, s18
	v_mov_b32_e32 v3, 0
	;; [unrolled: 1-line block ×3, first 2 shown]
	global_store_dwordx2 v3, v[1:2], s[2:3]
.LBB207_2:
	s_or_b32 exec_lo, exec_lo, s0
	s_clause 0x1
	s_load_dword s19, s[4:5], 0x18
	s_load_dwordx2 s[20:21], s[4:5], 0x38
	v_mov_b32_e32 v13, 0
	v_lshrrev_b32_e32 v12, 5, v0
	v_lshlrev_b32_e32 v47, 3, v12
	s_waitcnt lgkmcnt(0)
	s_sub_u32 s22, s12, s19
	s_subb_u32 s23, s13, 0
	s_mul_hi_u32 s0, s20, s22
	s_mul_i32 s10, s20, s23
	s_sub_u32 s24, s14, s19
	s_mul_i32 s8, s21, s22
	s_mul_i32 s9, s20, s22
	s_subb_u32 s25, s15, 0
	s_add_i32 s0, s0, s10
	s_mul_i32 s11, s9, s21
	s_mul_hi_u32 s10, s9, s20
	s_add_i32 s0, s0, s8
	s_add_i32 s8, s10, s11
	s_mul_i32 s0, s0, s20
	s_mul_i32 s9, s9, s20
	s_add_i32 s8, s8, s0
	s_sub_u32 s40, s24, s22
	s_subb_u32 s41, s25, s23
	s_mul_i32 s0, s40, s21
	s_mul_hi_u32 s10, s40, s20
	s_mul_i32 s16, s41, s20
	s_add_i32 s0, s10, s0
	s_mul_i32 s11, s40, s20
	s_add_i32 s0, s0, s16
	s_add_u32 s9, s9, s18
	s_mul_i32 s1, s21, s6
	s_mul_hi_u32 s7, s20, s6
	s_addc_u32 s8, s8, 0
	s_add_u32 s16, s9, s11
	s_mul_i32 s6, s20, s6
	s_addc_u32 s17, s8, s0
	s_add_i32 s7, s7, s1
	v_cmp_gt_i64_e64 s1, s[20:21], v[12:13]
	s_lshl_b64 s[6:7], s[6:7], 3
	s_add_u32 s26, s2, s6
	s_addc_u32 s27, s3, s7
	s_and_saveexec_b32 s2, s1
	s_cbranch_execz .LBB207_4
; %bb.3:
	v_mad_u64_u32 v[1:2], null, v12, s11, s[16:17]
	v_mad_u64_u32 v[2:3], null, v12, s0, v[2:3]
	global_store_dwordx2 v47, v[1:2], s[26:27] offset:8
.LBB207_4:
	s_or_b32 exec_lo, exec_lo, s2
	v_or_b32_e32 v1, 32, v12
	v_mov_b32_e32 v2, v13
	v_cmp_gt_i64_e64 s2, s[20:21], v[1:2]
	s_and_saveexec_b32 s3, s2
	s_cbranch_execz .LBB207_6
; %bb.5:
	v_mad_u64_u32 v[2:3], null, v1, s11, s[16:17]
	v_mad_u64_u32 v[3:4], null, v1, s0, v[3:4]
	global_store_dwordx2 v47, v[2:3], s[26:27] offset:264
.LBB207_6:
	s_or_b32 exec_lo, exec_lo, s3
	v_or_b32_e32 v1, 64, v12
	v_mov_b32_e32 v2, v13
	v_cmp_gt_i64_e64 s3, s[20:21], v[1:2]
	s_and_saveexec_b32 s6, s3
	s_cbranch_execz .LBB207_8
; %bb.7:
	v_mad_u64_u32 v[2:3], null, v1, s11, s[16:17]
	v_mad_u64_u32 v[3:4], null, v1, s0, v[3:4]
	global_store_dwordx2 v47, v[2:3], s[26:27] offset:520
.LBB207_8:
	s_or_b32 exec_lo, exec_lo, s6
	v_or_b32_e32 v1, 0x60, v12
	v_mov_b32_e32 v2, v13
	v_cmp_gt_i64_e64 s6, s[20:21], v[1:2]
	s_and_saveexec_b32 s7, s6
	s_cbranch_execz .LBB207_10
; %bb.9:
	v_mad_u64_u32 v[2:3], null, v1, s11, s[16:17]
	v_mad_u64_u32 v[3:4], null, v1, s0, v[3:4]
	global_store_dwordx2 v47, v[2:3], s[26:27] offset:776
.LBB207_10:
	s_or_b32 exec_lo, exec_lo, s7
	v_or_b32_e32 v1, 0x80, v12
	v_mov_b32_e32 v2, v13
	v_cmp_gt_i64_e64 s7, s[20:21], v[1:2]
	s_and_saveexec_b32 s8, s7
	s_cbranch_execz .LBB207_12
; %bb.11:
	v_mad_u64_u32 v[2:3], null, v1, s11, s[16:17]
	v_mad_u64_u32 v[3:4], null, v1, s0, v[3:4]
	global_store_dwordx2 v47, v[2:3], s[26:27] offset:1032
.LBB207_12:
	s_or_b32 exec_lo, exec_lo, s8
	v_or_b32_e32 v1, 0xa0, v12
	v_mov_b32_e32 v2, v13
	v_cmp_gt_i64_e64 s8, s[20:21], v[1:2]
	s_and_saveexec_b32 s9, s8
	s_cbranch_execz .LBB207_14
; %bb.13:
	v_mad_u64_u32 v[2:3], null, v1, s11, s[16:17]
	v_mad_u64_u32 v[3:4], null, v1, s0, v[3:4]
	global_store_dwordx2 v47, v[2:3], s[26:27] offset:1288
.LBB207_14:
	s_or_b32 exec_lo, exec_lo, s9
	v_or_b32_e32 v1, 0xc0, v12
	v_mov_b32_e32 v2, v13
	v_cmp_gt_i64_e64 s10, s[20:21], v[1:2]
	s_and_saveexec_b32 s9, s10
	s_cbranch_execz .LBB207_16
; %bb.15:
	v_mad_u64_u32 v[2:3], null, v1, s11, s[16:17]
	v_mad_u64_u32 v[3:4], null, v1, s0, v[3:4]
	global_store_dwordx2 v47, v[2:3], s[26:27] offset:1544
.LBB207_16:
	s_or_b32 exec_lo, exec_lo, s9
	v_or_b32_e32 v1, 0xe0, v12
	v_mov_b32_e32 v2, v13
	v_cmp_gt_i64_e64 s9, s[20:21], v[1:2]
	s_and_saveexec_b32 s28, s9
	s_cbranch_execz .LBB207_18
; %bb.17:
	v_mad_u64_u32 v[2:3], null, v1, s11, s[16:17]
	v_mad_u64_u32 v[3:4], null, v1, s0, v[3:4]
	global_store_dwordx2 v47, v[2:3], s[26:27] offset:1800
.LBB207_18:
	s_or_b32 exec_lo, exec_lo, s28
	v_cmp_lt_i64_e64 s0, s[12:13], s[14:15]
	s_and_b32 vcc_lo, exec_lo, s0
	s_cbranch_vccz .LBB207_149
; %bb.19:
	v_and_b32_e32 v0, 31, v0
	s_clause 0x2
	s_load_dwordx2 s[26:27], s[4:5], 0x30
	s_load_dwordx2 s[28:29], s[4:5], 0x48
	s_load_dword s0, s[4:5], 0x0
	s_mul_i32 s11, s20, s21
	s_mul_hi_u32 s12, s20, s20
	v_mov_b32_e32 v1, 0
	v_mad_u64_u32 v[13:14], null, v0, s20, 0
	s_add_i32 s12, s12, s11
	s_mul_i32 s33, s20, s20
	s_add_i32 s17, s12, s11
	s_clause 0x1
	s_load_dwordx2 s[30:31], s[4:5], 0x20
	s_load_dwordx2 s[34:35], s[4:5], 0x58
	s_mul_i32 s4, s22, s17
	v_mov_b32_e32 v2, v14
	s_mul_hi_u32 s5, s22, s33
	v_mov_b32_e32 v4, v1
	s_add_i32 s4, s5, s4
	s_mul_i32 s5, s23, s33
	v_mad_u64_u32 v[5:6], null, v0, s21, v[2:3]
	v_or_b32_e32 v2, 32, v0
	v_mov_b32_e32 v3, v1
	s_add_i32 s37, s4, s5
	s_waitcnt lgkmcnt(0)
	s_cmp_eq_u32 s0, 0
	v_mov_b32_e32 v6, v1
	s_cselect_b32 s0, -1, 0
	v_cmp_gt_i64_e64 s4, s[20:21], v[2:3]
	v_or_b32_e32 v3, 64, v0
	s_lshl_b64 s[38:39], s[20:21], 5
	v_mov_b32_e32 v14, v5
	v_add_co_u32 v15, s5, v13, s38
	v_add_co_ci_u32_e64 v16, null, s39, v5, s5
	v_cmp_gt_i64_e64 s5, s[20:21], v[3:4]
	v_or_b32_e32 v4, 0x60, v0
	v_mov_b32_e32 v5, v1
	v_add_co_u32 v17, s11, v15, s38
	v_add_co_ci_u32_e64 v18, null, s39, v16, s11
	v_cmp_gt_i64_e64 s11, s[20:21], v[4:5]
	v_or_b32_e32 v5, 0x80, v0
	v_add_co_u32 v19, s12, v17, s38
	v_add_co_ci_u32_e64 v20, null, s39, v18, s12
	v_cmp_gt_i64_e64 s12, s[20:21], v[5:6]
	v_or_b32_e32 v6, 0xa0, v0
	v_mov_b32_e32 v7, v1
	v_mad_u64_u32 v[9:10], null, v12, s40, 0
	v_add_co_u32 v21, s13, v19, s38
	v_add_co_ci_u32_e64 v22, null, s39, v20, s13
	v_cmp_gt_i64_e64 s13, s[20:21], v[6:7]
	v_or_b32_e32 v7, 0xc0, v0
	v_mov_b32_e32 v8, v1
	v_mad_u64_u32 v[23:24], null, v12, s20, 0
	v_add_co_u32 v25, s14, v21, s38
	v_add_co_ci_u32_e64 v26, null, s39, v22, s14
	v_cmp_gt_i64_e64 s14, s[20:21], v[7:8]
	v_mov_b32_e32 v8, v10
	v_or_b32_e32 v10, 0xe0, v0
	v_mov_b32_e32 v11, v1
	v_cmp_gt_i64_e32 vcc_lo, s[20:21], v[0:1]
	s_lshl_b64 s[92:93], s[40:41], 5
	v_mad_u64_u32 v[27:28], null, v12, s41, v[8:9]
	v_mad_u64_u32 v[28:29], null, v12, s21, v[24:25]
	v_add_co_u32 v29, s15, v25, s38
	v_add_co_ci_u32_e64 v30, null, s39, v26, s15
	v_cmp_gt_i64_e64 s15, s[20:21], v[10:11]
	v_add_co_u32 v31, s16, v29, s38
	v_add_co_ci_u32_e64 v32, null, s39, v30, s16
	s_and_b32 s16, s1, vcc_lo
	s_and_b32 s42, s1, s4
	s_and_b32 s43, s1, s5
	;; [unrolled: 1-line block ×7, first 2 shown]
	v_add_co_u32 v8, s1, v9, s92
	v_add_co_ci_u32_e64 v48, null, s93, v27, s1
	v_mov_b32_e32 v24, v28
	v_add_co_u32 v49, s1, v8, s92
	v_add_co_ci_u32_e64 v50, null, s93, v48, s1
	v_mov_b32_e32 v1, v27
	v_add_co_u32 v51, s1, v49, s92
	v_add_co_ci_u32_e64 v52, null, s93, v50, s1
	v_lshlrev_b64 v[11:12], 3, v[23:24]
	v_add_co_u32 v53, s1, v51, s92
	v_add_co_ci_u32_e64 v54, null, s93, v52, s1
	v_lshlrev_b64 v[13:14], 3, v[13:14]
	;; [unrolled: 3-line block ×4, first 2 shown]
	v_add_co_u32 v59, s1, v57, s92
	v_lshlrev_b64 v[19:20], 3, v[19:20]
	v_lshlrev_b64 v[21:22], 3, v[21:22]
	v_lshlrev_b64 v[23:24], 3, v[25:26]
	v_lshlrev_b64 v[25:26], 3, v[29:30]
	v_lshlrev_b64 v[27:28], 3, v[31:32]
	v_add_co_ci_u32_e64 v60, null, s93, v58, s1
	s_mul_i32 s36, s22, s33
	s_and_b32 s40, s2, vcc_lo
	s_and_b32 s41, s2, s4
	s_and_b32 s49, s2, s5
	s_and_b32 s50, s2, s11
	s_and_b32 s51, s2, s12
	s_and_b32 s52, s2, s13
	s_and_b32 s53, s2, s14
	s_and_b32 s54, s2, s15
	s_and_b32 s55, s3, vcc_lo
	s_and_b32 s56, s3, s4
	s_and_b32 s57, s3, s5
	s_and_b32 s58, s3, s11
	s_and_b32 s59, s3, s12
	s_and_b32 s60, s3, s13
	s_and_b32 s61, s3, s14
	s_and_b32 s62, s3, s15
	;; [unrolled: 8-line block ×7, first 2 shown]
	s_mov_b64 s[2:3], s[22:23]
	s_branch .LBB207_21
.LBB207_20:                             ;   in Loop: Header=BB207_21 Depth=1
	s_or_b32 exec_lo, exec_lo, s4
	s_add_u32 s2, s2, 1
	s_addc_u32 s3, s3, 0
	v_cmp_ge_i64_e64 s4, s[2:3], s[24:25]
	s_and_b32 vcc_lo, exec_lo, s4
	s_cbranch_vccnz .LBB207_149
.LBB207_21:                             ; =>This Inner Loop Header: Depth=1
	s_lshl_b64 s[4:5], s[2:3], 3
	s_mul_i32 s95, s2, s17
	s_add_u32 s4, s26, s4
	s_addc_u32 s5, s27, s5
	s_mul_hi_u32 s96, s2, s33
	s_load_dwordx2 s[4:5], s[4:5], 0x0
	s_mul_i32 s97, s3, s33
	s_mul_i32 s94, s2, s33
	v_lshlrev_b32_e32 v63, 3, v0
	s_waitcnt lgkmcnt(0)
	s_sub_u32 s4, s4, s19
	s_subb_u32 s5, s5, 0
	s_sub_u32 s15, s2, s22
	s_mul_i32 s98, s4, s21
	s_mul_hi_u32 s99, s4, s20
	s_subb_u32 s93, s3, s23
	v_add_co_u32 v29, vcc_lo, v9, s15
	s_mul_i32 s5, s5, s20
	s_add_i32 s98, s99, s98
	s_mul_i32 s4, s4, s20
	v_add_co_ci_u32_e64 v30, null, s93, v1, vcc_lo
	s_add_i32 s98, s98, s5
	s_add_u32 s4, s4, s18
	s_addc_u32 s5, s98, 0
	s_add_i32 s95, s96, s95
	v_mul_lo_u32 v31, v29, s21
	v_mad_u64_u32 v[45:46], null, v29, s20, s[36:37]
	s_add_i32 s95, s95, s97
	v_mul_lo_u32 v32, v30, s20
	s_lshl_b64 s[94:95], s[94:95], 3
	v_add_co_u32 v29, s96, s4, v0
	s_add_u32 s94, s30, s94
	v_add_co_ci_u32_e64 v30, null, s5, 0, s96
	s_addc_u32 s95, s31, s95
	v_add_co_u32 v61, s96, s94, v47
	v_add_co_u32 v64, vcc_lo, s94, v11
	v_add_co_ci_u32_e64 v62, null, s95, 0, s96
	v_add3_u32 v46, v32, v46, v31
	v_add_co_ci_u32_e64 v65, null, s95, v12, vcc_lo
	s_and_saveexec_b32 s94, s16
	s_cbranch_execz .LBB207_23
; %bb.22:                               ;   in Loop: Header=BB207_21 Depth=1
	v_add_co_u32 v31, vcc_lo, v64, v63
	v_add_co_ci_u32_e64 v32, null, 0, v65, vcc_lo
	v_add_co_u32 v33, vcc_lo, v61, v13
	v_add_co_ci_u32_e64 v34, null, v62, v14, vcc_lo
	v_cndmask_b32_e64 v31, v33, v31, s0
	v_add_co_u32 v33, vcc_lo, v45, v0
	v_cndmask_b32_e64 v32, v34, v32, s0
	v_add_co_ci_u32_e64 v34, null, 0, v46, vcc_lo
	global_load_dwordx2 v[31:32], v[31:32], off
	v_lshlrev_b64 v[33:34], 3, v[33:34]
	v_add_co_u32 v35, vcc_lo, s34, v33
	v_add_co_ci_u32_e64 v36, null, s35, v34, vcc_lo
	v_add_co_u32 v33, vcc_lo, s28, v33
	v_add_co_ci_u32_e64 v34, null, s29, v34, vcc_lo
	global_store_dwordx2 v[35:36], v[29:30], off
	s_waitcnt vmcnt(0)
	global_store_dwordx2 v[33:34], v[31:32], off
.LBB207_23:                             ;   in Loop: Header=BB207_21 Depth=1
	s_or_b32 exec_lo, exec_lo, s94
	v_add_co_u32 v31, s94, s4, v2
	v_add_co_ci_u32_e64 v32, null, s5, 0, s94
	s_and_saveexec_b32 s94, s42
	s_cbranch_execz .LBB207_25
; %bb.24:                               ;   in Loop: Header=BB207_21 Depth=1
	v_add_co_u32 v33, vcc_lo, v64, v63
	v_add_co_ci_u32_e64 v34, null, 0, v65, vcc_lo
	v_add_co_u32 v33, vcc_lo, 0x100, v33
	v_add_co_ci_u32_e64 v34, null, 0, v34, vcc_lo
	v_add_co_u32 v35, vcc_lo, v61, v15
	v_add_co_ci_u32_e64 v36, null, v62, v16, vcc_lo
	v_cndmask_b32_e64 v33, v35, v33, s0
	v_add_co_u32 v35, vcc_lo, v45, v0
	v_cndmask_b32_e64 v34, v36, v34, s0
	v_add_co_ci_u32_e64 v36, null, 0, v46, vcc_lo
	global_load_dwordx2 v[33:34], v[33:34], off
	v_lshlrev_b64 v[35:36], 3, v[35:36]
	v_add_co_u32 v37, vcc_lo, s34, v35
	v_add_co_ci_u32_e64 v38, null, s35, v36, vcc_lo
	v_add_co_u32 v35, vcc_lo, s28, v35
	v_add_co_ci_u32_e64 v36, null, s29, v36, vcc_lo
	global_store_dwordx2 v[37:38], v[31:32], off offset:256
	s_waitcnt vmcnt(0)
	global_store_dwordx2 v[35:36], v[33:34], off offset:256
.LBB207_25:                             ;   in Loop: Header=BB207_21 Depth=1
	s_or_b32 exec_lo, exec_lo, s94
	v_add_co_u32 v33, s94, s4, v3
	v_add_co_ci_u32_e64 v34, null, s5, 0, s94
	s_and_saveexec_b32 s94, s43
	s_cbranch_execz .LBB207_27
; %bb.26:                               ;   in Loop: Header=BB207_21 Depth=1
	v_add_co_u32 v35, vcc_lo, v64, v63
	v_add_co_ci_u32_e64 v36, null, 0, v65, vcc_lo
	v_add_co_u32 v35, vcc_lo, 0x200, v35
	v_add_co_ci_u32_e64 v36, null, 0, v36, vcc_lo
	v_add_co_u32 v37, vcc_lo, v61, v17
	v_add_co_ci_u32_e64 v38, null, v62, v18, vcc_lo
	v_cndmask_b32_e64 v35, v37, v35, s0
	v_add_co_u32 v37, vcc_lo, v45, v0
	v_cndmask_b32_e64 v36, v38, v36, s0
	v_add_co_ci_u32_e64 v38, null, 0, v46, vcc_lo
	global_load_dwordx2 v[35:36], v[35:36], off
	v_lshlrev_b64 v[37:38], 3, v[37:38]
	v_add_co_u32 v39, vcc_lo, s34, v37
	v_add_co_ci_u32_e64 v40, null, s35, v38, vcc_lo
	v_add_co_u32 v37, vcc_lo, s28, v37
	v_add_co_ci_u32_e64 v38, null, s29, v38, vcc_lo
	global_store_dwordx2 v[39:40], v[33:34], off offset:512
	s_waitcnt vmcnt(0)
	global_store_dwordx2 v[37:38], v[35:36], off offset:512
.LBB207_27:                             ;   in Loop: Header=BB207_21 Depth=1
	s_or_b32 exec_lo, exec_lo, s94
	v_add_co_u32 v35, s94, s4, v4
	v_add_co_ci_u32_e64 v36, null, s5, 0, s94
	s_and_saveexec_b32 s94, s44
	s_cbranch_execz .LBB207_29
; %bb.28:                               ;   in Loop: Header=BB207_21 Depth=1
	v_add_co_u32 v37, vcc_lo, v64, v63
	v_add_co_ci_u32_e64 v38, null, 0, v65, vcc_lo
	v_add_co_u32 v37, vcc_lo, 0x300, v37
	v_add_co_ci_u32_e64 v38, null, 0, v38, vcc_lo
	v_add_co_u32 v39, vcc_lo, v61, v19
	v_add_co_ci_u32_e64 v40, null, v62, v20, vcc_lo
	v_cndmask_b32_e64 v37, v39, v37, s0
	v_add_co_u32 v39, vcc_lo, v45, v0
	v_cndmask_b32_e64 v38, v40, v38, s0
	v_add_co_ci_u32_e64 v40, null, 0, v46, vcc_lo
	global_load_dwordx2 v[37:38], v[37:38], off
	v_lshlrev_b64 v[39:40], 3, v[39:40]
	v_add_co_u32 v41, vcc_lo, s34, v39
	v_add_co_ci_u32_e64 v42, null, s35, v40, vcc_lo
	v_add_co_u32 v39, vcc_lo, s28, v39
	v_add_co_ci_u32_e64 v40, null, s29, v40, vcc_lo
	global_store_dwordx2 v[41:42], v[35:36], off offset:768
	s_waitcnt vmcnt(0)
	global_store_dwordx2 v[39:40], v[37:38], off offset:768
.LBB207_29:                             ;   in Loop: Header=BB207_21 Depth=1
	s_or_b32 exec_lo, exec_lo, s94
	v_add_co_u32 v37, s94, s4, v5
	v_add_co_ci_u32_e64 v38, null, s5, 0, s94
	s_and_saveexec_b32 s94, s45
	s_cbranch_execz .LBB207_31
; %bb.30:                               ;   in Loop: Header=BB207_21 Depth=1
	v_add_co_u32 v39, vcc_lo, v64, v63
	v_add_co_ci_u32_e64 v40, null, 0, v65, vcc_lo
	v_add_co_u32 v39, vcc_lo, 0x400, v39
	v_add_co_ci_u32_e64 v40, null, 0, v40, vcc_lo
	v_add_co_u32 v41, vcc_lo, v61, v21
	v_add_co_ci_u32_e64 v42, null, v62, v22, vcc_lo
	v_cndmask_b32_e64 v39, v41, v39, s0
	v_add_co_u32 v41, vcc_lo, v45, v0
	v_cndmask_b32_e64 v40, v42, v40, s0
	v_add_co_ci_u32_e64 v42, null, 0, v46, vcc_lo
	global_load_dwordx2 v[39:40], v[39:40], off
	v_lshlrev_b64 v[41:42], 3, v[41:42]
	v_add_co_u32 v43, vcc_lo, s34, v41
	v_add_co_ci_u32_e64 v44, null, s35, v42, vcc_lo
	v_add_co_u32 v41, vcc_lo, s28, v41
	v_add_co_ci_u32_e64 v42, null, s29, v42, vcc_lo
	global_store_dwordx2 v[43:44], v[37:38], off offset:1024
	s_waitcnt vmcnt(0)
	global_store_dwordx2 v[41:42], v[39:40], off offset:1024
.LBB207_31:                             ;   in Loop: Header=BB207_21 Depth=1
	s_or_b32 exec_lo, exec_lo, s94
	v_add_co_u32 v39, s94, s4, v6
	v_add_co_ci_u32_e64 v40, null, s5, 0, s94
	s_and_saveexec_b32 s94, s46
	s_cbranch_execz .LBB207_33
; %bb.32:                               ;   in Loop: Header=BB207_21 Depth=1
	v_add_co_u32 v41, vcc_lo, v64, v63
	v_add_co_ci_u32_e64 v42, null, 0, v65, vcc_lo
	v_add_co_u32 v41, vcc_lo, 0x500, v41
	v_add_co_ci_u32_e64 v42, null, 0, v42, vcc_lo
	v_add_co_u32 v43, vcc_lo, v61, v23
	v_add_co_ci_u32_e64 v44, null, v62, v24, vcc_lo
	v_cndmask_b32_e64 v41, v43, v41, s0
	v_add_co_u32 v43, vcc_lo, v45, v0
	v_cndmask_b32_e64 v42, v44, v42, s0
	v_add_co_ci_u32_e64 v44, null, 0, v46, vcc_lo
	global_load_dwordx2 v[41:42], v[41:42], off
	v_lshlrev_b64 v[43:44], 3, v[43:44]
	v_add_co_u32 v66, vcc_lo, s34, v43
	v_add_co_ci_u32_e64 v67, null, s35, v44, vcc_lo
	v_add_co_u32 v43, vcc_lo, s28, v43
	v_add_co_ci_u32_e64 v44, null, s29, v44, vcc_lo
	global_store_dwordx2 v[66:67], v[39:40], off offset:1280
	s_waitcnt vmcnt(0)
	global_store_dwordx2 v[43:44], v[41:42], off offset:1280
.LBB207_33:                             ;   in Loop: Header=BB207_21 Depth=1
	s_or_b32 exec_lo, exec_lo, s94
	v_add_co_u32 v41, s94, s4, v7
	v_add_co_ci_u32_e64 v42, null, s5, 0, s94
	s_and_saveexec_b32 s94, s47
	s_cbranch_execz .LBB207_35
; %bb.34:                               ;   in Loop: Header=BB207_21 Depth=1
	v_add_co_u32 v43, vcc_lo, v64, v63
	v_add_co_ci_u32_e64 v44, null, 0, v65, vcc_lo
	v_add_co_u32 v43, vcc_lo, 0x600, v43
	v_add_co_ci_u32_e64 v44, null, 0, v44, vcc_lo
	v_add_co_u32 v66, vcc_lo, v61, v25
	v_add_co_ci_u32_e64 v67, null, v62, v26, vcc_lo
	v_cndmask_b32_e64 v43, v66, v43, s0
	v_add_co_u32 v66, vcc_lo, v45, v0
	v_cndmask_b32_e64 v44, v67, v44, s0
	v_add_co_ci_u32_e64 v67, null, 0, v46, vcc_lo
	global_load_dwordx2 v[43:44], v[43:44], off
	v_lshlrev_b64 v[66:67], 3, v[66:67]
	v_add_co_u32 v68, vcc_lo, s34, v66
	v_add_co_ci_u32_e64 v69, null, s35, v67, vcc_lo
	v_add_co_u32 v66, vcc_lo, s28, v66
	v_add_co_ci_u32_e64 v67, null, s29, v67, vcc_lo
	global_store_dwordx2 v[68:69], v[41:42], off offset:1536
	s_waitcnt vmcnt(0)
	global_store_dwordx2 v[66:67], v[43:44], off offset:1536
.LBB207_35:                             ;   in Loop: Header=BB207_21 Depth=1
	s_or_b32 exec_lo, exec_lo, s94
	v_add_co_u32 v43, s4, s4, v10
	v_add_co_ci_u32_e64 v44, null, s5, 0, s4
	s_and_saveexec_b32 s4, s48
	s_cbranch_execz .LBB207_37
; %bb.36:                               ;   in Loop: Header=BB207_21 Depth=1
	v_add_co_u32 v66, vcc_lo, v64, v63
	v_add_co_ci_u32_e64 v67, null, 0, v65, vcc_lo
	v_add_co_u32 v66, vcc_lo, 0x700, v66
	v_add_co_ci_u32_e64 v67, null, 0, v67, vcc_lo
	;; [unrolled: 2-line block ×3, first 2 shown]
	v_add_co_u32 v45, vcc_lo, v45, v0
	v_cndmask_b32_e64 v66, v68, v66, s0
	v_cndmask_b32_e64 v67, v69, v67, s0
	v_add_co_ci_u32_e64 v46, null, 0, v46, vcc_lo
	global_load_dwordx2 v[66:67], v[66:67], off
	v_lshlrev_b64 v[45:46], 3, v[45:46]
	v_add_co_u32 v68, vcc_lo, s34, v45
	v_add_co_ci_u32_e64 v69, null, s35, v46, vcc_lo
	v_add_co_u32 v45, vcc_lo, s28, v45
	v_add_co_ci_u32_e64 v46, null, s29, v46, vcc_lo
	global_store_dwordx2 v[68:69], v[43:44], off offset:1792
	s_waitcnt vmcnt(0)
	global_store_dwordx2 v[45:46], v[66:67], off offset:1792
.LBB207_37:                             ;   in Loop: Header=BB207_21 Depth=1
	s_or_b32 exec_lo, exec_lo, s4
	v_add_co_u32 v45, vcc_lo, v8, s15
	v_add_co_ci_u32_e64 v46, null, s93, v48, vcc_lo
	s_lshl_b64 s[4:5], s[38:39], 3
	v_mul_lo_u32 v66, v45, s21
	v_add_co_u32 v64, vcc_lo, v64, s4
	v_mul_lo_u32 v67, v46, s20
	v_mad_u64_u32 v[45:46], null, v45, s20, s[36:37]
	v_add_co_ci_u32_e64 v65, null, s5, v65, vcc_lo
	v_add3_u32 v46, v67, v46, v66
	s_and_saveexec_b32 s94, s40
	s_cbranch_execnz .LBB207_99
; %bb.38:                               ;   in Loop: Header=BB207_21 Depth=1
	s_or_b32 exec_lo, exec_lo, s94
	s_and_saveexec_b32 s94, s41
	s_cbranch_execnz .LBB207_100
.LBB207_39:                             ;   in Loop: Header=BB207_21 Depth=1
	s_or_b32 exec_lo, exec_lo, s94
	s_and_saveexec_b32 s94, s49
	s_cbranch_execnz .LBB207_101
.LBB207_40:                             ;   in Loop: Header=BB207_21 Depth=1
	s_or_b32 exec_lo, exec_lo, s94
	s_and_saveexec_b32 s94, s50
	s_cbranch_execnz .LBB207_102
.LBB207_41:                             ;   in Loop: Header=BB207_21 Depth=1
	s_or_b32 exec_lo, exec_lo, s94
	s_and_saveexec_b32 s94, s51
	s_cbranch_execnz .LBB207_103
.LBB207_42:                             ;   in Loop: Header=BB207_21 Depth=1
	s_or_b32 exec_lo, exec_lo, s94
	s_and_saveexec_b32 s94, s52
	s_cbranch_execnz .LBB207_104
.LBB207_43:                             ;   in Loop: Header=BB207_21 Depth=1
	s_or_b32 exec_lo, exec_lo, s94
	s_and_saveexec_b32 s94, s53
	s_cbranch_execnz .LBB207_105
.LBB207_44:                             ;   in Loop: Header=BB207_21 Depth=1
	s_or_b32 exec_lo, exec_lo, s94
	s_and_saveexec_b32 s94, s54
	s_cbranch_execz .LBB207_46
.LBB207_45:                             ;   in Loop: Header=BB207_21 Depth=1
	v_add_co_u32 v66, vcc_lo, v64, v63
	v_add_co_ci_u32_e64 v67, null, 0, v65, vcc_lo
	v_add_co_u32 v68, vcc_lo, v61, v27
	v_add_co_ci_u32_e64 v69, null, v62, v28, vcc_lo
	v_add_co_u32 v66, vcc_lo, 0x700, v66
	v_add_co_ci_u32_e64 v67, null, 0, v67, vcc_lo
	v_add_co_u32 v68, vcc_lo, 0x100, v68
	v_add_co_ci_u32_e64 v69, null, 0, v69, vcc_lo
	v_add_co_u32 v45, vcc_lo, v45, v0
	v_cndmask_b32_e64 v66, v68, v66, s0
	v_cndmask_b32_e64 v67, v69, v67, s0
	v_add_co_ci_u32_e64 v46, null, 0, v46, vcc_lo
	global_load_dwordx2 v[66:67], v[66:67], off
	v_lshlrev_b64 v[45:46], 3, v[45:46]
	v_add_co_u32 v68, vcc_lo, s34, v45
	v_add_co_ci_u32_e64 v69, null, s35, v46, vcc_lo
	v_add_co_u32 v45, vcc_lo, s28, v45
	v_add_co_ci_u32_e64 v46, null, s29, v46, vcc_lo
	global_store_dwordx2 v[68:69], v[43:44], off offset:1792
	s_waitcnt vmcnt(0)
	global_store_dwordx2 v[45:46], v[66:67], off offset:1792
.LBB207_46:                             ;   in Loop: Header=BB207_21 Depth=1
	s_or_b32 exec_lo, exec_lo, s94
	v_add_co_u32 v45, vcc_lo, v49, s15
	v_add_co_ci_u32_e64 v46, null, s93, v50, vcc_lo
	v_add_co_u32 v64, vcc_lo, v64, s4
	v_mul_lo_u32 v66, v45, s21
	v_mul_lo_u32 v67, v46, s20
	v_mad_u64_u32 v[45:46], null, v45, s20, s[36:37]
	v_add_co_ci_u32_e64 v65, null, s5, v65, vcc_lo
	v_add3_u32 v46, v67, v46, v66
	s_and_saveexec_b32 s94, s55
	s_cbranch_execnz .LBB207_106
; %bb.47:                               ;   in Loop: Header=BB207_21 Depth=1
	s_or_b32 exec_lo, exec_lo, s94
	s_and_saveexec_b32 s94, s56
	s_cbranch_execnz .LBB207_107
.LBB207_48:                             ;   in Loop: Header=BB207_21 Depth=1
	s_or_b32 exec_lo, exec_lo, s94
	s_and_saveexec_b32 s94, s57
	s_cbranch_execnz .LBB207_108
.LBB207_49:                             ;   in Loop: Header=BB207_21 Depth=1
	s_or_b32 exec_lo, exec_lo, s94
	s_and_saveexec_b32 s94, s58
	s_cbranch_execnz .LBB207_109
.LBB207_50:                             ;   in Loop: Header=BB207_21 Depth=1
	s_or_b32 exec_lo, exec_lo, s94
	s_and_saveexec_b32 s94, s59
	s_cbranch_execnz .LBB207_110
.LBB207_51:                             ;   in Loop: Header=BB207_21 Depth=1
	s_or_b32 exec_lo, exec_lo, s94
	s_and_saveexec_b32 s94, s60
	s_cbranch_execnz .LBB207_111
.LBB207_52:                             ;   in Loop: Header=BB207_21 Depth=1
	s_or_b32 exec_lo, exec_lo, s94
	s_and_saveexec_b32 s94, s61
	s_cbranch_execnz .LBB207_112
.LBB207_53:                             ;   in Loop: Header=BB207_21 Depth=1
	s_or_b32 exec_lo, exec_lo, s94
	s_and_saveexec_b32 s94, s62
	s_cbranch_execz .LBB207_55
.LBB207_54:                             ;   in Loop: Header=BB207_21 Depth=1
	v_add_co_u32 v66, vcc_lo, v64, v63
	v_add_co_ci_u32_e64 v67, null, 0, v65, vcc_lo
	v_add_co_u32 v68, vcc_lo, v61, v27
	v_add_co_ci_u32_e64 v69, null, v62, v28, vcc_lo
	;; [unrolled: 2-line block ×4, first 2 shown]
	v_add_co_u32 v45, vcc_lo, v45, v0
	v_cndmask_b32_e64 v66, v68, v66, s0
	v_cndmask_b32_e64 v67, v69, v67, s0
	v_add_co_ci_u32_e64 v46, null, 0, v46, vcc_lo
	global_load_dwordx2 v[66:67], v[66:67], off
	v_lshlrev_b64 v[45:46], 3, v[45:46]
	v_add_co_u32 v68, vcc_lo, s34, v45
	v_add_co_ci_u32_e64 v69, null, s35, v46, vcc_lo
	v_add_co_u32 v45, vcc_lo, s28, v45
	v_add_co_ci_u32_e64 v46, null, s29, v46, vcc_lo
	global_store_dwordx2 v[68:69], v[43:44], off offset:1792
	s_waitcnt vmcnt(0)
	global_store_dwordx2 v[45:46], v[66:67], off offset:1792
.LBB207_55:                             ;   in Loop: Header=BB207_21 Depth=1
	s_or_b32 exec_lo, exec_lo, s94
	v_add_co_u32 v45, vcc_lo, v51, s15
	v_add_co_ci_u32_e64 v46, null, s93, v52, vcc_lo
	v_add_co_u32 v64, vcc_lo, v64, s4
	v_mul_lo_u32 v66, v45, s21
	v_mul_lo_u32 v67, v46, s20
	v_mad_u64_u32 v[45:46], null, v45, s20, s[36:37]
	v_add_co_ci_u32_e64 v65, null, s5, v65, vcc_lo
	v_add3_u32 v46, v67, v46, v66
	s_and_saveexec_b32 s94, s63
	s_cbranch_execnz .LBB207_113
; %bb.56:                               ;   in Loop: Header=BB207_21 Depth=1
	s_or_b32 exec_lo, exec_lo, s94
	s_and_saveexec_b32 s94, s64
	s_cbranch_execnz .LBB207_114
.LBB207_57:                             ;   in Loop: Header=BB207_21 Depth=1
	s_or_b32 exec_lo, exec_lo, s94
	s_and_saveexec_b32 s94, s65
	s_cbranch_execnz .LBB207_115
.LBB207_58:                             ;   in Loop: Header=BB207_21 Depth=1
	s_or_b32 exec_lo, exec_lo, s94
	s_and_saveexec_b32 s94, s66
	s_cbranch_execnz .LBB207_116
.LBB207_59:                             ;   in Loop: Header=BB207_21 Depth=1
	s_or_b32 exec_lo, exec_lo, s94
	s_and_saveexec_b32 s94, s67
	s_cbranch_execnz .LBB207_117
.LBB207_60:                             ;   in Loop: Header=BB207_21 Depth=1
	s_or_b32 exec_lo, exec_lo, s94
	s_and_saveexec_b32 s94, s68
	s_cbranch_execnz .LBB207_118
.LBB207_61:                             ;   in Loop: Header=BB207_21 Depth=1
	s_or_b32 exec_lo, exec_lo, s94
	s_and_saveexec_b32 s94, s69
	s_cbranch_execnz .LBB207_119
.LBB207_62:                             ;   in Loop: Header=BB207_21 Depth=1
	s_or_b32 exec_lo, exec_lo, s94
	s_and_saveexec_b32 s94, s6
	s_cbranch_execz .LBB207_64
.LBB207_63:                             ;   in Loop: Header=BB207_21 Depth=1
	v_add_co_u32 v66, vcc_lo, v64, v63
	v_add_co_ci_u32_e64 v67, null, 0, v65, vcc_lo
	v_add_co_u32 v68, vcc_lo, v61, v27
	v_add_co_ci_u32_e64 v69, null, v62, v28, vcc_lo
	;; [unrolled: 2-line block ×4, first 2 shown]
	v_add_co_u32 v45, vcc_lo, v45, v0
	v_cndmask_b32_e64 v66, v68, v66, s0
	v_cndmask_b32_e64 v67, v69, v67, s0
	v_add_co_ci_u32_e64 v46, null, 0, v46, vcc_lo
	global_load_dwordx2 v[66:67], v[66:67], off
	v_lshlrev_b64 v[45:46], 3, v[45:46]
	v_add_co_u32 v68, vcc_lo, s34, v45
	v_add_co_ci_u32_e64 v69, null, s35, v46, vcc_lo
	v_add_co_u32 v45, vcc_lo, s28, v45
	v_add_co_ci_u32_e64 v46, null, s29, v46, vcc_lo
	global_store_dwordx2 v[68:69], v[43:44], off offset:1792
	s_waitcnt vmcnt(0)
	global_store_dwordx2 v[45:46], v[66:67], off offset:1792
.LBB207_64:                             ;   in Loop: Header=BB207_21 Depth=1
	s_or_b32 exec_lo, exec_lo, s94
	v_add_co_u32 v45, vcc_lo, v53, s15
	v_add_co_ci_u32_e64 v46, null, s93, v54, vcc_lo
	v_add_co_u32 v64, vcc_lo, v64, s4
	v_mul_lo_u32 v66, v45, s21
	v_mul_lo_u32 v67, v46, s20
	v_mad_u64_u32 v[45:46], null, v45, s20, s[36:37]
	v_add_co_ci_u32_e64 v65, null, s5, v65, vcc_lo
	v_add3_u32 v46, v67, v46, v66
	s_and_saveexec_b32 s94, s70
	s_cbranch_execnz .LBB207_120
; %bb.65:                               ;   in Loop: Header=BB207_21 Depth=1
	s_or_b32 exec_lo, exec_lo, s94
	s_and_saveexec_b32 s94, s71
	s_cbranch_execnz .LBB207_121
.LBB207_66:                             ;   in Loop: Header=BB207_21 Depth=1
	s_or_b32 exec_lo, exec_lo, s94
	s_and_saveexec_b32 s94, s72
	s_cbranch_execnz .LBB207_122
.LBB207_67:                             ;   in Loop: Header=BB207_21 Depth=1
	s_or_b32 exec_lo, exec_lo, s94
	s_and_saveexec_b32 s94, s73
	s_cbranch_execnz .LBB207_123
.LBB207_68:                             ;   in Loop: Header=BB207_21 Depth=1
	s_or_b32 exec_lo, exec_lo, s94
	s_and_saveexec_b32 s94, s74
	s_cbranch_execnz .LBB207_124
.LBB207_69:                             ;   in Loop: Header=BB207_21 Depth=1
	s_or_b32 exec_lo, exec_lo, s94
	s_and_saveexec_b32 s94, s75
	s_cbranch_execnz .LBB207_125
.LBB207_70:                             ;   in Loop: Header=BB207_21 Depth=1
	s_or_b32 exec_lo, exec_lo, s94
	s_and_saveexec_b32 s94, s76
	s_cbranch_execnz .LBB207_126
.LBB207_71:                             ;   in Loop: Header=BB207_21 Depth=1
	s_or_b32 exec_lo, exec_lo, s94
	s_and_saveexec_b32 s94, s7
	s_cbranch_execz .LBB207_73
.LBB207_72:                             ;   in Loop: Header=BB207_21 Depth=1
	v_add_co_u32 v66, vcc_lo, v64, v63
	v_add_co_ci_u32_e64 v67, null, 0, v65, vcc_lo
	v_add_co_u32 v68, vcc_lo, v61, v27
	v_add_co_ci_u32_e64 v69, null, v62, v28, vcc_lo
	;; [unrolled: 2-line block ×4, first 2 shown]
	v_add_co_u32 v45, vcc_lo, v45, v0
	v_cndmask_b32_e64 v66, v68, v66, s0
	v_cndmask_b32_e64 v67, v69, v67, s0
	v_add_co_ci_u32_e64 v46, null, 0, v46, vcc_lo
	global_load_dwordx2 v[66:67], v[66:67], off
	v_lshlrev_b64 v[45:46], 3, v[45:46]
	v_add_co_u32 v68, vcc_lo, s34, v45
	v_add_co_ci_u32_e64 v69, null, s35, v46, vcc_lo
	v_add_co_u32 v45, vcc_lo, s28, v45
	v_add_co_ci_u32_e64 v46, null, s29, v46, vcc_lo
	global_store_dwordx2 v[68:69], v[43:44], off offset:1792
	s_waitcnt vmcnt(0)
	global_store_dwordx2 v[45:46], v[66:67], off offset:1792
.LBB207_73:                             ;   in Loop: Header=BB207_21 Depth=1
	s_or_b32 exec_lo, exec_lo, s94
	v_add_co_u32 v45, vcc_lo, v55, s15
	v_add_co_ci_u32_e64 v46, null, s93, v56, vcc_lo
	v_add_co_u32 v64, vcc_lo, v64, s4
	v_mul_lo_u32 v66, v45, s21
	v_mul_lo_u32 v67, v46, s20
	v_mad_u64_u32 v[45:46], null, v45, s20, s[36:37]
	v_add_co_ci_u32_e64 v65, null, s5, v65, vcc_lo
	v_add3_u32 v46, v67, v46, v66
	s_and_saveexec_b32 s94, s77
	s_cbranch_execnz .LBB207_127
; %bb.74:                               ;   in Loop: Header=BB207_21 Depth=1
	s_or_b32 exec_lo, exec_lo, s94
	s_and_saveexec_b32 s94, s78
	s_cbranch_execnz .LBB207_128
.LBB207_75:                             ;   in Loop: Header=BB207_21 Depth=1
	s_or_b32 exec_lo, exec_lo, s94
	s_and_saveexec_b32 s94, s79
	s_cbranch_execnz .LBB207_129
.LBB207_76:                             ;   in Loop: Header=BB207_21 Depth=1
	s_or_b32 exec_lo, exec_lo, s94
	s_and_saveexec_b32 s94, s80
	s_cbranch_execnz .LBB207_130
.LBB207_77:                             ;   in Loop: Header=BB207_21 Depth=1
	s_or_b32 exec_lo, exec_lo, s94
	s_and_saveexec_b32 s94, s81
	s_cbranch_execnz .LBB207_131
.LBB207_78:                             ;   in Loop: Header=BB207_21 Depth=1
	s_or_b32 exec_lo, exec_lo, s94
	s_and_saveexec_b32 s94, s82
	s_cbranch_execnz .LBB207_132
.LBB207_79:                             ;   in Loop: Header=BB207_21 Depth=1
	s_or_b32 exec_lo, exec_lo, s94
	s_and_saveexec_b32 s94, s83
	s_cbranch_execnz .LBB207_133
.LBB207_80:                             ;   in Loop: Header=BB207_21 Depth=1
	s_or_b32 exec_lo, exec_lo, s94
	s_and_saveexec_b32 s94, s8
	s_cbranch_execz .LBB207_82
.LBB207_81:                             ;   in Loop: Header=BB207_21 Depth=1
	v_add_co_u32 v66, vcc_lo, v64, v63
	v_add_co_ci_u32_e64 v67, null, 0, v65, vcc_lo
	v_add_co_u32 v68, vcc_lo, v61, v27
	v_add_co_ci_u32_e64 v69, null, v62, v28, vcc_lo
	;; [unrolled: 2-line block ×4, first 2 shown]
	v_add_co_u32 v45, vcc_lo, v45, v0
	v_cndmask_b32_e64 v66, v68, v66, s0
	v_cndmask_b32_e64 v67, v69, v67, s0
	v_add_co_ci_u32_e64 v46, null, 0, v46, vcc_lo
	global_load_dwordx2 v[66:67], v[66:67], off
	v_lshlrev_b64 v[45:46], 3, v[45:46]
	v_add_co_u32 v68, vcc_lo, s34, v45
	v_add_co_ci_u32_e64 v69, null, s35, v46, vcc_lo
	v_add_co_u32 v45, vcc_lo, s28, v45
	v_add_co_ci_u32_e64 v46, null, s29, v46, vcc_lo
	global_store_dwordx2 v[68:69], v[43:44], off offset:1792
	s_waitcnt vmcnt(0)
	global_store_dwordx2 v[45:46], v[66:67], off offset:1792
.LBB207_82:                             ;   in Loop: Header=BB207_21 Depth=1
	s_or_b32 exec_lo, exec_lo, s94
	v_add_co_u32 v45, vcc_lo, v57, s15
	v_add_co_ci_u32_e64 v46, null, s93, v58, vcc_lo
	v_add_co_u32 v64, vcc_lo, v64, s4
	v_mul_lo_u32 v66, v45, s21
	v_mul_lo_u32 v67, v46, s20
	v_mad_u64_u32 v[45:46], null, v45, s20, s[36:37]
	v_add_co_ci_u32_e64 v65, null, s5, v65, vcc_lo
	v_add3_u32 v46, v67, v46, v66
	s_and_saveexec_b32 s94, s84
	s_cbranch_execnz .LBB207_134
; %bb.83:                               ;   in Loop: Header=BB207_21 Depth=1
	s_or_b32 exec_lo, exec_lo, s94
	s_and_saveexec_b32 s94, s85
	s_cbranch_execnz .LBB207_135
.LBB207_84:                             ;   in Loop: Header=BB207_21 Depth=1
	s_or_b32 exec_lo, exec_lo, s94
	s_and_saveexec_b32 s94, s86
	s_cbranch_execnz .LBB207_136
.LBB207_85:                             ;   in Loop: Header=BB207_21 Depth=1
	s_or_b32 exec_lo, exec_lo, s94
	s_and_saveexec_b32 s94, s87
	s_cbranch_execnz .LBB207_137
.LBB207_86:                             ;   in Loop: Header=BB207_21 Depth=1
	s_or_b32 exec_lo, exec_lo, s94
	s_and_saveexec_b32 s94, s88
	s_cbranch_execnz .LBB207_138
.LBB207_87:                             ;   in Loop: Header=BB207_21 Depth=1
	s_or_b32 exec_lo, exec_lo, s94
	s_and_saveexec_b32 s94, s89
	s_cbranch_execnz .LBB207_139
.LBB207_88:                             ;   in Loop: Header=BB207_21 Depth=1
	s_or_b32 exec_lo, exec_lo, s94
	s_and_saveexec_b32 s94, s90
	s_cbranch_execnz .LBB207_140
.LBB207_89:                             ;   in Loop: Header=BB207_21 Depth=1
	s_or_b32 exec_lo, exec_lo, s94
	s_and_saveexec_b32 s94, s10
	s_cbranch_execz .LBB207_91
.LBB207_90:                             ;   in Loop: Header=BB207_21 Depth=1
	v_add_co_u32 v66, vcc_lo, v64, v63
	v_add_co_ci_u32_e64 v67, null, 0, v65, vcc_lo
	v_add_co_u32 v68, vcc_lo, v61, v27
	v_add_co_ci_u32_e64 v69, null, v62, v28, vcc_lo
	;; [unrolled: 2-line block ×4, first 2 shown]
	v_add_co_u32 v45, vcc_lo, v45, v0
	v_cndmask_b32_e64 v66, v68, v66, s0
	v_cndmask_b32_e64 v67, v69, v67, s0
	v_add_co_ci_u32_e64 v46, null, 0, v46, vcc_lo
	global_load_dwordx2 v[66:67], v[66:67], off
	v_lshlrev_b64 v[45:46], 3, v[45:46]
	v_add_co_u32 v68, vcc_lo, s34, v45
	v_add_co_ci_u32_e64 v69, null, s35, v46, vcc_lo
	v_add_co_u32 v45, vcc_lo, s28, v45
	v_add_co_ci_u32_e64 v46, null, s29, v46, vcc_lo
	global_store_dwordx2 v[68:69], v[43:44], off offset:1792
	s_waitcnt vmcnt(0)
	global_store_dwordx2 v[45:46], v[66:67], off offset:1792
.LBB207_91:                             ;   in Loop: Header=BB207_21 Depth=1
	s_or_b32 exec_lo, exec_lo, s94
	v_add_co_u32 v45, vcc_lo, v59, s15
	v_add_co_ci_u32_e64 v46, null, s93, v60, vcc_lo
	v_add_co_u32 v64, vcc_lo, v64, s4
	v_mul_lo_u32 v66, v45, s21
	v_mul_lo_u32 v67, v46, s20
	v_mad_u64_u32 v[45:46], null, v45, s20, s[36:37]
	v_add_co_ci_u32_e64 v65, null, s5, v65, vcc_lo
	v_add3_u32 v46, v67, v46, v66
	s_and_saveexec_b32 s4, s1
	s_cbranch_execnz .LBB207_141
; %bb.92:                               ;   in Loop: Header=BB207_21 Depth=1
	s_or_b32 exec_lo, exec_lo, s4
	s_and_saveexec_b32 s4, s91
	s_cbranch_execnz .LBB207_142
.LBB207_93:                             ;   in Loop: Header=BB207_21 Depth=1
	s_or_b32 exec_lo, exec_lo, s4
	s_and_saveexec_b32 s4, s92
	s_cbranch_execnz .LBB207_143
.LBB207_94:                             ;   in Loop: Header=BB207_21 Depth=1
	s_or_b32 exec_lo, exec_lo, s4
	s_and_saveexec_b32 s4, s11
	s_cbranch_execnz .LBB207_144
.LBB207_95:                             ;   in Loop: Header=BB207_21 Depth=1
	s_or_b32 exec_lo, exec_lo, s4
	s_and_saveexec_b32 s4, s12
	s_cbranch_execnz .LBB207_145
.LBB207_96:                             ;   in Loop: Header=BB207_21 Depth=1
	s_or_b32 exec_lo, exec_lo, s4
	s_and_saveexec_b32 s4, s13
	s_cbranch_execnz .LBB207_146
.LBB207_97:                             ;   in Loop: Header=BB207_21 Depth=1
	s_or_b32 exec_lo, exec_lo, s4
	s_and_saveexec_b32 s4, s14
	s_cbranch_execnz .LBB207_147
.LBB207_98:                             ;   in Loop: Header=BB207_21 Depth=1
	s_or_b32 exec_lo, exec_lo, s4
	s_and_saveexec_b32 s4, s9
	s_cbranch_execz .LBB207_20
	s_branch .LBB207_148
.LBB207_99:                             ;   in Loop: Header=BB207_21 Depth=1
	v_add_co_u32 v66, vcc_lo, v61, v13
	v_add_co_ci_u32_e64 v67, null, v62, v14, vcc_lo
	v_add_co_u32 v68, vcc_lo, v64, v63
	v_add_co_ci_u32_e64 v69, null, 0, v65, vcc_lo
	;; [unrolled: 2-line block ×3, first 2 shown]
	v_cndmask_b32_e64 v66, v66, v68, s0
	v_add_co_u32 v68, vcc_lo, v45, v0
	v_cndmask_b32_e64 v67, v67, v69, s0
	v_add_co_ci_u32_e64 v69, null, 0, v46, vcc_lo
	global_load_dwordx2 v[66:67], v[66:67], off
	v_lshlrev_b64 v[68:69], 3, v[68:69]
	v_add_co_u32 v70, vcc_lo, s34, v68
	v_add_co_ci_u32_e64 v71, null, s35, v69, vcc_lo
	v_add_co_u32 v68, vcc_lo, s28, v68
	v_add_co_ci_u32_e64 v69, null, s29, v69, vcc_lo
	global_store_dwordx2 v[70:71], v[29:30], off
	s_waitcnt vmcnt(0)
	global_store_dwordx2 v[68:69], v[66:67], off
	s_or_b32 exec_lo, exec_lo, s94
	s_and_saveexec_b32 s94, s41
	s_cbranch_execz .LBB207_39
.LBB207_100:                            ;   in Loop: Header=BB207_21 Depth=1
	v_add_co_u32 v66, vcc_lo, v64, v63
	v_add_co_ci_u32_e64 v67, null, 0, v65, vcc_lo
	v_add_co_u32 v68, vcc_lo, v61, v15
	v_add_co_ci_u32_e64 v69, null, v62, v16, vcc_lo
	v_cndmask_b32_e64 v66, v68, v66, s0
	v_add_co_u32 v68, vcc_lo, v45, v0
	v_cndmask_b32_e64 v67, v69, v67, s0
	v_add_co_ci_u32_e64 v69, null, 0, v46, vcc_lo
	global_load_dwordx2 v[66:67], v[66:67], off offset:256
	v_lshlrev_b64 v[68:69], 3, v[68:69]
	v_add_co_u32 v70, vcc_lo, s34, v68
	v_add_co_ci_u32_e64 v71, null, s35, v69, vcc_lo
	v_add_co_u32 v68, vcc_lo, s28, v68
	v_add_co_ci_u32_e64 v69, null, s29, v69, vcc_lo
	global_store_dwordx2 v[70:71], v[31:32], off offset:256
	s_waitcnt vmcnt(0)
	global_store_dwordx2 v[68:69], v[66:67], off offset:256
	s_or_b32 exec_lo, exec_lo, s94
	s_and_saveexec_b32 s94, s49
	s_cbranch_execz .LBB207_40
.LBB207_101:                            ;   in Loop: Header=BB207_21 Depth=1
	v_add_co_u32 v66, vcc_lo, v64, v63
	v_add_co_ci_u32_e64 v67, null, 0, v65, vcc_lo
	v_add_co_u32 v68, vcc_lo, v61, v17
	v_add_co_ci_u32_e64 v69, null, v62, v18, vcc_lo
	;; [unrolled: 2-line block ×4, first 2 shown]
	v_cndmask_b32_e64 v66, v68, v66, s0
	v_add_co_u32 v68, vcc_lo, v45, v0
	v_cndmask_b32_e64 v67, v69, v67, s0
	v_add_co_ci_u32_e64 v69, null, 0, v46, vcc_lo
	global_load_dwordx2 v[66:67], v[66:67], off
	v_lshlrev_b64 v[68:69], 3, v[68:69]
	v_add_co_u32 v70, vcc_lo, s34, v68
	v_add_co_ci_u32_e64 v71, null, s35, v69, vcc_lo
	v_add_co_u32 v68, vcc_lo, s28, v68
	v_add_co_ci_u32_e64 v69, null, s29, v69, vcc_lo
	global_store_dwordx2 v[70:71], v[33:34], off offset:512
	s_waitcnt vmcnt(0)
	global_store_dwordx2 v[68:69], v[66:67], off offset:512
	s_or_b32 exec_lo, exec_lo, s94
	s_and_saveexec_b32 s94, s50
	s_cbranch_execz .LBB207_41
.LBB207_102:                            ;   in Loop: Header=BB207_21 Depth=1
	v_add_co_u32 v66, vcc_lo, v64, v63
	v_add_co_ci_u32_e64 v67, null, 0, v65, vcc_lo
	v_add_co_u32 v68, vcc_lo, v61, v19
	v_add_co_ci_u32_e64 v69, null, v62, v20, vcc_lo
	;; [unrolled: 2-line block ×4, first 2 shown]
	v_cndmask_b32_e64 v66, v68, v66, s0
	v_add_co_u32 v68, vcc_lo, v45, v0
	v_cndmask_b32_e64 v67, v69, v67, s0
	v_add_co_ci_u32_e64 v69, null, 0, v46, vcc_lo
	global_load_dwordx2 v[66:67], v[66:67], off
	v_lshlrev_b64 v[68:69], 3, v[68:69]
	v_add_co_u32 v70, vcc_lo, s34, v68
	v_add_co_ci_u32_e64 v71, null, s35, v69, vcc_lo
	v_add_co_u32 v68, vcc_lo, s28, v68
	v_add_co_ci_u32_e64 v69, null, s29, v69, vcc_lo
	global_store_dwordx2 v[70:71], v[35:36], off offset:768
	s_waitcnt vmcnt(0)
	global_store_dwordx2 v[68:69], v[66:67], off offset:768
	s_or_b32 exec_lo, exec_lo, s94
	s_and_saveexec_b32 s94, s51
	s_cbranch_execz .LBB207_42
.LBB207_103:                            ;   in Loop: Header=BB207_21 Depth=1
	v_add_co_u32 v66, vcc_lo, v64, v63
	v_add_co_ci_u32_e64 v67, null, 0, v65, vcc_lo
	v_add_co_u32 v68, vcc_lo, v61, v21
	v_add_co_ci_u32_e64 v69, null, v62, v22, vcc_lo
	;; [unrolled: 2-line block ×4, first 2 shown]
	v_cndmask_b32_e64 v66, v68, v66, s0
	v_add_co_u32 v68, vcc_lo, v45, v0
	v_cndmask_b32_e64 v67, v69, v67, s0
	v_add_co_ci_u32_e64 v69, null, 0, v46, vcc_lo
	global_load_dwordx2 v[66:67], v[66:67], off
	v_lshlrev_b64 v[68:69], 3, v[68:69]
	v_add_co_u32 v70, vcc_lo, s34, v68
	v_add_co_ci_u32_e64 v71, null, s35, v69, vcc_lo
	v_add_co_u32 v68, vcc_lo, s28, v68
	v_add_co_ci_u32_e64 v69, null, s29, v69, vcc_lo
	global_store_dwordx2 v[70:71], v[37:38], off offset:1024
	s_waitcnt vmcnt(0)
	global_store_dwordx2 v[68:69], v[66:67], off offset:1024
	s_or_b32 exec_lo, exec_lo, s94
	s_and_saveexec_b32 s94, s52
	s_cbranch_execz .LBB207_43
.LBB207_104:                            ;   in Loop: Header=BB207_21 Depth=1
	v_add_co_u32 v66, vcc_lo, v64, v63
	v_add_co_ci_u32_e64 v67, null, 0, v65, vcc_lo
	v_add_co_u32 v68, vcc_lo, v61, v23
	v_add_co_ci_u32_e64 v69, null, v62, v24, vcc_lo
	;; [unrolled: 2-line block ×4, first 2 shown]
	v_cndmask_b32_e64 v66, v68, v66, s0
	v_add_co_u32 v68, vcc_lo, v45, v0
	v_cndmask_b32_e64 v67, v69, v67, s0
	v_add_co_ci_u32_e64 v69, null, 0, v46, vcc_lo
	global_load_dwordx2 v[66:67], v[66:67], off
	v_lshlrev_b64 v[68:69], 3, v[68:69]
	v_add_co_u32 v70, vcc_lo, s34, v68
	v_add_co_ci_u32_e64 v71, null, s35, v69, vcc_lo
	v_add_co_u32 v68, vcc_lo, s28, v68
	v_add_co_ci_u32_e64 v69, null, s29, v69, vcc_lo
	global_store_dwordx2 v[70:71], v[39:40], off offset:1280
	s_waitcnt vmcnt(0)
	global_store_dwordx2 v[68:69], v[66:67], off offset:1280
	s_or_b32 exec_lo, exec_lo, s94
	s_and_saveexec_b32 s94, s53
	s_cbranch_execz .LBB207_44
.LBB207_105:                            ;   in Loop: Header=BB207_21 Depth=1
	v_add_co_u32 v66, vcc_lo, v64, v63
	v_add_co_ci_u32_e64 v67, null, 0, v65, vcc_lo
	v_add_co_u32 v68, vcc_lo, v61, v25
	v_add_co_ci_u32_e64 v69, null, v62, v26, vcc_lo
	;; [unrolled: 2-line block ×4, first 2 shown]
	v_cndmask_b32_e64 v66, v68, v66, s0
	v_add_co_u32 v68, vcc_lo, v45, v0
	v_cndmask_b32_e64 v67, v69, v67, s0
	v_add_co_ci_u32_e64 v69, null, 0, v46, vcc_lo
	global_load_dwordx2 v[66:67], v[66:67], off
	v_lshlrev_b64 v[68:69], 3, v[68:69]
	v_add_co_u32 v70, vcc_lo, s34, v68
	v_add_co_ci_u32_e64 v71, null, s35, v69, vcc_lo
	v_add_co_u32 v68, vcc_lo, s28, v68
	v_add_co_ci_u32_e64 v69, null, s29, v69, vcc_lo
	global_store_dwordx2 v[70:71], v[41:42], off offset:1536
	s_waitcnt vmcnt(0)
	global_store_dwordx2 v[68:69], v[66:67], off offset:1536
	s_or_b32 exec_lo, exec_lo, s94
	s_and_saveexec_b32 s94, s54
	s_cbranch_execnz .LBB207_45
	s_branch .LBB207_46
.LBB207_106:                            ;   in Loop: Header=BB207_21 Depth=1
	v_add_co_u32 v66, vcc_lo, v61, v13
	v_add_co_ci_u32_e64 v67, null, v62, v14, vcc_lo
	v_add_co_u32 v68, vcc_lo, v64, v63
	v_add_co_ci_u32_e64 v69, null, 0, v65, vcc_lo
	;; [unrolled: 2-line block ×3, first 2 shown]
	v_cndmask_b32_e64 v66, v66, v68, s0
	v_add_co_u32 v68, vcc_lo, v45, v0
	v_cndmask_b32_e64 v67, v67, v69, s0
	v_add_co_ci_u32_e64 v69, null, 0, v46, vcc_lo
	global_load_dwordx2 v[66:67], v[66:67], off
	v_lshlrev_b64 v[68:69], 3, v[68:69]
	v_add_co_u32 v70, vcc_lo, s34, v68
	v_add_co_ci_u32_e64 v71, null, s35, v69, vcc_lo
	v_add_co_u32 v68, vcc_lo, s28, v68
	v_add_co_ci_u32_e64 v69, null, s29, v69, vcc_lo
	global_store_dwordx2 v[70:71], v[29:30], off
	s_waitcnt vmcnt(0)
	global_store_dwordx2 v[68:69], v[66:67], off
	s_or_b32 exec_lo, exec_lo, s94
	s_and_saveexec_b32 s94, s56
	s_cbranch_execz .LBB207_48
.LBB207_107:                            ;   in Loop: Header=BB207_21 Depth=1
	v_add_co_u32 v66, vcc_lo, v64, v63
	v_add_co_ci_u32_e64 v67, null, 0, v65, vcc_lo
	v_add_co_u32 v68, vcc_lo, v61, v15
	v_add_co_ci_u32_e64 v69, null, v62, v16, vcc_lo
	;; [unrolled: 2-line block ×4, first 2 shown]
	v_cndmask_b32_e64 v66, v68, v66, s0
	v_add_co_u32 v68, vcc_lo, v45, v0
	v_cndmask_b32_e64 v67, v69, v67, s0
	v_add_co_ci_u32_e64 v69, null, 0, v46, vcc_lo
	global_load_dwordx2 v[66:67], v[66:67], off
	v_lshlrev_b64 v[68:69], 3, v[68:69]
	v_add_co_u32 v70, vcc_lo, s34, v68
	v_add_co_ci_u32_e64 v71, null, s35, v69, vcc_lo
	v_add_co_u32 v68, vcc_lo, s28, v68
	v_add_co_ci_u32_e64 v69, null, s29, v69, vcc_lo
	global_store_dwordx2 v[70:71], v[31:32], off offset:256
	s_waitcnt vmcnt(0)
	global_store_dwordx2 v[68:69], v[66:67], off offset:256
	s_or_b32 exec_lo, exec_lo, s94
	s_and_saveexec_b32 s94, s57
	s_cbranch_execz .LBB207_49
.LBB207_108:                            ;   in Loop: Header=BB207_21 Depth=1
	v_add_co_u32 v66, vcc_lo, v64, v63
	v_add_co_ci_u32_e64 v67, null, 0, v65, vcc_lo
	v_add_co_u32 v68, vcc_lo, v61, v17
	v_add_co_ci_u32_e64 v69, null, v62, v18, vcc_lo
	v_cndmask_b32_e64 v66, v68, v66, s0
	v_add_co_u32 v68, vcc_lo, v45, v0
	v_cndmask_b32_e64 v67, v69, v67, s0
	v_add_co_ci_u32_e64 v69, null, 0, v46, vcc_lo
	global_load_dwordx2 v[66:67], v[66:67], off offset:512
	v_lshlrev_b64 v[68:69], 3, v[68:69]
	v_add_co_u32 v70, vcc_lo, s34, v68
	v_add_co_ci_u32_e64 v71, null, s35, v69, vcc_lo
	v_add_co_u32 v68, vcc_lo, s28, v68
	v_add_co_ci_u32_e64 v69, null, s29, v69, vcc_lo
	global_store_dwordx2 v[70:71], v[33:34], off offset:512
	s_waitcnt vmcnt(0)
	global_store_dwordx2 v[68:69], v[66:67], off offset:512
	s_or_b32 exec_lo, exec_lo, s94
	s_and_saveexec_b32 s94, s58
	s_cbranch_execz .LBB207_50
.LBB207_109:                            ;   in Loop: Header=BB207_21 Depth=1
	v_add_co_u32 v66, vcc_lo, v64, v63
	v_add_co_ci_u32_e64 v67, null, 0, v65, vcc_lo
	v_add_co_u32 v68, vcc_lo, v61, v19
	v_add_co_ci_u32_e64 v69, null, v62, v20, vcc_lo
	;; [unrolled: 2-line block ×4, first 2 shown]
	v_cndmask_b32_e64 v66, v68, v66, s0
	v_add_co_u32 v68, vcc_lo, v45, v0
	v_cndmask_b32_e64 v67, v69, v67, s0
	v_add_co_ci_u32_e64 v69, null, 0, v46, vcc_lo
	global_load_dwordx2 v[66:67], v[66:67], off
	v_lshlrev_b64 v[68:69], 3, v[68:69]
	v_add_co_u32 v70, vcc_lo, s34, v68
	v_add_co_ci_u32_e64 v71, null, s35, v69, vcc_lo
	v_add_co_u32 v68, vcc_lo, s28, v68
	v_add_co_ci_u32_e64 v69, null, s29, v69, vcc_lo
	global_store_dwordx2 v[70:71], v[35:36], off offset:768
	s_waitcnt vmcnt(0)
	global_store_dwordx2 v[68:69], v[66:67], off offset:768
	s_or_b32 exec_lo, exec_lo, s94
	s_and_saveexec_b32 s94, s59
	s_cbranch_execz .LBB207_51
.LBB207_110:                            ;   in Loop: Header=BB207_21 Depth=1
	v_add_co_u32 v66, vcc_lo, v64, v63
	v_add_co_ci_u32_e64 v67, null, 0, v65, vcc_lo
	v_add_co_u32 v68, vcc_lo, v61, v21
	v_add_co_ci_u32_e64 v69, null, v62, v22, vcc_lo
	;; [unrolled: 2-line block ×4, first 2 shown]
	v_cndmask_b32_e64 v66, v68, v66, s0
	v_add_co_u32 v68, vcc_lo, v45, v0
	v_cndmask_b32_e64 v67, v69, v67, s0
	v_add_co_ci_u32_e64 v69, null, 0, v46, vcc_lo
	global_load_dwordx2 v[66:67], v[66:67], off
	v_lshlrev_b64 v[68:69], 3, v[68:69]
	v_add_co_u32 v70, vcc_lo, s34, v68
	v_add_co_ci_u32_e64 v71, null, s35, v69, vcc_lo
	v_add_co_u32 v68, vcc_lo, s28, v68
	v_add_co_ci_u32_e64 v69, null, s29, v69, vcc_lo
	global_store_dwordx2 v[70:71], v[37:38], off offset:1024
	s_waitcnt vmcnt(0)
	global_store_dwordx2 v[68:69], v[66:67], off offset:1024
	s_or_b32 exec_lo, exec_lo, s94
	s_and_saveexec_b32 s94, s60
	s_cbranch_execz .LBB207_52
.LBB207_111:                            ;   in Loop: Header=BB207_21 Depth=1
	v_add_co_u32 v66, vcc_lo, v64, v63
	v_add_co_ci_u32_e64 v67, null, 0, v65, vcc_lo
	v_add_co_u32 v68, vcc_lo, v61, v23
	v_add_co_ci_u32_e64 v69, null, v62, v24, vcc_lo
	;; [unrolled: 2-line block ×4, first 2 shown]
	v_cndmask_b32_e64 v66, v68, v66, s0
	v_add_co_u32 v68, vcc_lo, v45, v0
	v_cndmask_b32_e64 v67, v69, v67, s0
	v_add_co_ci_u32_e64 v69, null, 0, v46, vcc_lo
	global_load_dwordx2 v[66:67], v[66:67], off
	v_lshlrev_b64 v[68:69], 3, v[68:69]
	v_add_co_u32 v70, vcc_lo, s34, v68
	v_add_co_ci_u32_e64 v71, null, s35, v69, vcc_lo
	v_add_co_u32 v68, vcc_lo, s28, v68
	v_add_co_ci_u32_e64 v69, null, s29, v69, vcc_lo
	global_store_dwordx2 v[70:71], v[39:40], off offset:1280
	s_waitcnt vmcnt(0)
	global_store_dwordx2 v[68:69], v[66:67], off offset:1280
	s_or_b32 exec_lo, exec_lo, s94
	s_and_saveexec_b32 s94, s61
	s_cbranch_execz .LBB207_53
.LBB207_112:                            ;   in Loop: Header=BB207_21 Depth=1
	v_add_co_u32 v66, vcc_lo, v64, v63
	v_add_co_ci_u32_e64 v67, null, 0, v65, vcc_lo
	v_add_co_u32 v68, vcc_lo, v61, v25
	v_add_co_ci_u32_e64 v69, null, v62, v26, vcc_lo
	;; [unrolled: 2-line block ×4, first 2 shown]
	v_cndmask_b32_e64 v66, v68, v66, s0
	v_add_co_u32 v68, vcc_lo, v45, v0
	v_cndmask_b32_e64 v67, v69, v67, s0
	v_add_co_ci_u32_e64 v69, null, 0, v46, vcc_lo
	global_load_dwordx2 v[66:67], v[66:67], off
	v_lshlrev_b64 v[68:69], 3, v[68:69]
	v_add_co_u32 v70, vcc_lo, s34, v68
	v_add_co_ci_u32_e64 v71, null, s35, v69, vcc_lo
	v_add_co_u32 v68, vcc_lo, s28, v68
	v_add_co_ci_u32_e64 v69, null, s29, v69, vcc_lo
	global_store_dwordx2 v[70:71], v[41:42], off offset:1536
	s_waitcnt vmcnt(0)
	global_store_dwordx2 v[68:69], v[66:67], off offset:1536
	s_or_b32 exec_lo, exec_lo, s94
	s_and_saveexec_b32 s94, s62
	s_cbranch_execnz .LBB207_54
	s_branch .LBB207_55
.LBB207_113:                            ;   in Loop: Header=BB207_21 Depth=1
	v_add_co_u32 v66, vcc_lo, v61, v13
	v_add_co_ci_u32_e64 v67, null, v62, v14, vcc_lo
	v_add_co_u32 v68, vcc_lo, v64, v63
	v_add_co_ci_u32_e64 v69, null, 0, v65, vcc_lo
	v_add_co_u32 v66, vcc_lo, 0x300, v66
	v_add_co_ci_u32_e64 v67, null, 0, v67, vcc_lo
	v_cndmask_b32_e64 v66, v66, v68, s0
	v_add_co_u32 v68, vcc_lo, v45, v0
	v_cndmask_b32_e64 v67, v67, v69, s0
	v_add_co_ci_u32_e64 v69, null, 0, v46, vcc_lo
	global_load_dwordx2 v[66:67], v[66:67], off
	v_lshlrev_b64 v[68:69], 3, v[68:69]
	v_add_co_u32 v70, vcc_lo, s34, v68
	v_add_co_ci_u32_e64 v71, null, s35, v69, vcc_lo
	v_add_co_u32 v68, vcc_lo, s28, v68
	v_add_co_ci_u32_e64 v69, null, s29, v69, vcc_lo
	global_store_dwordx2 v[70:71], v[29:30], off
	s_waitcnt vmcnt(0)
	global_store_dwordx2 v[68:69], v[66:67], off
	s_or_b32 exec_lo, exec_lo, s94
	s_and_saveexec_b32 s94, s64
	s_cbranch_execz .LBB207_57
.LBB207_114:                            ;   in Loop: Header=BB207_21 Depth=1
	v_add_co_u32 v66, vcc_lo, v64, v63
	v_add_co_ci_u32_e64 v67, null, 0, v65, vcc_lo
	v_add_co_u32 v68, vcc_lo, v61, v15
	v_add_co_ci_u32_e64 v69, null, v62, v16, vcc_lo
	;; [unrolled: 2-line block ×4, first 2 shown]
	v_cndmask_b32_e64 v66, v68, v66, s0
	v_add_co_u32 v68, vcc_lo, v45, v0
	v_cndmask_b32_e64 v67, v69, v67, s0
	v_add_co_ci_u32_e64 v69, null, 0, v46, vcc_lo
	global_load_dwordx2 v[66:67], v[66:67], off
	v_lshlrev_b64 v[68:69], 3, v[68:69]
	v_add_co_u32 v70, vcc_lo, s34, v68
	v_add_co_ci_u32_e64 v71, null, s35, v69, vcc_lo
	v_add_co_u32 v68, vcc_lo, s28, v68
	v_add_co_ci_u32_e64 v69, null, s29, v69, vcc_lo
	global_store_dwordx2 v[70:71], v[31:32], off offset:256
	s_waitcnt vmcnt(0)
	global_store_dwordx2 v[68:69], v[66:67], off offset:256
	s_or_b32 exec_lo, exec_lo, s94
	s_and_saveexec_b32 s94, s65
	s_cbranch_execz .LBB207_58
.LBB207_115:                            ;   in Loop: Header=BB207_21 Depth=1
	v_add_co_u32 v66, vcc_lo, v64, v63
	v_add_co_ci_u32_e64 v67, null, 0, v65, vcc_lo
	v_add_co_u32 v68, vcc_lo, v61, v17
	v_add_co_ci_u32_e64 v69, null, v62, v18, vcc_lo
	;; [unrolled: 2-line block ×4, first 2 shown]
	v_cndmask_b32_e64 v66, v68, v66, s0
	v_add_co_u32 v68, vcc_lo, v45, v0
	v_cndmask_b32_e64 v67, v69, v67, s0
	v_add_co_ci_u32_e64 v69, null, 0, v46, vcc_lo
	global_load_dwordx2 v[66:67], v[66:67], off
	v_lshlrev_b64 v[68:69], 3, v[68:69]
	v_add_co_u32 v70, vcc_lo, s34, v68
	v_add_co_ci_u32_e64 v71, null, s35, v69, vcc_lo
	v_add_co_u32 v68, vcc_lo, s28, v68
	v_add_co_ci_u32_e64 v69, null, s29, v69, vcc_lo
	global_store_dwordx2 v[70:71], v[33:34], off offset:512
	s_waitcnt vmcnt(0)
	global_store_dwordx2 v[68:69], v[66:67], off offset:512
	s_or_b32 exec_lo, exec_lo, s94
	s_and_saveexec_b32 s94, s66
	s_cbranch_execz .LBB207_59
.LBB207_116:                            ;   in Loop: Header=BB207_21 Depth=1
	v_add_co_u32 v66, vcc_lo, v64, v63
	v_add_co_ci_u32_e64 v67, null, 0, v65, vcc_lo
	v_add_co_u32 v68, vcc_lo, v61, v19
	v_add_co_ci_u32_e64 v69, null, v62, v20, vcc_lo
	v_cndmask_b32_e64 v66, v68, v66, s0
	v_add_co_u32 v68, vcc_lo, v45, v0
	v_cndmask_b32_e64 v67, v69, v67, s0
	v_add_co_ci_u32_e64 v69, null, 0, v46, vcc_lo
	global_load_dwordx2 v[66:67], v[66:67], off offset:768
	v_lshlrev_b64 v[68:69], 3, v[68:69]
	v_add_co_u32 v70, vcc_lo, s34, v68
	v_add_co_ci_u32_e64 v71, null, s35, v69, vcc_lo
	v_add_co_u32 v68, vcc_lo, s28, v68
	v_add_co_ci_u32_e64 v69, null, s29, v69, vcc_lo
	global_store_dwordx2 v[70:71], v[35:36], off offset:768
	s_waitcnt vmcnt(0)
	global_store_dwordx2 v[68:69], v[66:67], off offset:768
	s_or_b32 exec_lo, exec_lo, s94
	s_and_saveexec_b32 s94, s67
	s_cbranch_execz .LBB207_60
.LBB207_117:                            ;   in Loop: Header=BB207_21 Depth=1
	v_add_co_u32 v66, vcc_lo, v64, v63
	v_add_co_ci_u32_e64 v67, null, 0, v65, vcc_lo
	v_add_co_u32 v68, vcc_lo, v61, v21
	v_add_co_ci_u32_e64 v69, null, v62, v22, vcc_lo
	;; [unrolled: 2-line block ×4, first 2 shown]
	v_cndmask_b32_e64 v66, v68, v66, s0
	v_add_co_u32 v68, vcc_lo, v45, v0
	v_cndmask_b32_e64 v67, v69, v67, s0
	v_add_co_ci_u32_e64 v69, null, 0, v46, vcc_lo
	global_load_dwordx2 v[66:67], v[66:67], off
	v_lshlrev_b64 v[68:69], 3, v[68:69]
	v_add_co_u32 v70, vcc_lo, s34, v68
	v_add_co_ci_u32_e64 v71, null, s35, v69, vcc_lo
	v_add_co_u32 v68, vcc_lo, s28, v68
	v_add_co_ci_u32_e64 v69, null, s29, v69, vcc_lo
	global_store_dwordx2 v[70:71], v[37:38], off offset:1024
	s_waitcnt vmcnt(0)
	global_store_dwordx2 v[68:69], v[66:67], off offset:1024
	s_or_b32 exec_lo, exec_lo, s94
	s_and_saveexec_b32 s94, s68
	s_cbranch_execz .LBB207_61
.LBB207_118:                            ;   in Loop: Header=BB207_21 Depth=1
	v_add_co_u32 v66, vcc_lo, v64, v63
	v_add_co_ci_u32_e64 v67, null, 0, v65, vcc_lo
	v_add_co_u32 v68, vcc_lo, v61, v23
	v_add_co_ci_u32_e64 v69, null, v62, v24, vcc_lo
	;; [unrolled: 2-line block ×4, first 2 shown]
	v_cndmask_b32_e64 v66, v68, v66, s0
	v_add_co_u32 v68, vcc_lo, v45, v0
	v_cndmask_b32_e64 v67, v69, v67, s0
	v_add_co_ci_u32_e64 v69, null, 0, v46, vcc_lo
	global_load_dwordx2 v[66:67], v[66:67], off
	v_lshlrev_b64 v[68:69], 3, v[68:69]
	v_add_co_u32 v70, vcc_lo, s34, v68
	v_add_co_ci_u32_e64 v71, null, s35, v69, vcc_lo
	v_add_co_u32 v68, vcc_lo, s28, v68
	v_add_co_ci_u32_e64 v69, null, s29, v69, vcc_lo
	global_store_dwordx2 v[70:71], v[39:40], off offset:1280
	s_waitcnt vmcnt(0)
	global_store_dwordx2 v[68:69], v[66:67], off offset:1280
	s_or_b32 exec_lo, exec_lo, s94
	s_and_saveexec_b32 s94, s69
	s_cbranch_execz .LBB207_62
.LBB207_119:                            ;   in Loop: Header=BB207_21 Depth=1
	v_add_co_u32 v66, vcc_lo, v64, v63
	v_add_co_ci_u32_e64 v67, null, 0, v65, vcc_lo
	v_add_co_u32 v68, vcc_lo, v61, v25
	v_add_co_ci_u32_e64 v69, null, v62, v26, vcc_lo
	;; [unrolled: 2-line block ×4, first 2 shown]
	v_cndmask_b32_e64 v66, v68, v66, s0
	v_add_co_u32 v68, vcc_lo, v45, v0
	v_cndmask_b32_e64 v67, v69, v67, s0
	v_add_co_ci_u32_e64 v69, null, 0, v46, vcc_lo
	global_load_dwordx2 v[66:67], v[66:67], off
	v_lshlrev_b64 v[68:69], 3, v[68:69]
	v_add_co_u32 v70, vcc_lo, s34, v68
	v_add_co_ci_u32_e64 v71, null, s35, v69, vcc_lo
	v_add_co_u32 v68, vcc_lo, s28, v68
	v_add_co_ci_u32_e64 v69, null, s29, v69, vcc_lo
	global_store_dwordx2 v[70:71], v[41:42], off offset:1536
	s_waitcnt vmcnt(0)
	global_store_dwordx2 v[68:69], v[66:67], off offset:1536
	s_or_b32 exec_lo, exec_lo, s94
	s_and_saveexec_b32 s94, s6
	s_cbranch_execnz .LBB207_63
	s_branch .LBB207_64
.LBB207_120:                            ;   in Loop: Header=BB207_21 Depth=1
	v_add_co_u32 v66, vcc_lo, v61, v13
	v_add_co_ci_u32_e64 v67, null, v62, v14, vcc_lo
	v_add_co_u32 v68, vcc_lo, v64, v63
	v_add_co_ci_u32_e64 v69, null, 0, v65, vcc_lo
	;; [unrolled: 2-line block ×3, first 2 shown]
	v_cndmask_b32_e64 v66, v66, v68, s0
	v_add_co_u32 v68, vcc_lo, v45, v0
	v_cndmask_b32_e64 v67, v67, v69, s0
	v_add_co_ci_u32_e64 v69, null, 0, v46, vcc_lo
	global_load_dwordx2 v[66:67], v[66:67], off
	v_lshlrev_b64 v[68:69], 3, v[68:69]
	v_add_co_u32 v70, vcc_lo, s34, v68
	v_add_co_ci_u32_e64 v71, null, s35, v69, vcc_lo
	v_add_co_u32 v68, vcc_lo, s28, v68
	v_add_co_ci_u32_e64 v69, null, s29, v69, vcc_lo
	global_store_dwordx2 v[70:71], v[29:30], off
	s_waitcnt vmcnt(0)
	global_store_dwordx2 v[68:69], v[66:67], off
	s_or_b32 exec_lo, exec_lo, s94
	s_and_saveexec_b32 s94, s71
	s_cbranch_execz .LBB207_66
.LBB207_121:                            ;   in Loop: Header=BB207_21 Depth=1
	v_add_co_u32 v66, vcc_lo, v64, v63
	v_add_co_ci_u32_e64 v67, null, 0, v65, vcc_lo
	v_add_co_u32 v68, vcc_lo, v61, v15
	v_add_co_ci_u32_e64 v69, null, v62, v16, vcc_lo
	;; [unrolled: 2-line block ×4, first 2 shown]
	v_cndmask_b32_e64 v66, v68, v66, s0
	v_add_co_u32 v68, vcc_lo, v45, v0
	v_cndmask_b32_e64 v67, v69, v67, s0
	v_add_co_ci_u32_e64 v69, null, 0, v46, vcc_lo
	global_load_dwordx2 v[66:67], v[66:67], off
	v_lshlrev_b64 v[68:69], 3, v[68:69]
	v_add_co_u32 v70, vcc_lo, s34, v68
	v_add_co_ci_u32_e64 v71, null, s35, v69, vcc_lo
	v_add_co_u32 v68, vcc_lo, s28, v68
	v_add_co_ci_u32_e64 v69, null, s29, v69, vcc_lo
	global_store_dwordx2 v[70:71], v[31:32], off offset:256
	s_waitcnt vmcnt(0)
	global_store_dwordx2 v[68:69], v[66:67], off offset:256
	s_or_b32 exec_lo, exec_lo, s94
	s_and_saveexec_b32 s94, s72
	s_cbranch_execz .LBB207_67
.LBB207_122:                            ;   in Loop: Header=BB207_21 Depth=1
	v_add_co_u32 v66, vcc_lo, v64, v63
	v_add_co_ci_u32_e64 v67, null, 0, v65, vcc_lo
	v_add_co_u32 v68, vcc_lo, v61, v17
	v_add_co_ci_u32_e64 v69, null, v62, v18, vcc_lo
	;; [unrolled: 2-line block ×4, first 2 shown]
	v_cndmask_b32_e64 v66, v68, v66, s0
	v_add_co_u32 v68, vcc_lo, v45, v0
	v_cndmask_b32_e64 v67, v69, v67, s0
	v_add_co_ci_u32_e64 v69, null, 0, v46, vcc_lo
	global_load_dwordx2 v[66:67], v[66:67], off
	v_lshlrev_b64 v[68:69], 3, v[68:69]
	v_add_co_u32 v70, vcc_lo, s34, v68
	v_add_co_ci_u32_e64 v71, null, s35, v69, vcc_lo
	v_add_co_u32 v68, vcc_lo, s28, v68
	v_add_co_ci_u32_e64 v69, null, s29, v69, vcc_lo
	global_store_dwordx2 v[70:71], v[33:34], off offset:512
	s_waitcnt vmcnt(0)
	global_store_dwordx2 v[68:69], v[66:67], off offset:512
	s_or_b32 exec_lo, exec_lo, s94
	s_and_saveexec_b32 s94, s73
	s_cbranch_execz .LBB207_68
.LBB207_123:                            ;   in Loop: Header=BB207_21 Depth=1
	v_add_co_u32 v66, vcc_lo, v64, v63
	v_add_co_ci_u32_e64 v67, null, 0, v65, vcc_lo
	v_add_co_u32 v68, vcc_lo, v61, v19
	v_add_co_ci_u32_e64 v69, null, v62, v20, vcc_lo
	;; [unrolled: 2-line block ×4, first 2 shown]
	v_cndmask_b32_e64 v66, v68, v66, s0
	v_add_co_u32 v68, vcc_lo, v45, v0
	v_cndmask_b32_e64 v67, v69, v67, s0
	v_add_co_ci_u32_e64 v69, null, 0, v46, vcc_lo
	global_load_dwordx2 v[66:67], v[66:67], off
	v_lshlrev_b64 v[68:69], 3, v[68:69]
	v_add_co_u32 v70, vcc_lo, s34, v68
	v_add_co_ci_u32_e64 v71, null, s35, v69, vcc_lo
	v_add_co_u32 v68, vcc_lo, s28, v68
	v_add_co_ci_u32_e64 v69, null, s29, v69, vcc_lo
	global_store_dwordx2 v[70:71], v[35:36], off offset:768
	s_waitcnt vmcnt(0)
	global_store_dwordx2 v[68:69], v[66:67], off offset:768
	s_or_b32 exec_lo, exec_lo, s94
	s_and_saveexec_b32 s94, s74
	s_cbranch_execz .LBB207_69
.LBB207_124:                            ;   in Loop: Header=BB207_21 Depth=1
	v_add_co_u32 v66, vcc_lo, v64, v63
	v_add_co_ci_u32_e64 v67, null, 0, v65, vcc_lo
	v_add_co_u32 v68, vcc_lo, v61, v21
	v_add_co_ci_u32_e64 v69, null, v62, v22, vcc_lo
	v_cndmask_b32_e64 v66, v68, v66, s0
	v_add_co_u32 v68, vcc_lo, v45, v0
	v_cndmask_b32_e64 v67, v69, v67, s0
	v_add_co_ci_u32_e64 v69, null, 0, v46, vcc_lo
	global_load_dwordx2 v[66:67], v[66:67], off offset:1024
	v_lshlrev_b64 v[68:69], 3, v[68:69]
	v_add_co_u32 v70, vcc_lo, s34, v68
	v_add_co_ci_u32_e64 v71, null, s35, v69, vcc_lo
	v_add_co_u32 v68, vcc_lo, s28, v68
	v_add_co_ci_u32_e64 v69, null, s29, v69, vcc_lo
	global_store_dwordx2 v[70:71], v[37:38], off offset:1024
	s_waitcnt vmcnt(0)
	global_store_dwordx2 v[68:69], v[66:67], off offset:1024
	s_or_b32 exec_lo, exec_lo, s94
	s_and_saveexec_b32 s94, s75
	s_cbranch_execz .LBB207_70
.LBB207_125:                            ;   in Loop: Header=BB207_21 Depth=1
	v_add_co_u32 v66, vcc_lo, v64, v63
	v_add_co_ci_u32_e64 v67, null, 0, v65, vcc_lo
	v_add_co_u32 v68, vcc_lo, v61, v23
	v_add_co_ci_u32_e64 v69, null, v62, v24, vcc_lo
	;; [unrolled: 2-line block ×4, first 2 shown]
	v_cndmask_b32_e64 v66, v68, v66, s0
	v_add_co_u32 v68, vcc_lo, v45, v0
	v_cndmask_b32_e64 v67, v69, v67, s0
	v_add_co_ci_u32_e64 v69, null, 0, v46, vcc_lo
	global_load_dwordx2 v[66:67], v[66:67], off
	v_lshlrev_b64 v[68:69], 3, v[68:69]
	v_add_co_u32 v70, vcc_lo, s34, v68
	v_add_co_ci_u32_e64 v71, null, s35, v69, vcc_lo
	v_add_co_u32 v68, vcc_lo, s28, v68
	v_add_co_ci_u32_e64 v69, null, s29, v69, vcc_lo
	global_store_dwordx2 v[70:71], v[39:40], off offset:1280
	s_waitcnt vmcnt(0)
	global_store_dwordx2 v[68:69], v[66:67], off offset:1280
	s_or_b32 exec_lo, exec_lo, s94
	s_and_saveexec_b32 s94, s76
	s_cbranch_execz .LBB207_71
.LBB207_126:                            ;   in Loop: Header=BB207_21 Depth=1
	v_add_co_u32 v66, vcc_lo, v64, v63
	v_add_co_ci_u32_e64 v67, null, 0, v65, vcc_lo
	v_add_co_u32 v68, vcc_lo, v61, v25
	v_add_co_ci_u32_e64 v69, null, v62, v26, vcc_lo
	;; [unrolled: 2-line block ×4, first 2 shown]
	v_cndmask_b32_e64 v66, v68, v66, s0
	v_add_co_u32 v68, vcc_lo, v45, v0
	v_cndmask_b32_e64 v67, v69, v67, s0
	v_add_co_ci_u32_e64 v69, null, 0, v46, vcc_lo
	global_load_dwordx2 v[66:67], v[66:67], off
	v_lshlrev_b64 v[68:69], 3, v[68:69]
	v_add_co_u32 v70, vcc_lo, s34, v68
	v_add_co_ci_u32_e64 v71, null, s35, v69, vcc_lo
	v_add_co_u32 v68, vcc_lo, s28, v68
	v_add_co_ci_u32_e64 v69, null, s29, v69, vcc_lo
	global_store_dwordx2 v[70:71], v[41:42], off offset:1536
	s_waitcnt vmcnt(0)
	global_store_dwordx2 v[68:69], v[66:67], off offset:1536
	s_or_b32 exec_lo, exec_lo, s94
	s_and_saveexec_b32 s94, s7
	s_cbranch_execnz .LBB207_72
	s_branch .LBB207_73
.LBB207_127:                            ;   in Loop: Header=BB207_21 Depth=1
	v_add_co_u32 v66, vcc_lo, v61, v13
	v_add_co_ci_u32_e64 v67, null, v62, v14, vcc_lo
	v_add_co_u32 v68, vcc_lo, v64, v63
	v_add_co_ci_u32_e64 v69, null, 0, v65, vcc_lo
	;; [unrolled: 2-line block ×3, first 2 shown]
	v_cndmask_b32_e64 v66, v66, v68, s0
	v_add_co_u32 v68, vcc_lo, v45, v0
	v_cndmask_b32_e64 v67, v67, v69, s0
	v_add_co_ci_u32_e64 v69, null, 0, v46, vcc_lo
	global_load_dwordx2 v[66:67], v[66:67], off
	v_lshlrev_b64 v[68:69], 3, v[68:69]
	v_add_co_u32 v70, vcc_lo, s34, v68
	v_add_co_ci_u32_e64 v71, null, s35, v69, vcc_lo
	v_add_co_u32 v68, vcc_lo, s28, v68
	v_add_co_ci_u32_e64 v69, null, s29, v69, vcc_lo
	global_store_dwordx2 v[70:71], v[29:30], off
	s_waitcnt vmcnt(0)
	global_store_dwordx2 v[68:69], v[66:67], off
	s_or_b32 exec_lo, exec_lo, s94
	s_and_saveexec_b32 s94, s78
	s_cbranch_execz .LBB207_75
.LBB207_128:                            ;   in Loop: Header=BB207_21 Depth=1
	v_add_co_u32 v66, vcc_lo, v64, v63
	v_add_co_ci_u32_e64 v67, null, 0, v65, vcc_lo
	v_add_co_u32 v68, vcc_lo, v61, v15
	v_add_co_ci_u32_e64 v69, null, v62, v16, vcc_lo
	;; [unrolled: 2-line block ×4, first 2 shown]
	v_cndmask_b32_e64 v66, v68, v66, s0
	v_add_co_u32 v68, vcc_lo, v45, v0
	v_cndmask_b32_e64 v67, v69, v67, s0
	v_add_co_ci_u32_e64 v69, null, 0, v46, vcc_lo
	global_load_dwordx2 v[66:67], v[66:67], off
	v_lshlrev_b64 v[68:69], 3, v[68:69]
	v_add_co_u32 v70, vcc_lo, s34, v68
	v_add_co_ci_u32_e64 v71, null, s35, v69, vcc_lo
	v_add_co_u32 v68, vcc_lo, s28, v68
	v_add_co_ci_u32_e64 v69, null, s29, v69, vcc_lo
	global_store_dwordx2 v[70:71], v[31:32], off offset:256
	s_waitcnt vmcnt(0)
	global_store_dwordx2 v[68:69], v[66:67], off offset:256
	s_or_b32 exec_lo, exec_lo, s94
	s_and_saveexec_b32 s94, s79
	s_cbranch_execz .LBB207_76
.LBB207_129:                            ;   in Loop: Header=BB207_21 Depth=1
	v_add_co_u32 v66, vcc_lo, v64, v63
	v_add_co_ci_u32_e64 v67, null, 0, v65, vcc_lo
	v_add_co_u32 v68, vcc_lo, v61, v17
	v_add_co_ci_u32_e64 v69, null, v62, v18, vcc_lo
	;; [unrolled: 2-line block ×4, first 2 shown]
	v_cndmask_b32_e64 v66, v68, v66, s0
	v_add_co_u32 v68, vcc_lo, v45, v0
	v_cndmask_b32_e64 v67, v69, v67, s0
	v_add_co_ci_u32_e64 v69, null, 0, v46, vcc_lo
	global_load_dwordx2 v[66:67], v[66:67], off
	v_lshlrev_b64 v[68:69], 3, v[68:69]
	v_add_co_u32 v70, vcc_lo, s34, v68
	v_add_co_ci_u32_e64 v71, null, s35, v69, vcc_lo
	v_add_co_u32 v68, vcc_lo, s28, v68
	v_add_co_ci_u32_e64 v69, null, s29, v69, vcc_lo
	global_store_dwordx2 v[70:71], v[33:34], off offset:512
	s_waitcnt vmcnt(0)
	global_store_dwordx2 v[68:69], v[66:67], off offset:512
	s_or_b32 exec_lo, exec_lo, s94
	s_and_saveexec_b32 s94, s80
	s_cbranch_execz .LBB207_77
.LBB207_130:                            ;   in Loop: Header=BB207_21 Depth=1
	v_add_co_u32 v66, vcc_lo, v64, v63
	v_add_co_ci_u32_e64 v67, null, 0, v65, vcc_lo
	v_add_co_u32 v68, vcc_lo, v61, v19
	v_add_co_ci_u32_e64 v69, null, v62, v20, vcc_lo
	;; [unrolled: 2-line block ×4, first 2 shown]
	v_cndmask_b32_e64 v66, v68, v66, s0
	v_add_co_u32 v68, vcc_lo, v45, v0
	v_cndmask_b32_e64 v67, v69, v67, s0
	v_add_co_ci_u32_e64 v69, null, 0, v46, vcc_lo
	global_load_dwordx2 v[66:67], v[66:67], off
	v_lshlrev_b64 v[68:69], 3, v[68:69]
	v_add_co_u32 v70, vcc_lo, s34, v68
	v_add_co_ci_u32_e64 v71, null, s35, v69, vcc_lo
	v_add_co_u32 v68, vcc_lo, s28, v68
	v_add_co_ci_u32_e64 v69, null, s29, v69, vcc_lo
	global_store_dwordx2 v[70:71], v[35:36], off offset:768
	s_waitcnt vmcnt(0)
	global_store_dwordx2 v[68:69], v[66:67], off offset:768
	s_or_b32 exec_lo, exec_lo, s94
	s_and_saveexec_b32 s94, s81
	s_cbranch_execz .LBB207_78
.LBB207_131:                            ;   in Loop: Header=BB207_21 Depth=1
	v_add_co_u32 v66, vcc_lo, v64, v63
	v_add_co_ci_u32_e64 v67, null, 0, v65, vcc_lo
	v_add_co_u32 v68, vcc_lo, v61, v21
	v_add_co_ci_u32_e64 v69, null, v62, v22, vcc_lo
	;; [unrolled: 2-line block ×4, first 2 shown]
	v_cndmask_b32_e64 v66, v68, v66, s0
	v_add_co_u32 v68, vcc_lo, v45, v0
	v_cndmask_b32_e64 v67, v69, v67, s0
	v_add_co_ci_u32_e64 v69, null, 0, v46, vcc_lo
	global_load_dwordx2 v[66:67], v[66:67], off
	v_lshlrev_b64 v[68:69], 3, v[68:69]
	v_add_co_u32 v70, vcc_lo, s34, v68
	v_add_co_ci_u32_e64 v71, null, s35, v69, vcc_lo
	v_add_co_u32 v68, vcc_lo, s28, v68
	v_add_co_ci_u32_e64 v69, null, s29, v69, vcc_lo
	global_store_dwordx2 v[70:71], v[37:38], off offset:1024
	s_waitcnt vmcnt(0)
	global_store_dwordx2 v[68:69], v[66:67], off offset:1024
	s_or_b32 exec_lo, exec_lo, s94
	s_and_saveexec_b32 s94, s82
	s_cbranch_execz .LBB207_79
.LBB207_132:                            ;   in Loop: Header=BB207_21 Depth=1
	v_add_co_u32 v66, vcc_lo, v64, v63
	v_add_co_ci_u32_e64 v67, null, 0, v65, vcc_lo
	v_add_co_u32 v68, vcc_lo, v61, v23
	v_add_co_ci_u32_e64 v69, null, v62, v24, vcc_lo
	v_cndmask_b32_e64 v66, v68, v66, s0
	v_add_co_u32 v68, vcc_lo, v45, v0
	v_cndmask_b32_e64 v67, v69, v67, s0
	v_add_co_ci_u32_e64 v69, null, 0, v46, vcc_lo
	global_load_dwordx2 v[66:67], v[66:67], off offset:1280
	v_lshlrev_b64 v[68:69], 3, v[68:69]
	v_add_co_u32 v70, vcc_lo, s34, v68
	v_add_co_ci_u32_e64 v71, null, s35, v69, vcc_lo
	v_add_co_u32 v68, vcc_lo, s28, v68
	v_add_co_ci_u32_e64 v69, null, s29, v69, vcc_lo
	global_store_dwordx2 v[70:71], v[39:40], off offset:1280
	s_waitcnt vmcnt(0)
	global_store_dwordx2 v[68:69], v[66:67], off offset:1280
	s_or_b32 exec_lo, exec_lo, s94
	s_and_saveexec_b32 s94, s83
	s_cbranch_execz .LBB207_80
.LBB207_133:                            ;   in Loop: Header=BB207_21 Depth=1
	v_add_co_u32 v66, vcc_lo, v64, v63
	v_add_co_ci_u32_e64 v67, null, 0, v65, vcc_lo
	v_add_co_u32 v68, vcc_lo, v61, v25
	v_add_co_ci_u32_e64 v69, null, v62, v26, vcc_lo
	;; [unrolled: 2-line block ×4, first 2 shown]
	v_cndmask_b32_e64 v66, v68, v66, s0
	v_add_co_u32 v68, vcc_lo, v45, v0
	v_cndmask_b32_e64 v67, v69, v67, s0
	v_add_co_ci_u32_e64 v69, null, 0, v46, vcc_lo
	global_load_dwordx2 v[66:67], v[66:67], off
	v_lshlrev_b64 v[68:69], 3, v[68:69]
	v_add_co_u32 v70, vcc_lo, s34, v68
	v_add_co_ci_u32_e64 v71, null, s35, v69, vcc_lo
	v_add_co_u32 v68, vcc_lo, s28, v68
	v_add_co_ci_u32_e64 v69, null, s29, v69, vcc_lo
	global_store_dwordx2 v[70:71], v[41:42], off offset:1536
	s_waitcnt vmcnt(0)
	global_store_dwordx2 v[68:69], v[66:67], off offset:1536
	s_or_b32 exec_lo, exec_lo, s94
	s_and_saveexec_b32 s94, s8
	s_cbranch_execnz .LBB207_81
	s_branch .LBB207_82
.LBB207_134:                            ;   in Loop: Header=BB207_21 Depth=1
	v_add_co_u32 v66, vcc_lo, v61, v13
	v_add_co_ci_u32_e64 v67, null, v62, v14, vcc_lo
	v_add_co_u32 v68, vcc_lo, v64, v63
	v_add_co_ci_u32_e64 v69, null, 0, v65, vcc_lo
	;; [unrolled: 2-line block ×3, first 2 shown]
	v_cndmask_b32_e64 v66, v66, v68, s0
	v_add_co_u32 v68, vcc_lo, v45, v0
	v_cndmask_b32_e64 v67, v67, v69, s0
	v_add_co_ci_u32_e64 v69, null, 0, v46, vcc_lo
	global_load_dwordx2 v[66:67], v[66:67], off
	v_lshlrev_b64 v[68:69], 3, v[68:69]
	v_add_co_u32 v70, vcc_lo, s34, v68
	v_add_co_ci_u32_e64 v71, null, s35, v69, vcc_lo
	v_add_co_u32 v68, vcc_lo, s28, v68
	v_add_co_ci_u32_e64 v69, null, s29, v69, vcc_lo
	global_store_dwordx2 v[70:71], v[29:30], off
	s_waitcnt vmcnt(0)
	global_store_dwordx2 v[68:69], v[66:67], off
	s_or_b32 exec_lo, exec_lo, s94
	s_and_saveexec_b32 s94, s85
	s_cbranch_execz .LBB207_84
.LBB207_135:                            ;   in Loop: Header=BB207_21 Depth=1
	v_add_co_u32 v66, vcc_lo, v64, v63
	v_add_co_ci_u32_e64 v67, null, 0, v65, vcc_lo
	v_add_co_u32 v68, vcc_lo, v61, v15
	v_add_co_ci_u32_e64 v69, null, v62, v16, vcc_lo
	;; [unrolled: 2-line block ×4, first 2 shown]
	v_cndmask_b32_e64 v66, v68, v66, s0
	v_add_co_u32 v68, vcc_lo, v45, v0
	v_cndmask_b32_e64 v67, v69, v67, s0
	v_add_co_ci_u32_e64 v69, null, 0, v46, vcc_lo
	global_load_dwordx2 v[66:67], v[66:67], off
	v_lshlrev_b64 v[68:69], 3, v[68:69]
	v_add_co_u32 v70, vcc_lo, s34, v68
	v_add_co_ci_u32_e64 v71, null, s35, v69, vcc_lo
	v_add_co_u32 v68, vcc_lo, s28, v68
	v_add_co_ci_u32_e64 v69, null, s29, v69, vcc_lo
	global_store_dwordx2 v[70:71], v[31:32], off offset:256
	s_waitcnt vmcnt(0)
	global_store_dwordx2 v[68:69], v[66:67], off offset:256
	s_or_b32 exec_lo, exec_lo, s94
	s_and_saveexec_b32 s94, s86
	s_cbranch_execz .LBB207_85
.LBB207_136:                            ;   in Loop: Header=BB207_21 Depth=1
	v_add_co_u32 v66, vcc_lo, v64, v63
	v_add_co_ci_u32_e64 v67, null, 0, v65, vcc_lo
	v_add_co_u32 v68, vcc_lo, v61, v17
	v_add_co_ci_u32_e64 v69, null, v62, v18, vcc_lo
	;; [unrolled: 2-line block ×4, first 2 shown]
	v_cndmask_b32_e64 v66, v68, v66, s0
	v_add_co_u32 v68, vcc_lo, v45, v0
	v_cndmask_b32_e64 v67, v69, v67, s0
	v_add_co_ci_u32_e64 v69, null, 0, v46, vcc_lo
	global_load_dwordx2 v[66:67], v[66:67], off
	v_lshlrev_b64 v[68:69], 3, v[68:69]
	v_add_co_u32 v70, vcc_lo, s34, v68
	v_add_co_ci_u32_e64 v71, null, s35, v69, vcc_lo
	v_add_co_u32 v68, vcc_lo, s28, v68
	v_add_co_ci_u32_e64 v69, null, s29, v69, vcc_lo
	global_store_dwordx2 v[70:71], v[33:34], off offset:512
	s_waitcnt vmcnt(0)
	global_store_dwordx2 v[68:69], v[66:67], off offset:512
	s_or_b32 exec_lo, exec_lo, s94
	s_and_saveexec_b32 s94, s87
	s_cbranch_execz .LBB207_86
.LBB207_137:                            ;   in Loop: Header=BB207_21 Depth=1
	v_add_co_u32 v66, vcc_lo, v64, v63
	v_add_co_ci_u32_e64 v67, null, 0, v65, vcc_lo
	v_add_co_u32 v68, vcc_lo, v61, v19
	v_add_co_ci_u32_e64 v69, null, v62, v20, vcc_lo
	;; [unrolled: 2-line block ×4, first 2 shown]
	v_cndmask_b32_e64 v66, v68, v66, s0
	v_add_co_u32 v68, vcc_lo, v45, v0
	v_cndmask_b32_e64 v67, v69, v67, s0
	v_add_co_ci_u32_e64 v69, null, 0, v46, vcc_lo
	global_load_dwordx2 v[66:67], v[66:67], off
	v_lshlrev_b64 v[68:69], 3, v[68:69]
	v_add_co_u32 v70, vcc_lo, s34, v68
	v_add_co_ci_u32_e64 v71, null, s35, v69, vcc_lo
	v_add_co_u32 v68, vcc_lo, s28, v68
	v_add_co_ci_u32_e64 v69, null, s29, v69, vcc_lo
	global_store_dwordx2 v[70:71], v[35:36], off offset:768
	s_waitcnt vmcnt(0)
	global_store_dwordx2 v[68:69], v[66:67], off offset:768
	s_or_b32 exec_lo, exec_lo, s94
	s_and_saveexec_b32 s94, s88
	s_cbranch_execz .LBB207_87
.LBB207_138:                            ;   in Loop: Header=BB207_21 Depth=1
	v_add_co_u32 v66, vcc_lo, v64, v63
	v_add_co_ci_u32_e64 v67, null, 0, v65, vcc_lo
	v_add_co_u32 v68, vcc_lo, v61, v21
	v_add_co_ci_u32_e64 v69, null, v62, v22, vcc_lo
	;; [unrolled: 2-line block ×4, first 2 shown]
	v_cndmask_b32_e64 v66, v68, v66, s0
	v_add_co_u32 v68, vcc_lo, v45, v0
	v_cndmask_b32_e64 v67, v69, v67, s0
	v_add_co_ci_u32_e64 v69, null, 0, v46, vcc_lo
	global_load_dwordx2 v[66:67], v[66:67], off
	v_lshlrev_b64 v[68:69], 3, v[68:69]
	v_add_co_u32 v70, vcc_lo, s34, v68
	v_add_co_ci_u32_e64 v71, null, s35, v69, vcc_lo
	v_add_co_u32 v68, vcc_lo, s28, v68
	v_add_co_ci_u32_e64 v69, null, s29, v69, vcc_lo
	global_store_dwordx2 v[70:71], v[37:38], off offset:1024
	s_waitcnt vmcnt(0)
	global_store_dwordx2 v[68:69], v[66:67], off offset:1024
	s_or_b32 exec_lo, exec_lo, s94
	s_and_saveexec_b32 s94, s89
	s_cbranch_execz .LBB207_88
.LBB207_139:                            ;   in Loop: Header=BB207_21 Depth=1
	v_add_co_u32 v66, vcc_lo, v64, v63
	v_add_co_ci_u32_e64 v67, null, 0, v65, vcc_lo
	v_add_co_u32 v68, vcc_lo, v61, v23
	v_add_co_ci_u32_e64 v69, null, v62, v24, vcc_lo
	;; [unrolled: 2-line block ×4, first 2 shown]
	v_cndmask_b32_e64 v66, v68, v66, s0
	v_add_co_u32 v68, vcc_lo, v45, v0
	v_cndmask_b32_e64 v67, v69, v67, s0
	v_add_co_ci_u32_e64 v69, null, 0, v46, vcc_lo
	global_load_dwordx2 v[66:67], v[66:67], off
	v_lshlrev_b64 v[68:69], 3, v[68:69]
	v_add_co_u32 v70, vcc_lo, s34, v68
	v_add_co_ci_u32_e64 v71, null, s35, v69, vcc_lo
	v_add_co_u32 v68, vcc_lo, s28, v68
	v_add_co_ci_u32_e64 v69, null, s29, v69, vcc_lo
	global_store_dwordx2 v[70:71], v[39:40], off offset:1280
	s_waitcnt vmcnt(0)
	global_store_dwordx2 v[68:69], v[66:67], off offset:1280
	s_or_b32 exec_lo, exec_lo, s94
	s_and_saveexec_b32 s94, s90
	s_cbranch_execz .LBB207_89
.LBB207_140:                            ;   in Loop: Header=BB207_21 Depth=1
	v_add_co_u32 v66, vcc_lo, v64, v63
	v_add_co_ci_u32_e64 v67, null, 0, v65, vcc_lo
	v_add_co_u32 v68, vcc_lo, v61, v25
	v_add_co_ci_u32_e64 v69, null, v62, v26, vcc_lo
	v_cndmask_b32_e64 v66, v68, v66, s0
	v_add_co_u32 v68, vcc_lo, v45, v0
	v_cndmask_b32_e64 v67, v69, v67, s0
	v_add_co_ci_u32_e64 v69, null, 0, v46, vcc_lo
	global_load_dwordx2 v[66:67], v[66:67], off offset:1536
	v_lshlrev_b64 v[68:69], 3, v[68:69]
	v_add_co_u32 v70, vcc_lo, s34, v68
	v_add_co_ci_u32_e64 v71, null, s35, v69, vcc_lo
	v_add_co_u32 v68, vcc_lo, s28, v68
	v_add_co_ci_u32_e64 v69, null, s29, v69, vcc_lo
	global_store_dwordx2 v[70:71], v[41:42], off offset:1536
	s_waitcnt vmcnt(0)
	global_store_dwordx2 v[68:69], v[66:67], off offset:1536
	s_or_b32 exec_lo, exec_lo, s94
	s_and_saveexec_b32 s94, s10
	s_cbranch_execnz .LBB207_90
	s_branch .LBB207_91
.LBB207_141:                            ;   in Loop: Header=BB207_21 Depth=1
	v_add_co_u32 v66, vcc_lo, v61, v13
	v_add_co_ci_u32_e64 v67, null, v62, v14, vcc_lo
	v_add_co_u32 v68, vcc_lo, v64, v63
	v_add_co_ci_u32_e64 v69, null, 0, v65, vcc_lo
	v_add_co_u32 v66, vcc_lo, 0x700, v66
	v_add_co_ci_u32_e64 v67, null, 0, v67, vcc_lo
	v_cndmask_b32_e64 v66, v66, v68, s0
	v_add_co_u32 v68, vcc_lo, v45, v0
	v_cndmask_b32_e64 v67, v67, v69, s0
	v_add_co_ci_u32_e64 v69, null, 0, v46, vcc_lo
	global_load_dwordx2 v[66:67], v[66:67], off
	v_lshlrev_b64 v[68:69], 3, v[68:69]
	v_add_co_u32 v70, vcc_lo, s34, v68
	v_add_co_ci_u32_e64 v71, null, s35, v69, vcc_lo
	v_add_co_u32 v68, vcc_lo, s28, v68
	v_add_co_ci_u32_e64 v69, null, s29, v69, vcc_lo
	global_store_dwordx2 v[70:71], v[29:30], off
	s_waitcnt vmcnt(0)
	global_store_dwordx2 v[68:69], v[66:67], off
	s_or_b32 exec_lo, exec_lo, s4
	s_and_saveexec_b32 s4, s91
	s_cbranch_execz .LBB207_93
.LBB207_142:                            ;   in Loop: Header=BB207_21 Depth=1
	v_add_co_u32 v29, vcc_lo, v64, v63
	v_add_co_ci_u32_e64 v30, null, 0, v65, vcc_lo
	v_add_co_u32 v66, vcc_lo, v61, v15
	v_add_co_ci_u32_e64 v67, null, v62, v16, vcc_lo
	;; [unrolled: 2-line block ×4, first 2 shown]
	v_cndmask_b32_e64 v29, v66, v29, s0
	v_add_co_u32 v66, vcc_lo, v45, v0
	v_cndmask_b32_e64 v30, v67, v30, s0
	v_add_co_ci_u32_e64 v67, null, 0, v46, vcc_lo
	global_load_dwordx2 v[29:30], v[29:30], off
	v_lshlrev_b64 v[66:67], 3, v[66:67]
	v_add_co_u32 v68, vcc_lo, s34, v66
	v_add_co_ci_u32_e64 v69, null, s35, v67, vcc_lo
	v_add_co_u32 v66, vcc_lo, s28, v66
	v_add_co_ci_u32_e64 v67, null, s29, v67, vcc_lo
	global_store_dwordx2 v[68:69], v[31:32], off offset:256
	s_waitcnt vmcnt(0)
	global_store_dwordx2 v[66:67], v[29:30], off offset:256
	s_or_b32 exec_lo, exec_lo, s4
	s_and_saveexec_b32 s4, s92
	s_cbranch_execz .LBB207_94
.LBB207_143:                            ;   in Loop: Header=BB207_21 Depth=1
	v_add_co_u32 v29, vcc_lo, v64, v63
	v_add_co_ci_u32_e64 v30, null, 0, v65, vcc_lo
	v_add_co_u32 v31, vcc_lo, v61, v17
	v_add_co_ci_u32_e64 v32, null, v62, v18, vcc_lo
	;; [unrolled: 2-line block ×4, first 2 shown]
	v_cndmask_b32_e64 v29, v31, v29, s0
	v_add_co_u32 v31, vcc_lo, v45, v0
	v_cndmask_b32_e64 v30, v32, v30, s0
	v_add_co_ci_u32_e64 v32, null, 0, v46, vcc_lo
	global_load_dwordx2 v[29:30], v[29:30], off
	v_lshlrev_b64 v[31:32], 3, v[31:32]
	v_add_co_u32 v66, vcc_lo, s34, v31
	v_add_co_ci_u32_e64 v67, null, s35, v32, vcc_lo
	v_add_co_u32 v31, vcc_lo, s28, v31
	v_add_co_ci_u32_e64 v32, null, s29, v32, vcc_lo
	global_store_dwordx2 v[66:67], v[33:34], off offset:512
	s_waitcnt vmcnt(0)
	global_store_dwordx2 v[31:32], v[29:30], off offset:512
	s_or_b32 exec_lo, exec_lo, s4
	s_and_saveexec_b32 s4, s11
	s_cbranch_execz .LBB207_95
.LBB207_144:                            ;   in Loop: Header=BB207_21 Depth=1
	v_add_co_u32 v29, vcc_lo, v64, v63
	v_add_co_ci_u32_e64 v30, null, 0, v65, vcc_lo
	v_add_co_u32 v31, vcc_lo, v61, v19
	v_add_co_ci_u32_e64 v32, null, v62, v20, vcc_lo
	;; [unrolled: 2-line block ×4, first 2 shown]
	v_cndmask_b32_e64 v29, v31, v29, s0
	v_add_co_u32 v31, vcc_lo, v45, v0
	v_cndmask_b32_e64 v30, v32, v30, s0
	v_add_co_ci_u32_e64 v32, null, 0, v46, vcc_lo
	global_load_dwordx2 v[29:30], v[29:30], off
	v_lshlrev_b64 v[31:32], 3, v[31:32]
	v_add_co_u32 v33, vcc_lo, s34, v31
	v_add_co_ci_u32_e64 v34, null, s35, v32, vcc_lo
	v_add_co_u32 v31, vcc_lo, s28, v31
	v_add_co_ci_u32_e64 v32, null, s29, v32, vcc_lo
	global_store_dwordx2 v[33:34], v[35:36], off offset:768
	s_waitcnt vmcnt(0)
	global_store_dwordx2 v[31:32], v[29:30], off offset:768
	s_or_b32 exec_lo, exec_lo, s4
	s_and_saveexec_b32 s4, s12
	s_cbranch_execz .LBB207_96
.LBB207_145:                            ;   in Loop: Header=BB207_21 Depth=1
	v_add_co_u32 v29, vcc_lo, v64, v63
	v_add_co_ci_u32_e64 v30, null, 0, v65, vcc_lo
	v_add_co_u32 v31, vcc_lo, v61, v21
	v_add_co_ci_u32_e64 v32, null, v62, v22, vcc_lo
	;; [unrolled: 2-line block ×4, first 2 shown]
	v_cndmask_b32_e64 v29, v31, v29, s0
	v_add_co_u32 v31, vcc_lo, v45, v0
	v_cndmask_b32_e64 v30, v32, v30, s0
	v_add_co_ci_u32_e64 v32, null, 0, v46, vcc_lo
	global_load_dwordx2 v[29:30], v[29:30], off
	v_lshlrev_b64 v[31:32], 3, v[31:32]
	v_add_co_u32 v33, vcc_lo, s34, v31
	v_add_co_ci_u32_e64 v34, null, s35, v32, vcc_lo
	v_add_co_u32 v31, vcc_lo, s28, v31
	v_add_co_ci_u32_e64 v32, null, s29, v32, vcc_lo
	global_store_dwordx2 v[33:34], v[37:38], off offset:1024
	s_waitcnt vmcnt(0)
	global_store_dwordx2 v[31:32], v[29:30], off offset:1024
	s_or_b32 exec_lo, exec_lo, s4
	s_and_saveexec_b32 s4, s13
	s_cbranch_execz .LBB207_97
.LBB207_146:                            ;   in Loop: Header=BB207_21 Depth=1
	v_add_co_u32 v29, vcc_lo, v64, v63
	v_add_co_ci_u32_e64 v30, null, 0, v65, vcc_lo
	v_add_co_u32 v31, vcc_lo, v61, v23
	v_add_co_ci_u32_e64 v32, null, v62, v24, vcc_lo
	;; [unrolled: 2-line block ×4, first 2 shown]
	v_cndmask_b32_e64 v29, v31, v29, s0
	v_add_co_u32 v31, vcc_lo, v45, v0
	v_cndmask_b32_e64 v30, v32, v30, s0
	v_add_co_ci_u32_e64 v32, null, 0, v46, vcc_lo
	global_load_dwordx2 v[29:30], v[29:30], off
	v_lshlrev_b64 v[31:32], 3, v[31:32]
	v_add_co_u32 v33, vcc_lo, s34, v31
	v_add_co_ci_u32_e64 v34, null, s35, v32, vcc_lo
	v_add_co_u32 v31, vcc_lo, s28, v31
	v_add_co_ci_u32_e64 v32, null, s29, v32, vcc_lo
	global_store_dwordx2 v[33:34], v[39:40], off offset:1280
	s_waitcnt vmcnt(0)
	global_store_dwordx2 v[31:32], v[29:30], off offset:1280
	s_or_b32 exec_lo, exec_lo, s4
	s_and_saveexec_b32 s4, s14
	s_cbranch_execz .LBB207_98
.LBB207_147:                            ;   in Loop: Header=BB207_21 Depth=1
	v_add_co_u32 v29, vcc_lo, v64, v63
	v_add_co_ci_u32_e64 v30, null, 0, v65, vcc_lo
	v_add_co_u32 v31, vcc_lo, v61, v25
	v_add_co_ci_u32_e64 v32, null, v62, v26, vcc_lo
	;; [unrolled: 2-line block ×4, first 2 shown]
	v_cndmask_b32_e64 v29, v31, v29, s0
	v_add_co_u32 v31, vcc_lo, v45, v0
	v_cndmask_b32_e64 v30, v32, v30, s0
	v_add_co_ci_u32_e64 v32, null, 0, v46, vcc_lo
	global_load_dwordx2 v[29:30], v[29:30], off
	v_lshlrev_b64 v[31:32], 3, v[31:32]
	v_add_co_u32 v33, vcc_lo, s34, v31
	v_add_co_ci_u32_e64 v34, null, s35, v32, vcc_lo
	v_add_co_u32 v31, vcc_lo, s28, v31
	v_add_co_ci_u32_e64 v32, null, s29, v32, vcc_lo
	global_store_dwordx2 v[33:34], v[41:42], off offset:1536
	s_waitcnt vmcnt(0)
	global_store_dwordx2 v[31:32], v[29:30], off offset:1536
	s_or_b32 exec_lo, exec_lo, s4
	s_and_saveexec_b32 s4, s9
	s_cbranch_execz .LBB207_20
.LBB207_148:                            ;   in Loop: Header=BB207_21 Depth=1
	v_add_co_u32 v29, vcc_lo, v64, v63
	v_add_co_ci_u32_e64 v30, null, 0, v65, vcc_lo
	v_add_co_u32 v31, vcc_lo, v61, v27
	v_add_co_ci_u32_e64 v32, null, v62, v28, vcc_lo
	v_cndmask_b32_e64 v29, v31, v29, s0
	v_add_co_u32 v31, vcc_lo, v45, v0
	v_cndmask_b32_e64 v30, v32, v30, s0
	v_add_co_ci_u32_e64 v32, null, 0, v46, vcc_lo
	global_load_dwordx2 v[29:30], v[29:30], off offset:1792
	v_lshlrev_b64 v[31:32], 3, v[31:32]
	v_add_co_u32 v33, vcc_lo, s34, v31
	v_add_co_ci_u32_e64 v34, null, s35, v32, vcc_lo
	v_add_co_u32 v31, vcc_lo, s28, v31
	v_add_co_ci_u32_e64 v32, null, s29, v32, vcc_lo
	global_store_dwordx2 v[33:34], v[43:44], off offset:1792
	s_waitcnt vmcnt(0)
	global_store_dwordx2 v[31:32], v[29:30], off offset:1792
	s_branch .LBB207_20
.LBB207_149:
	s_endpgm
	.section	.rodata,"a",@progbits
	.p2align	6, 0x0
	.amdhsa_kernel _ZN9rocsparseL35bsr2csr_block_per_row_33_256_kernelILj1024ELj256ELj32E21rocsparse_complex_numIfEllEEv20rocsparse_direction_T4_S4_21rocsparse_index_base_PKT2_PKT3_PKS4_S4_S5_PS6_PS9_PS4_
		.amdhsa_group_segment_fixed_size 0
		.amdhsa_private_segment_fixed_size 0
		.amdhsa_kernarg_size 96
		.amdhsa_user_sgpr_count 6
		.amdhsa_user_sgpr_private_segment_buffer 1
		.amdhsa_user_sgpr_dispatch_ptr 0
		.amdhsa_user_sgpr_queue_ptr 0
		.amdhsa_user_sgpr_kernarg_segment_ptr 1
		.amdhsa_user_sgpr_dispatch_id 0
		.amdhsa_user_sgpr_flat_scratch_init 0
		.amdhsa_user_sgpr_private_segment_size 0
		.amdhsa_wavefront_size32 1
		.amdhsa_uses_dynamic_stack 0
		.amdhsa_system_sgpr_private_segment_wavefront_offset 0
		.amdhsa_system_sgpr_workgroup_id_x 1
		.amdhsa_system_sgpr_workgroup_id_y 0
		.amdhsa_system_sgpr_workgroup_id_z 0
		.amdhsa_system_sgpr_workgroup_info 0
		.amdhsa_system_vgpr_workitem_id 0
		.amdhsa_next_free_vgpr 72
		.amdhsa_next_free_sgpr 100
		.amdhsa_reserve_vcc 1
		.amdhsa_reserve_flat_scratch 0
		.amdhsa_float_round_mode_32 0
		.amdhsa_float_round_mode_16_64 0
		.amdhsa_float_denorm_mode_32 3
		.amdhsa_float_denorm_mode_16_64 3
		.amdhsa_dx10_clamp 1
		.amdhsa_ieee_mode 1
		.amdhsa_fp16_overflow 0
		.amdhsa_workgroup_processor_mode 1
		.amdhsa_memory_ordered 1
		.amdhsa_forward_progress 1
		.amdhsa_shared_vgpr_count 0
		.amdhsa_exception_fp_ieee_invalid_op 0
		.amdhsa_exception_fp_denorm_src 0
		.amdhsa_exception_fp_ieee_div_zero 0
		.amdhsa_exception_fp_ieee_overflow 0
		.amdhsa_exception_fp_ieee_underflow 0
		.amdhsa_exception_fp_ieee_inexact 0
		.amdhsa_exception_int_div_zero 0
	.end_amdhsa_kernel
	.section	.text._ZN9rocsparseL35bsr2csr_block_per_row_33_256_kernelILj1024ELj256ELj32E21rocsparse_complex_numIfEllEEv20rocsparse_direction_T4_S4_21rocsparse_index_base_PKT2_PKT3_PKS4_S4_S5_PS6_PS9_PS4_,"axG",@progbits,_ZN9rocsparseL35bsr2csr_block_per_row_33_256_kernelILj1024ELj256ELj32E21rocsparse_complex_numIfEllEEv20rocsparse_direction_T4_S4_21rocsparse_index_base_PKT2_PKT3_PKS4_S4_S5_PS6_PS9_PS4_,comdat
.Lfunc_end207:
	.size	_ZN9rocsparseL35bsr2csr_block_per_row_33_256_kernelILj1024ELj256ELj32E21rocsparse_complex_numIfEllEEv20rocsparse_direction_T4_S4_21rocsparse_index_base_PKT2_PKT3_PKS4_S4_S5_PS6_PS9_PS4_, .Lfunc_end207-_ZN9rocsparseL35bsr2csr_block_per_row_33_256_kernelILj1024ELj256ELj32E21rocsparse_complex_numIfEllEEv20rocsparse_direction_T4_S4_21rocsparse_index_base_PKT2_PKT3_PKS4_S4_S5_PS6_PS9_PS4_
                                        ; -- End function
	.set _ZN9rocsparseL35bsr2csr_block_per_row_33_256_kernelILj1024ELj256ELj32E21rocsparse_complex_numIfEllEEv20rocsparse_direction_T4_S4_21rocsparse_index_base_PKT2_PKT3_PKS4_S4_S5_PS6_PS9_PS4_.num_vgpr, 72
	.set _ZN9rocsparseL35bsr2csr_block_per_row_33_256_kernelILj1024ELj256ELj32E21rocsparse_complex_numIfEllEEv20rocsparse_direction_T4_S4_21rocsparse_index_base_PKT2_PKT3_PKS4_S4_S5_PS6_PS9_PS4_.num_agpr, 0
	.set _ZN9rocsparseL35bsr2csr_block_per_row_33_256_kernelILj1024ELj256ELj32E21rocsparse_complex_numIfEllEEv20rocsparse_direction_T4_S4_21rocsparse_index_base_PKT2_PKT3_PKS4_S4_S5_PS6_PS9_PS4_.numbered_sgpr, 100
	.set _ZN9rocsparseL35bsr2csr_block_per_row_33_256_kernelILj1024ELj256ELj32E21rocsparse_complex_numIfEllEEv20rocsparse_direction_T4_S4_21rocsparse_index_base_PKT2_PKT3_PKS4_S4_S5_PS6_PS9_PS4_.num_named_barrier, 0
	.set _ZN9rocsparseL35bsr2csr_block_per_row_33_256_kernelILj1024ELj256ELj32E21rocsparse_complex_numIfEllEEv20rocsparse_direction_T4_S4_21rocsparse_index_base_PKT2_PKT3_PKS4_S4_S5_PS6_PS9_PS4_.private_seg_size, 0
	.set _ZN9rocsparseL35bsr2csr_block_per_row_33_256_kernelILj1024ELj256ELj32E21rocsparse_complex_numIfEllEEv20rocsparse_direction_T4_S4_21rocsparse_index_base_PKT2_PKT3_PKS4_S4_S5_PS6_PS9_PS4_.uses_vcc, 1
	.set _ZN9rocsparseL35bsr2csr_block_per_row_33_256_kernelILj1024ELj256ELj32E21rocsparse_complex_numIfEllEEv20rocsparse_direction_T4_S4_21rocsparse_index_base_PKT2_PKT3_PKS4_S4_S5_PS6_PS9_PS4_.uses_flat_scratch, 0
	.set _ZN9rocsparseL35bsr2csr_block_per_row_33_256_kernelILj1024ELj256ELj32E21rocsparse_complex_numIfEllEEv20rocsparse_direction_T4_S4_21rocsparse_index_base_PKT2_PKT3_PKS4_S4_S5_PS6_PS9_PS4_.has_dyn_sized_stack, 0
	.set _ZN9rocsparseL35bsr2csr_block_per_row_33_256_kernelILj1024ELj256ELj32E21rocsparse_complex_numIfEllEEv20rocsparse_direction_T4_S4_21rocsparse_index_base_PKT2_PKT3_PKS4_S4_S5_PS6_PS9_PS4_.has_recursion, 0
	.set _ZN9rocsparseL35bsr2csr_block_per_row_33_256_kernelILj1024ELj256ELj32E21rocsparse_complex_numIfEllEEv20rocsparse_direction_T4_S4_21rocsparse_index_base_PKT2_PKT3_PKS4_S4_S5_PS6_PS9_PS4_.has_indirect_call, 0
	.section	.AMDGPU.csdata,"",@progbits
; Kernel info:
; codeLenInByte = 14200
; TotalNumSgprs: 102
; NumVgprs: 72
; ScratchSize: 0
; MemoryBound: 0
; FloatMode: 240
; IeeeMode: 1
; LDSByteSize: 0 bytes/workgroup (compile time only)
; SGPRBlocks: 0
; VGPRBlocks: 8
; NumSGPRsForWavesPerEU: 102
; NumVGPRsForWavesPerEU: 72
; Occupancy: 12
; WaveLimiterHint : 1
; COMPUTE_PGM_RSRC2:SCRATCH_EN: 0
; COMPUTE_PGM_RSRC2:USER_SGPR: 6
; COMPUTE_PGM_RSRC2:TRAP_HANDLER: 0
; COMPUTE_PGM_RSRC2:TGID_X_EN: 1
; COMPUTE_PGM_RSRC2:TGID_Y_EN: 0
; COMPUTE_PGM_RSRC2:TGID_Z_EN: 0
; COMPUTE_PGM_RSRC2:TIDIG_COMP_CNT: 0
	.section	.text._ZN9rocsparseL35bsr2csr_block_dim_equals_one_kernelILj1024EdiiEEvT2_S1_21rocsparse_index_base_PKT0_PKT1_PKS1_S2_PS3_PS6_PS1_,"axG",@progbits,_ZN9rocsparseL35bsr2csr_block_dim_equals_one_kernelILj1024EdiiEEvT2_S1_21rocsparse_index_base_PKT0_PKT1_PKS1_S2_PS3_PS6_PS1_,comdat
	.globl	_ZN9rocsparseL35bsr2csr_block_dim_equals_one_kernelILj1024EdiiEEvT2_S1_21rocsparse_index_base_PKT0_PKT1_PKS1_S2_PS3_PS6_PS1_ ; -- Begin function _ZN9rocsparseL35bsr2csr_block_dim_equals_one_kernelILj1024EdiiEEvT2_S1_21rocsparse_index_base_PKT0_PKT1_PKS1_S2_PS3_PS6_PS1_
	.p2align	8
	.type	_ZN9rocsparseL35bsr2csr_block_dim_equals_one_kernelILj1024EdiiEEvT2_S1_21rocsparse_index_base_PKT0_PKT1_PKS1_S2_PS3_PS6_PS1_,@function
_ZN9rocsparseL35bsr2csr_block_dim_equals_one_kernelILj1024EdiiEEvT2_S1_21rocsparse_index_base_PKT0_PKT1_PKS1_S2_PS3_PS6_PS1_: ; @_ZN9rocsparseL35bsr2csr_block_dim_equals_one_kernelILj1024EdiiEEvT2_S1_21rocsparse_index_base_PKT0_PKT1_PKS1_S2_PS3_PS6_PS1_
; %bb.0:
	s_clause 0x6
	s_load_dword s0, s[4:5], 0x0
	s_load_dword s16, s[4:5], 0x8
	s_load_dwordx4 s[8:11], s[4:5], 0x10
	s_load_dwordx2 s[2:3], s[4:5], 0x20
	s_load_dwordx2 s[12:13], s[4:5], 0x40
	s_load_dword s17, s[4:5], 0x28
	s_load_dwordx2 s[14:15], s[4:5], 0x30
	v_lshl_or_b32 v0, s6, 10, v0
	s_mov_b32 s1, exec_lo
	s_waitcnt lgkmcnt(0)
	v_cmpx_gt_i32_e64 s0, v0
	s_cbranch_execz .LBB208_6
; %bb.1:
	s_load_dwordx2 s[6:7], s[4:5], 0x38
	s_mov_b32 s18, exec_lo
                                        ; implicit-def: $sgpr19
	v_cmpx_ne_u32_e32 0, v0
	s_xor_b32 s18, exec_lo, s18
; %bb.2:
	s_sub_i32 s19, s17, s16
; %bb.3:
	s_or_saveexec_b32 s18, s18
	v_mov_b32_e32 v2, s19
	s_xor_b32 exec_lo, exec_lo, s18
	s_cbranch_execz .LBB208_5
; %bb.4:
	s_load_dword s19, s[10:11], 0x0
	s_sub_i32 s20, s17, s16
	v_mov_b32_e32 v1, 0
	v_mov_b32_e32 v2, s20
	s_waitcnt lgkmcnt(0)
	s_add_i32 s19, s20, s19
	v_mov_b32_e32 v3, s19
	global_store_dword v1, v3, s[6:7]
.LBB208_5:
	s_or_b32 exec_lo, exec_lo, s18
	v_ashrrev_i32_e32 v1, 31, v0
	v_lshlrev_b64 v[3:4], 2, v[0:1]
	v_add_co_u32 v5, vcc_lo, s10, v3
	v_add_co_ci_u32_e64 v6, null, s11, v4, vcc_lo
	global_load_dword v1, v[5:6], off offset:4
	s_waitcnt vmcnt(0)
	v_add_nc_u32_e32 v5, v2, v1
	s_waitcnt lgkmcnt(0)
	v_add_co_u32 v1, vcc_lo, s6, v3
	v_add_co_ci_u32_e64 v2, null, s7, v4, vcc_lo
	global_store_dword v[1:2], v5, off offset:4
.LBB208_6:
	s_or_b32 exec_lo, exec_lo, s1
	s_ashr_i32 s1, s0, 31
	s_lshl_b64 s[0:1], s[0:1], 2
	s_add_u32 s0, s10, s0
	s_addc_u32 s1, s11, s1
	s_clause 0x1
	s_load_dword s0, s[0:1], 0x0
	s_load_dword s1, s[10:11], 0x0
	s_waitcnt lgkmcnt(0)
	s_sub_i32 s1, s0, s1
	s_mov_b32 s0, exec_lo
	v_cmpx_gt_i32_e64 s1, v0
	s_cbranch_execz .LBB208_9
; %bb.7:
	s_load_dword s0, s[4:5], 0x48
	s_sub_i32 s4, s17, s16
	s_mov_b32 s6, 0
	s_waitcnt lgkmcnt(0)
	s_lshl_b32 s5, s0, 10
	s_inst_prefetch 0x1
	.p2align	6
.LBB208_8:                              ; =>This Inner Loop Header: Depth=1
	v_ashrrev_i32_e32 v1, 31, v0
	v_lshlrev_b64 v[2:3], 2, v[0:1]
	v_lshlrev_b64 v[6:7], 3, v[0:1]
	v_add_nc_u32_e32 v0, s5, v0
	v_add_co_u32 v4, vcc_lo, s2, v2
	v_add_co_ci_u32_e64 v5, null, s3, v3, vcc_lo
	v_add_co_u32 v1, s0, s12, v2
	v_add_co_ci_u32_e64 v2, null, s13, v3, s0
	global_load_dword v8, v[4:5], off
	v_add_co_u32 v4, vcc_lo, s8, v6
	v_add_co_ci_u32_e64 v5, null, s9, v7, vcc_lo
	v_cmp_le_i32_e32 vcc_lo, s1, v0
	v_add_co_u32 v6, s0, s14, v6
	global_load_dwordx2 v[4:5], v[4:5], off
	v_add_co_ci_u32_e64 v7, null, s15, v7, s0
	s_or_b32 s6, vcc_lo, s6
	s_waitcnt vmcnt(1)
	v_add_nc_u32_e32 v3, s4, v8
	global_store_dword v[1:2], v3, off
	s_waitcnt vmcnt(0)
	global_store_dwordx2 v[6:7], v[4:5], off
	s_andn2_b32 exec_lo, exec_lo, s6
	s_cbranch_execnz .LBB208_8
.LBB208_9:
	s_inst_prefetch 0x2
	s_endpgm
	.section	.rodata,"a",@progbits
	.p2align	6, 0x0
	.amdhsa_kernel _ZN9rocsparseL35bsr2csr_block_dim_equals_one_kernelILj1024EdiiEEvT2_S1_21rocsparse_index_base_PKT0_PKT1_PKS1_S2_PS3_PS6_PS1_
		.amdhsa_group_segment_fixed_size 0
		.amdhsa_private_segment_fixed_size 0
		.amdhsa_kernarg_size 328
		.amdhsa_user_sgpr_count 6
		.amdhsa_user_sgpr_private_segment_buffer 1
		.amdhsa_user_sgpr_dispatch_ptr 0
		.amdhsa_user_sgpr_queue_ptr 0
		.amdhsa_user_sgpr_kernarg_segment_ptr 1
		.amdhsa_user_sgpr_dispatch_id 0
		.amdhsa_user_sgpr_flat_scratch_init 0
		.amdhsa_user_sgpr_private_segment_size 0
		.amdhsa_wavefront_size32 1
		.amdhsa_uses_dynamic_stack 0
		.amdhsa_system_sgpr_private_segment_wavefront_offset 0
		.amdhsa_system_sgpr_workgroup_id_x 1
		.amdhsa_system_sgpr_workgroup_id_y 0
		.amdhsa_system_sgpr_workgroup_id_z 0
		.amdhsa_system_sgpr_workgroup_info 0
		.amdhsa_system_vgpr_workitem_id 0
		.amdhsa_next_free_vgpr 9
		.amdhsa_next_free_sgpr 21
		.amdhsa_reserve_vcc 1
		.amdhsa_reserve_flat_scratch 0
		.amdhsa_float_round_mode_32 0
		.amdhsa_float_round_mode_16_64 0
		.amdhsa_float_denorm_mode_32 3
		.amdhsa_float_denorm_mode_16_64 3
		.amdhsa_dx10_clamp 1
		.amdhsa_ieee_mode 1
		.amdhsa_fp16_overflow 0
		.amdhsa_workgroup_processor_mode 1
		.amdhsa_memory_ordered 1
		.amdhsa_forward_progress 1
		.amdhsa_shared_vgpr_count 0
		.amdhsa_exception_fp_ieee_invalid_op 0
		.amdhsa_exception_fp_denorm_src 0
		.amdhsa_exception_fp_ieee_div_zero 0
		.amdhsa_exception_fp_ieee_overflow 0
		.amdhsa_exception_fp_ieee_underflow 0
		.amdhsa_exception_fp_ieee_inexact 0
		.amdhsa_exception_int_div_zero 0
	.end_amdhsa_kernel
	.section	.text._ZN9rocsparseL35bsr2csr_block_dim_equals_one_kernelILj1024EdiiEEvT2_S1_21rocsparse_index_base_PKT0_PKT1_PKS1_S2_PS3_PS6_PS1_,"axG",@progbits,_ZN9rocsparseL35bsr2csr_block_dim_equals_one_kernelILj1024EdiiEEvT2_S1_21rocsparse_index_base_PKT0_PKT1_PKS1_S2_PS3_PS6_PS1_,comdat
.Lfunc_end208:
	.size	_ZN9rocsparseL35bsr2csr_block_dim_equals_one_kernelILj1024EdiiEEvT2_S1_21rocsparse_index_base_PKT0_PKT1_PKS1_S2_PS3_PS6_PS1_, .Lfunc_end208-_ZN9rocsparseL35bsr2csr_block_dim_equals_one_kernelILj1024EdiiEEvT2_S1_21rocsparse_index_base_PKT0_PKT1_PKS1_S2_PS3_PS6_PS1_
                                        ; -- End function
	.set _ZN9rocsparseL35bsr2csr_block_dim_equals_one_kernelILj1024EdiiEEvT2_S1_21rocsparse_index_base_PKT0_PKT1_PKS1_S2_PS3_PS6_PS1_.num_vgpr, 9
	.set _ZN9rocsparseL35bsr2csr_block_dim_equals_one_kernelILj1024EdiiEEvT2_S1_21rocsparse_index_base_PKT0_PKT1_PKS1_S2_PS3_PS6_PS1_.num_agpr, 0
	.set _ZN9rocsparseL35bsr2csr_block_dim_equals_one_kernelILj1024EdiiEEvT2_S1_21rocsparse_index_base_PKT0_PKT1_PKS1_S2_PS3_PS6_PS1_.numbered_sgpr, 21
	.set _ZN9rocsparseL35bsr2csr_block_dim_equals_one_kernelILj1024EdiiEEvT2_S1_21rocsparse_index_base_PKT0_PKT1_PKS1_S2_PS3_PS6_PS1_.num_named_barrier, 0
	.set _ZN9rocsparseL35bsr2csr_block_dim_equals_one_kernelILj1024EdiiEEvT2_S1_21rocsparse_index_base_PKT0_PKT1_PKS1_S2_PS3_PS6_PS1_.private_seg_size, 0
	.set _ZN9rocsparseL35bsr2csr_block_dim_equals_one_kernelILj1024EdiiEEvT2_S1_21rocsparse_index_base_PKT0_PKT1_PKS1_S2_PS3_PS6_PS1_.uses_vcc, 1
	.set _ZN9rocsparseL35bsr2csr_block_dim_equals_one_kernelILj1024EdiiEEvT2_S1_21rocsparse_index_base_PKT0_PKT1_PKS1_S2_PS3_PS6_PS1_.uses_flat_scratch, 0
	.set _ZN9rocsparseL35bsr2csr_block_dim_equals_one_kernelILj1024EdiiEEvT2_S1_21rocsparse_index_base_PKT0_PKT1_PKS1_S2_PS3_PS6_PS1_.has_dyn_sized_stack, 0
	.set _ZN9rocsparseL35bsr2csr_block_dim_equals_one_kernelILj1024EdiiEEvT2_S1_21rocsparse_index_base_PKT0_PKT1_PKS1_S2_PS3_PS6_PS1_.has_recursion, 0
	.set _ZN9rocsparseL35bsr2csr_block_dim_equals_one_kernelILj1024EdiiEEvT2_S1_21rocsparse_index_base_PKT0_PKT1_PKS1_S2_PS3_PS6_PS1_.has_indirect_call, 0
	.section	.AMDGPU.csdata,"",@progbits
; Kernel info:
; codeLenInByte = 540
; TotalNumSgprs: 23
; NumVgprs: 9
; ScratchSize: 0
; MemoryBound: 0
; FloatMode: 240
; IeeeMode: 1
; LDSByteSize: 0 bytes/workgroup (compile time only)
; SGPRBlocks: 0
; VGPRBlocks: 1
; NumSGPRsForWavesPerEU: 23
; NumVGPRsForWavesPerEU: 9
; Occupancy: 16
; WaveLimiterHint : 0
; COMPUTE_PGM_RSRC2:SCRATCH_EN: 0
; COMPUTE_PGM_RSRC2:USER_SGPR: 6
; COMPUTE_PGM_RSRC2:TRAP_HANDLER: 0
; COMPUTE_PGM_RSRC2:TGID_X_EN: 1
; COMPUTE_PGM_RSRC2:TGID_Y_EN: 0
; COMPUTE_PGM_RSRC2:TGID_Z_EN: 0
; COMPUTE_PGM_RSRC2:TIDIG_COMP_CNT: 0
	.section	.text._ZN9rocsparseL32bsr2csr_block_per_row_2_7_kernelILj256ELj2EdiiEEv20rocsparse_direction_T3_S2_21rocsparse_index_base_PKT1_PKT2_PKS2_S2_S3_PS4_PS7_PS2_,"axG",@progbits,_ZN9rocsparseL32bsr2csr_block_per_row_2_7_kernelILj256ELj2EdiiEEv20rocsparse_direction_T3_S2_21rocsparse_index_base_PKT1_PKT2_PKS2_S2_S3_PS4_PS7_PS2_,comdat
	.globl	_ZN9rocsparseL32bsr2csr_block_per_row_2_7_kernelILj256ELj2EdiiEEv20rocsparse_direction_T3_S2_21rocsparse_index_base_PKT1_PKT2_PKS2_S2_S3_PS4_PS7_PS2_ ; -- Begin function _ZN9rocsparseL32bsr2csr_block_per_row_2_7_kernelILj256ELj2EdiiEEv20rocsparse_direction_T3_S2_21rocsparse_index_base_PKT1_PKT2_PKS2_S2_S3_PS4_PS7_PS2_
	.p2align	8
	.type	_ZN9rocsparseL32bsr2csr_block_per_row_2_7_kernelILj256ELj2EdiiEEv20rocsparse_direction_T3_S2_21rocsparse_index_base_PKT1_PKT2_PKS2_S2_S3_PS4_PS7_PS2_,@function
_ZN9rocsparseL32bsr2csr_block_per_row_2_7_kernelILj256ELj2EdiiEEv20rocsparse_direction_T3_S2_21rocsparse_index_base_PKT1_PKT2_PKS2_S2_S3_PS4_PS7_PS2_: ; @_ZN9rocsparseL32bsr2csr_block_per_row_2_7_kernelILj256ELj2EdiiEEv20rocsparse_direction_T3_S2_21rocsparse_index_base_PKT1_PKT2_PKS2_S2_S3_PS4_PS7_PS2_
; %bb.0:
	s_load_dwordx2 s[0:1], s[4:5], 0x18
	s_ashr_i32 s7, s6, 31
	s_clause 0x1
	s_load_dword s10, s[4:5], 0x2c
	s_load_dwordx2 s[2:3], s[4:5], 0x38
	s_lshl_b64 s[8:9], s[6:7], 2
	v_or_b32_e32 v1, s6, v0
	s_mov_b32 s7, exec_lo
	s_waitcnt lgkmcnt(0)
	s_add_u32 s0, s0, s8
	s_addc_u32 s1, s1, s9
	s_load_dwordx2 s[0:1], s[0:1], 0x0
	v_cmpx_eq_u32_e32 0, v1
	s_cbranch_execz .LBB209_2
; %bb.1:
	v_mov_b32_e32 v1, 0
	v_mov_b32_e32 v2, s10
	global_store_dword v1, v2, s[2:3]
.LBB209_2:
	s_or_b32 exec_lo, exec_lo, s7
	s_load_dword s11, s[4:5], 0xc
	v_and_b32_e32 v4, 1, v0
	v_mov_b32_e32 v2, 0
	v_lshrrev_b32_e32 v0, 1, v0
	v_lshl_or_b32 v1, s6, 1, v4
	v_add_nc_u32_e32 v1, 1, v1
	v_lshlrev_b64 v[6:7], 2, v[1:2]
	s_waitcnt lgkmcnt(0)
	s_sub_i32 s6, s0, s11
	s_sub_i32 s12, s1, s11
	s_lshl_b32 s7, s6, 2
	s_sub_i32 s1, s12, s6
	v_add_co_u32 v6, vcc_lo, s2, v6
	s_lshl_b32 s1, s1, 1
	v_add_nc_u32_e32 v3, s6, v0
	v_mul_lo_u32 v5, s1, v4
	s_add_i32 s1, s1, s10
	v_add_co_ci_u32_e64 v7, null, s3, v7, vcc_lo
	v_add3_u32 v1, s1, s7, v5
	s_mov_b32 s1, exec_lo
	global_store_dword v[6:7], v1, off
	v_cmpx_gt_i32_e64 s12, v3
	s_cbranch_execz .LBB209_5
; %bb.3:
	s_clause 0x4
	s_load_dwordx2 s[2:3], s[4:5], 0x20
	s_load_dwordx2 s[6:7], s[4:5], 0x30
	s_load_dword s1, s[4:5], 0x0
	s_load_dwordx2 s[8:9], s[4:5], 0x10
	s_load_dwordx2 s[4:5], s[4:5], 0x40
	v_lshlrev_b32_e32 v0, 1, v0
	v_lshlrev_b32_e32 v1, 2, v3
	s_mov_b32 s13, 0
	v_or_b32_e32 v6, v1, v4
	s_waitcnt lgkmcnt(0)
	s_cmp_eq_u32 s1, 0
	s_cselect_b32 vcc_lo, -1, 0
	s_lshl_b32 s0, s0, 2
	v_add3_u32 v0, v5, s0, v0
	s_lshl_b32 s0, s11, 2
	v_lshl_or_b32 v5, v4, 1, v1
	v_subrev_nc_u32_e32 v0, s0, v0
.LBB209_4:                              ; =>This Inner Loop Header: Depth=1
	v_ashrrev_i32_e32 v4, 31, v3
	v_cndmask_b32_e32 v1, v6, v5, vcc_lo
	v_add_nc_u32_e32 v11, 1, v5
	v_add_nc_u32_e32 v5, 0x200, v5
	v_lshlrev_b64 v[7:8], 2, v[3:4]
	v_add_nc_u32_e32 v4, 2, v6
	v_lshlrev_b64 v[9:10], 3, v[1:2]
	v_add_nc_u32_e32 v3, 0x80, v3
	v_add_nc_u32_e32 v6, 0x200, v6
	v_cndmask_b32_e32 v1, v4, v11, vcc_lo
	v_add_co_u32 v7, s0, s2, v7
	v_add_co_ci_u32_e64 v8, null, s3, v8, s0
	v_add_co_u32 v9, s0, s8, v9
	v_add_co_ci_u32_e64 v10, null, s9, v10, s0
	global_load_dword v4, v[7:8], off
	v_lshlrev_b64 v[7:8], 3, v[1:2]
	v_ashrrev_i32_e32 v1, 31, v0
	v_lshlrev_b64 v[13:14], 3, v[0:1]
	v_add_co_u32 v11, s0, s8, v7
	v_add_co_ci_u32_e64 v12, null, s9, v8, s0
	s_clause 0x1
	global_load_dwordx2 v[7:8], v[9:10], off
	global_load_dwordx2 v[9:10], v[11:12], off
	v_lshlrev_b64 v[11:12], 2, v[0:1]
	v_cmp_le_i32_e64 s0, s12, v3
	v_add_nc_u32_e32 v0, 0x100, v0
	v_add_co_u32 v11, s1, s4, v11
	v_add_co_ci_u32_e64 v12, null, s5, v12, s1
	v_add_co_u32 v13, s1, s6, v13
	v_add_co_ci_u32_e64 v14, null, s7, v14, s1
	s_or_b32 s13, s0, s13
	s_waitcnt vmcnt(2)
	v_subrev_nc_u32_e32 v1, s11, v4
	v_lshl_add_u32 v15, v1, 1, s10
	v_add_nc_u32_e32 v16, 1, v15
	s_waitcnt vmcnt(0)
	global_store_dwordx4 v[13:14], v[7:10], off
	global_store_dwordx2 v[11:12], v[15:16], off
	s_andn2_b32 exec_lo, exec_lo, s13
	s_cbranch_execnz .LBB209_4
.LBB209_5:
	s_endpgm
	.section	.rodata,"a",@progbits
	.p2align	6, 0x0
	.amdhsa_kernel _ZN9rocsparseL32bsr2csr_block_per_row_2_7_kernelILj256ELj2EdiiEEv20rocsparse_direction_T3_S2_21rocsparse_index_base_PKT1_PKT2_PKS2_S2_S3_PS4_PS7_PS2_
		.amdhsa_group_segment_fixed_size 0
		.amdhsa_private_segment_fixed_size 0
		.amdhsa_kernarg_size 72
		.amdhsa_user_sgpr_count 6
		.amdhsa_user_sgpr_private_segment_buffer 1
		.amdhsa_user_sgpr_dispatch_ptr 0
		.amdhsa_user_sgpr_queue_ptr 0
		.amdhsa_user_sgpr_kernarg_segment_ptr 1
		.amdhsa_user_sgpr_dispatch_id 0
		.amdhsa_user_sgpr_flat_scratch_init 0
		.amdhsa_user_sgpr_private_segment_size 0
		.amdhsa_wavefront_size32 1
		.amdhsa_uses_dynamic_stack 0
		.amdhsa_system_sgpr_private_segment_wavefront_offset 0
		.amdhsa_system_sgpr_workgroup_id_x 1
		.amdhsa_system_sgpr_workgroup_id_y 0
		.amdhsa_system_sgpr_workgroup_id_z 0
		.amdhsa_system_sgpr_workgroup_info 0
		.amdhsa_system_vgpr_workitem_id 0
		.amdhsa_next_free_vgpr 17
		.amdhsa_next_free_sgpr 14
		.amdhsa_reserve_vcc 1
		.amdhsa_reserve_flat_scratch 0
		.amdhsa_float_round_mode_32 0
		.amdhsa_float_round_mode_16_64 0
		.amdhsa_float_denorm_mode_32 3
		.amdhsa_float_denorm_mode_16_64 3
		.amdhsa_dx10_clamp 1
		.amdhsa_ieee_mode 1
		.amdhsa_fp16_overflow 0
		.amdhsa_workgroup_processor_mode 1
		.amdhsa_memory_ordered 1
		.amdhsa_forward_progress 1
		.amdhsa_shared_vgpr_count 0
		.amdhsa_exception_fp_ieee_invalid_op 0
		.amdhsa_exception_fp_denorm_src 0
		.amdhsa_exception_fp_ieee_div_zero 0
		.amdhsa_exception_fp_ieee_overflow 0
		.amdhsa_exception_fp_ieee_underflow 0
		.amdhsa_exception_fp_ieee_inexact 0
		.amdhsa_exception_int_div_zero 0
	.end_amdhsa_kernel
	.section	.text._ZN9rocsparseL32bsr2csr_block_per_row_2_7_kernelILj256ELj2EdiiEEv20rocsparse_direction_T3_S2_21rocsparse_index_base_PKT1_PKT2_PKS2_S2_S3_PS4_PS7_PS2_,"axG",@progbits,_ZN9rocsparseL32bsr2csr_block_per_row_2_7_kernelILj256ELj2EdiiEEv20rocsparse_direction_T3_S2_21rocsparse_index_base_PKT1_PKT2_PKS2_S2_S3_PS4_PS7_PS2_,comdat
.Lfunc_end209:
	.size	_ZN9rocsparseL32bsr2csr_block_per_row_2_7_kernelILj256ELj2EdiiEEv20rocsparse_direction_T3_S2_21rocsparse_index_base_PKT1_PKT2_PKS2_S2_S3_PS4_PS7_PS2_, .Lfunc_end209-_ZN9rocsparseL32bsr2csr_block_per_row_2_7_kernelILj256ELj2EdiiEEv20rocsparse_direction_T3_S2_21rocsparse_index_base_PKT1_PKT2_PKS2_S2_S3_PS4_PS7_PS2_
                                        ; -- End function
	.set _ZN9rocsparseL32bsr2csr_block_per_row_2_7_kernelILj256ELj2EdiiEEv20rocsparse_direction_T3_S2_21rocsparse_index_base_PKT1_PKT2_PKS2_S2_S3_PS4_PS7_PS2_.num_vgpr, 17
	.set _ZN9rocsparseL32bsr2csr_block_per_row_2_7_kernelILj256ELj2EdiiEEv20rocsparse_direction_T3_S2_21rocsparse_index_base_PKT1_PKT2_PKS2_S2_S3_PS4_PS7_PS2_.num_agpr, 0
	.set _ZN9rocsparseL32bsr2csr_block_per_row_2_7_kernelILj256ELj2EdiiEEv20rocsparse_direction_T3_S2_21rocsparse_index_base_PKT1_PKT2_PKS2_S2_S3_PS4_PS7_PS2_.numbered_sgpr, 14
	.set _ZN9rocsparseL32bsr2csr_block_per_row_2_7_kernelILj256ELj2EdiiEEv20rocsparse_direction_T3_S2_21rocsparse_index_base_PKT1_PKT2_PKS2_S2_S3_PS4_PS7_PS2_.num_named_barrier, 0
	.set _ZN9rocsparseL32bsr2csr_block_per_row_2_7_kernelILj256ELj2EdiiEEv20rocsparse_direction_T3_S2_21rocsparse_index_base_PKT1_PKT2_PKS2_S2_S3_PS4_PS7_PS2_.private_seg_size, 0
	.set _ZN9rocsparseL32bsr2csr_block_per_row_2_7_kernelILj256ELj2EdiiEEv20rocsparse_direction_T3_S2_21rocsparse_index_base_PKT1_PKT2_PKS2_S2_S3_PS4_PS7_PS2_.uses_vcc, 1
	.set _ZN9rocsparseL32bsr2csr_block_per_row_2_7_kernelILj256ELj2EdiiEEv20rocsparse_direction_T3_S2_21rocsparse_index_base_PKT1_PKT2_PKS2_S2_S3_PS4_PS7_PS2_.uses_flat_scratch, 0
	.set _ZN9rocsparseL32bsr2csr_block_per_row_2_7_kernelILj256ELj2EdiiEEv20rocsparse_direction_T3_S2_21rocsparse_index_base_PKT1_PKT2_PKS2_S2_S3_PS4_PS7_PS2_.has_dyn_sized_stack, 0
	.set _ZN9rocsparseL32bsr2csr_block_per_row_2_7_kernelILj256ELj2EdiiEEv20rocsparse_direction_T3_S2_21rocsparse_index_base_PKT1_PKT2_PKS2_S2_S3_PS4_PS7_PS2_.has_recursion, 0
	.set _ZN9rocsparseL32bsr2csr_block_per_row_2_7_kernelILj256ELj2EdiiEEv20rocsparse_direction_T3_S2_21rocsparse_index_base_PKT1_PKT2_PKS2_S2_S3_PS4_PS7_PS2_.has_indirect_call, 0
	.section	.AMDGPU.csdata,"",@progbits
; Kernel info:
; codeLenInByte = 588
; TotalNumSgprs: 16
; NumVgprs: 17
; ScratchSize: 0
; MemoryBound: 0
; FloatMode: 240
; IeeeMode: 1
; LDSByteSize: 0 bytes/workgroup (compile time only)
; SGPRBlocks: 0
; VGPRBlocks: 2
; NumSGPRsForWavesPerEU: 16
; NumVGPRsForWavesPerEU: 17
; Occupancy: 16
; WaveLimiterHint : 0
; COMPUTE_PGM_RSRC2:SCRATCH_EN: 0
; COMPUTE_PGM_RSRC2:USER_SGPR: 6
; COMPUTE_PGM_RSRC2:TRAP_HANDLER: 0
; COMPUTE_PGM_RSRC2:TGID_X_EN: 1
; COMPUTE_PGM_RSRC2:TGID_Y_EN: 0
; COMPUTE_PGM_RSRC2:TGID_Z_EN: 0
; COMPUTE_PGM_RSRC2:TIDIG_COMP_CNT: 0
	.section	.text._ZN9rocsparseL32bsr2csr_block_per_row_2_7_kernelILj256ELj3EdiiEEv20rocsparse_direction_T3_S2_21rocsparse_index_base_PKT1_PKT2_PKS2_S2_S3_PS4_PS7_PS2_,"axG",@progbits,_ZN9rocsparseL32bsr2csr_block_per_row_2_7_kernelILj256ELj3EdiiEEv20rocsparse_direction_T3_S2_21rocsparse_index_base_PKT1_PKT2_PKS2_S2_S3_PS4_PS7_PS2_,comdat
	.globl	_ZN9rocsparseL32bsr2csr_block_per_row_2_7_kernelILj256ELj3EdiiEEv20rocsparse_direction_T3_S2_21rocsparse_index_base_PKT1_PKT2_PKS2_S2_S3_PS4_PS7_PS2_ ; -- Begin function _ZN9rocsparseL32bsr2csr_block_per_row_2_7_kernelILj256ELj3EdiiEEv20rocsparse_direction_T3_S2_21rocsparse_index_base_PKT1_PKT2_PKS2_S2_S3_PS4_PS7_PS2_
	.p2align	8
	.type	_ZN9rocsparseL32bsr2csr_block_per_row_2_7_kernelILj256ELj3EdiiEEv20rocsparse_direction_T3_S2_21rocsparse_index_base_PKT1_PKT2_PKS2_S2_S3_PS4_PS7_PS2_,@function
_ZN9rocsparseL32bsr2csr_block_per_row_2_7_kernelILj256ELj3EdiiEEv20rocsparse_direction_T3_S2_21rocsparse_index_base_PKT1_PKT2_PKS2_S2_S3_PS4_PS7_PS2_: ; @_ZN9rocsparseL32bsr2csr_block_per_row_2_7_kernelILj256ELj3EdiiEEv20rocsparse_direction_T3_S2_21rocsparse_index_base_PKT1_PKT2_PKS2_S2_S3_PS4_PS7_PS2_
; %bb.0:
	s_clause 0x2
	s_load_dwordx2 s[8:9], s[4:5], 0x18
	s_load_dword s2, s[4:5], 0x2c
	s_load_dwordx2 s[0:1], s[4:5], 0x38
	s_ashr_i32 s7, s6, 31
	v_or_b32_e32 v1, s6, v0
	s_lshl_b64 s[10:11], s[6:7], 2
	s_mov_b32 s3, exec_lo
	s_waitcnt lgkmcnt(0)
	s_add_u32 s8, s8, s10
	s_addc_u32 s9, s9, s11
	v_cmpx_eq_u32_e32 0, v1
	s_cbranch_execz .LBB210_2
; %bb.1:
	v_mov_b32_e32 v1, 0
	v_mov_b32_e32 v2, s2
	global_store_dword v1, v2, s[0:1]
.LBB210_2:
	s_or_b32 exec_lo, exec_lo, s3
	v_and_b32_e32 v3, 3, v0
	s_mov_b32 s3, exec_lo
	v_cmpx_ne_u32_e32 3, v3
	s_cbranch_execz .LBB210_6
; %bb.3:
	s_load_dwordx2 s[12:13], s[8:9], 0x0
	s_load_dword s3, s[4:5], 0xc
	s_mul_i32 s6, s6, 3
	v_mov_b32_e32 v2, 0
	v_add3_u32 v1, v3, s6, 1
	v_lshrrev_b32_e32 v5, 2, v0
	v_lshlrev_b64 v[6:7], 2, v[1:2]
	v_add_co_u32 v6, vcc_lo, s0, v6
	v_add_co_ci_u32_e64 v7, null, s1, v7, vcc_lo
	s_waitcnt lgkmcnt(0)
	s_sub_i32 s7, s12, s3
	s_sub_i32 s13, s13, s3
	v_add_nc_u32_e32 v0, s7, v5
	s_sub_i32 s8, s13, s7
	s_mul_i32 s6, s7, 9
	s_mul_i32 s8, s8, 3
	v_mul_lo_u32 v4, s8, v3
	s_add_i32 s8, s8, s2
	v_cmp_gt_i32_e32 vcc_lo, s13, v0
	v_add3_u32 v1, s8, s6, v4
	global_store_dword v[6:7], v1, off
	s_and_b32 exec_lo, exec_lo, vcc_lo
	s_cbranch_execz .LBB210_6
; %bb.4:
	s_clause 0x3
	s_load_dwordx2 s[6:7], s[4:5], 0x20
	s_load_dwordx2 s[8:9], s[4:5], 0x30
	s_load_dword s0, s[4:5], 0x0
	s_load_dwordx2 s[10:11], s[4:5], 0x10
	v_add_nc_u32_e32 v1, s12, v5
	s_load_dwordx2 s[4:5], s[4:5], 0x40
	v_mul_u32_u24_e32 v5, 3, v5
	s_mul_i32 s1, s12, 9
	s_mov_b32 s12, 0
	v_lshl_add_u32 v1, v1, 3, v1
	s_mov_b32 s14, 0
	v_add3_u32 v5, v4, s1, v5
	s_mul_i32 s1, s3, 9
	v_mad_u32_u24 v1, v3, 3, v1
	v_mad_u64_u32 v[3:4], null, v0, 9, v[3:4]
	v_subrev_nc_u32_e32 v4, s1, v5
	v_subrev_nc_u32_e32 v6, s1, v1
	s_waitcnt lgkmcnt(0)
	s_cmp_eq_u32 s0, 0
	s_cselect_b32 vcc_lo, -1, 0
.LBB210_5:                              ; =>This Inner Loop Header: Depth=1
	v_ashrrev_i32_e32 v1, 31, v0
	v_add_nc_u32_e32 v5, s14, v3
	v_add_nc_u32_e32 v9, s14, v6
	s_addk_i32 s14, 0x240
	v_lshlrev_b64 v[7:8], 2, v[0:1]
	v_add_nc_u32_e32 v12, 3, v5
	v_cndmask_b32_e32 v1, v5, v9, vcc_lo
	v_add_nc_u32_e32 v11, 1, v9
	v_add_nc_u32_e32 v13, 2, v9
	;; [unrolled: 1-line block ×3, first 2 shown]
	v_add_co_u32 v7, s0, s6, v7
	v_lshlrev_b64 v[9:10], 3, v[1:2]
	v_add_co_ci_u32_e64 v8, null, s7, v8, s0
	v_cndmask_b32_e32 v1, v12, v11, vcc_lo
	v_add_nc_u32_e32 v0, 64, v0
	global_load_dword v18, v[7:8], off
	v_add_co_u32 v7, s0, s10, v9
	v_lshlrev_b64 v[11:12], 3, v[1:2]
	v_cndmask_b32_e32 v1, v5, v13, vcc_lo
	v_add_co_ci_u32_e64 v8, null, s11, v10, s0
	v_ashrrev_i32_e32 v5, 31, v4
	v_lshlrev_b64 v[9:10], 3, v[1:2]
	v_add_co_u32 v11, s0, s10, v11
	v_add_co_ci_u32_e64 v12, null, s11, v12, s0
	v_lshlrev_b64 v[16:17], 3, v[4:5]
	v_add_co_u32 v13, s0, s10, v9
	v_add_co_ci_u32_e64 v14, null, s11, v10, s0
	s_clause 0x2
	global_load_dwordx2 v[7:8], v[7:8], off
	global_load_dwordx2 v[9:10], v[11:12], off
	;; [unrolled: 1-line block ×3, first 2 shown]
	v_lshlrev_b64 v[12:13], 2, v[4:5]
	v_cmp_le_i32_e64 s0, s13, v0
	v_add_nc_u32_e32 v4, 0xc0, v4
	s_or_b32 s12, s0, s12
	s_waitcnt vmcnt(3)
	v_subrev_nc_u32_e32 v1, s3, v18
	v_add_co_u32 v18, s1, s4, v12
	v_add_co_ci_u32_e64 v19, null, s5, v13, s1
	v_mad_u64_u32 v[11:12], null, v1, 3, s[2:3]
	v_add_co_u32 v16, s1, s8, v16
	v_add_co_ci_u32_e64 v17, null, s9, v17, s1
	v_add_nc_u32_e32 v12, 1, v11
	v_add_nc_u32_e32 v13, 2, v11
	s_waitcnt vmcnt(1)
	global_store_dwordx4 v[16:17], v[7:10], off
	s_waitcnt vmcnt(0)
	global_store_dwordx2 v[16:17], v[14:15], off offset:16
	global_store_dwordx3 v[18:19], v[11:13], off
	s_andn2_b32 exec_lo, exec_lo, s12
	s_cbranch_execnz .LBB210_5
.LBB210_6:
	s_endpgm
	.section	.rodata,"a",@progbits
	.p2align	6, 0x0
	.amdhsa_kernel _ZN9rocsparseL32bsr2csr_block_per_row_2_7_kernelILj256ELj3EdiiEEv20rocsparse_direction_T3_S2_21rocsparse_index_base_PKT1_PKT2_PKS2_S2_S3_PS4_PS7_PS2_
		.amdhsa_group_segment_fixed_size 0
		.amdhsa_private_segment_fixed_size 0
		.amdhsa_kernarg_size 72
		.amdhsa_user_sgpr_count 6
		.amdhsa_user_sgpr_private_segment_buffer 1
		.amdhsa_user_sgpr_dispatch_ptr 0
		.amdhsa_user_sgpr_queue_ptr 0
		.amdhsa_user_sgpr_kernarg_segment_ptr 1
		.amdhsa_user_sgpr_dispatch_id 0
		.amdhsa_user_sgpr_flat_scratch_init 0
		.amdhsa_user_sgpr_private_segment_size 0
		.amdhsa_wavefront_size32 1
		.amdhsa_uses_dynamic_stack 0
		.amdhsa_system_sgpr_private_segment_wavefront_offset 0
		.amdhsa_system_sgpr_workgroup_id_x 1
		.amdhsa_system_sgpr_workgroup_id_y 0
		.amdhsa_system_sgpr_workgroup_id_z 0
		.amdhsa_system_sgpr_workgroup_info 0
		.amdhsa_system_vgpr_workitem_id 0
		.amdhsa_next_free_vgpr 20
		.amdhsa_next_free_sgpr 15
		.amdhsa_reserve_vcc 1
		.amdhsa_reserve_flat_scratch 0
		.amdhsa_float_round_mode_32 0
		.amdhsa_float_round_mode_16_64 0
		.amdhsa_float_denorm_mode_32 3
		.amdhsa_float_denorm_mode_16_64 3
		.amdhsa_dx10_clamp 1
		.amdhsa_ieee_mode 1
		.amdhsa_fp16_overflow 0
		.amdhsa_workgroup_processor_mode 1
		.amdhsa_memory_ordered 1
		.amdhsa_forward_progress 1
		.amdhsa_shared_vgpr_count 0
		.amdhsa_exception_fp_ieee_invalid_op 0
		.amdhsa_exception_fp_denorm_src 0
		.amdhsa_exception_fp_ieee_div_zero 0
		.amdhsa_exception_fp_ieee_overflow 0
		.amdhsa_exception_fp_ieee_underflow 0
		.amdhsa_exception_fp_ieee_inexact 0
		.amdhsa_exception_int_div_zero 0
	.end_amdhsa_kernel
	.section	.text._ZN9rocsparseL32bsr2csr_block_per_row_2_7_kernelILj256ELj3EdiiEEv20rocsparse_direction_T3_S2_21rocsparse_index_base_PKT1_PKT2_PKS2_S2_S3_PS4_PS7_PS2_,"axG",@progbits,_ZN9rocsparseL32bsr2csr_block_per_row_2_7_kernelILj256ELj3EdiiEEv20rocsparse_direction_T3_S2_21rocsparse_index_base_PKT1_PKT2_PKS2_S2_S3_PS4_PS7_PS2_,comdat
.Lfunc_end210:
	.size	_ZN9rocsparseL32bsr2csr_block_per_row_2_7_kernelILj256ELj3EdiiEEv20rocsparse_direction_T3_S2_21rocsparse_index_base_PKT1_PKT2_PKS2_S2_S3_PS4_PS7_PS2_, .Lfunc_end210-_ZN9rocsparseL32bsr2csr_block_per_row_2_7_kernelILj256ELj3EdiiEEv20rocsparse_direction_T3_S2_21rocsparse_index_base_PKT1_PKT2_PKS2_S2_S3_PS4_PS7_PS2_
                                        ; -- End function
	.set _ZN9rocsparseL32bsr2csr_block_per_row_2_7_kernelILj256ELj3EdiiEEv20rocsparse_direction_T3_S2_21rocsparse_index_base_PKT1_PKT2_PKS2_S2_S3_PS4_PS7_PS2_.num_vgpr, 20
	.set _ZN9rocsparseL32bsr2csr_block_per_row_2_7_kernelILj256ELj3EdiiEEv20rocsparse_direction_T3_S2_21rocsparse_index_base_PKT1_PKT2_PKS2_S2_S3_PS4_PS7_PS2_.num_agpr, 0
	.set _ZN9rocsparseL32bsr2csr_block_per_row_2_7_kernelILj256ELj3EdiiEEv20rocsparse_direction_T3_S2_21rocsparse_index_base_PKT1_PKT2_PKS2_S2_S3_PS4_PS7_PS2_.numbered_sgpr, 15
	.set _ZN9rocsparseL32bsr2csr_block_per_row_2_7_kernelILj256ELj3EdiiEEv20rocsparse_direction_T3_S2_21rocsparse_index_base_PKT1_PKT2_PKS2_S2_S3_PS4_PS7_PS2_.num_named_barrier, 0
	.set _ZN9rocsparseL32bsr2csr_block_per_row_2_7_kernelILj256ELj3EdiiEEv20rocsparse_direction_T3_S2_21rocsparse_index_base_PKT1_PKT2_PKS2_S2_S3_PS4_PS7_PS2_.private_seg_size, 0
	.set _ZN9rocsparseL32bsr2csr_block_per_row_2_7_kernelILj256ELj3EdiiEEv20rocsparse_direction_T3_S2_21rocsparse_index_base_PKT1_PKT2_PKS2_S2_S3_PS4_PS7_PS2_.uses_vcc, 1
	.set _ZN9rocsparseL32bsr2csr_block_per_row_2_7_kernelILj256ELj3EdiiEEv20rocsparse_direction_T3_S2_21rocsparse_index_base_PKT1_PKT2_PKS2_S2_S3_PS4_PS7_PS2_.uses_flat_scratch, 0
	.set _ZN9rocsparseL32bsr2csr_block_per_row_2_7_kernelILj256ELj3EdiiEEv20rocsparse_direction_T3_S2_21rocsparse_index_base_PKT1_PKT2_PKS2_S2_S3_PS4_PS7_PS2_.has_dyn_sized_stack, 0
	.set _ZN9rocsparseL32bsr2csr_block_per_row_2_7_kernelILj256ELj3EdiiEEv20rocsparse_direction_T3_S2_21rocsparse_index_base_PKT1_PKT2_PKS2_S2_S3_PS4_PS7_PS2_.has_recursion, 0
	.set _ZN9rocsparseL32bsr2csr_block_per_row_2_7_kernelILj256ELj3EdiiEEv20rocsparse_direction_T3_S2_21rocsparse_index_base_PKT1_PKT2_PKS2_S2_S3_PS4_PS7_PS2_.has_indirect_call, 0
	.section	.AMDGPU.csdata,"",@progbits
; Kernel info:
; codeLenInByte = 668
; TotalNumSgprs: 17
; NumVgprs: 20
; ScratchSize: 0
; MemoryBound: 0
; FloatMode: 240
; IeeeMode: 1
; LDSByteSize: 0 bytes/workgroup (compile time only)
; SGPRBlocks: 0
; VGPRBlocks: 2
; NumSGPRsForWavesPerEU: 17
; NumVGPRsForWavesPerEU: 20
; Occupancy: 16
; WaveLimiterHint : 1
; COMPUTE_PGM_RSRC2:SCRATCH_EN: 0
; COMPUTE_PGM_RSRC2:USER_SGPR: 6
; COMPUTE_PGM_RSRC2:TRAP_HANDLER: 0
; COMPUTE_PGM_RSRC2:TGID_X_EN: 1
; COMPUTE_PGM_RSRC2:TGID_Y_EN: 0
; COMPUTE_PGM_RSRC2:TGID_Z_EN: 0
; COMPUTE_PGM_RSRC2:TIDIG_COMP_CNT: 0
	.section	.text._ZN9rocsparseL32bsr2csr_block_per_row_2_7_kernelILj256ELj4EdiiEEv20rocsparse_direction_T3_S2_21rocsparse_index_base_PKT1_PKT2_PKS2_S2_S3_PS4_PS7_PS2_,"axG",@progbits,_ZN9rocsparseL32bsr2csr_block_per_row_2_7_kernelILj256ELj4EdiiEEv20rocsparse_direction_T3_S2_21rocsparse_index_base_PKT1_PKT2_PKS2_S2_S3_PS4_PS7_PS2_,comdat
	.globl	_ZN9rocsparseL32bsr2csr_block_per_row_2_7_kernelILj256ELj4EdiiEEv20rocsparse_direction_T3_S2_21rocsparse_index_base_PKT1_PKT2_PKS2_S2_S3_PS4_PS7_PS2_ ; -- Begin function _ZN9rocsparseL32bsr2csr_block_per_row_2_7_kernelILj256ELj4EdiiEEv20rocsparse_direction_T3_S2_21rocsparse_index_base_PKT1_PKT2_PKS2_S2_S3_PS4_PS7_PS2_
	.p2align	8
	.type	_ZN9rocsparseL32bsr2csr_block_per_row_2_7_kernelILj256ELj4EdiiEEv20rocsparse_direction_T3_S2_21rocsparse_index_base_PKT1_PKT2_PKS2_S2_S3_PS4_PS7_PS2_,@function
_ZN9rocsparseL32bsr2csr_block_per_row_2_7_kernelILj256ELj4EdiiEEv20rocsparse_direction_T3_S2_21rocsparse_index_base_PKT1_PKT2_PKS2_S2_S3_PS4_PS7_PS2_: ; @_ZN9rocsparseL32bsr2csr_block_per_row_2_7_kernelILj256ELj4EdiiEEv20rocsparse_direction_T3_S2_21rocsparse_index_base_PKT1_PKT2_PKS2_S2_S3_PS4_PS7_PS2_
; %bb.0:
	s_load_dwordx2 s[0:1], s[4:5], 0x18
	s_ashr_i32 s7, s6, 31
	s_clause 0x1
	s_load_dword s10, s[4:5], 0x2c
	s_load_dwordx2 s[2:3], s[4:5], 0x38
	s_lshl_b64 s[8:9], s[6:7], 2
	v_or_b32_e32 v1, s6, v0
	s_mov_b32 s7, exec_lo
	s_waitcnt lgkmcnt(0)
	s_add_u32 s0, s0, s8
	s_addc_u32 s1, s1, s9
	s_load_dwordx2 s[0:1], s[0:1], 0x0
	v_cmpx_eq_u32_e32 0, v1
	s_cbranch_execz .LBB211_2
; %bb.1:
	v_mov_b32_e32 v1, 0
	v_mov_b32_e32 v2, s10
	global_store_dword v1, v2, s[2:3]
.LBB211_2:
	s_or_b32 exec_lo, exec_lo, s7
	s_load_dword s11, s[4:5], 0xc
	v_and_b32_e32 v5, 3, v0
	v_mov_b32_e32 v2, 0
	v_lshrrev_b32_e32 v4, 2, v0
	v_lshl_or_b32 v1, s6, 2, v5
	v_add_nc_u32_e32 v1, 1, v1
	v_lshlrev_b64 v[6:7], 2, v[1:2]
	s_waitcnt lgkmcnt(0)
	s_sub_i32 s6, s0, s11
	s_sub_i32 s12, s1, s11
	s_lshl_b32 s7, s6, 4
	s_sub_i32 s1, s12, s6
	v_add_co_u32 v6, vcc_lo, s2, v6
	s_lshl_b32 s1, s1, 2
	v_add_nc_u32_e32 v0, s6, v4
	v_mul_lo_u32 v3, s1, v5
	s_add_i32 s1, s1, s10
	v_add_co_ci_u32_e64 v7, null, s3, v7, vcc_lo
	v_add3_u32 v1, s1, s7, v3
	s_mov_b32 s1, exec_lo
	global_store_dword v[6:7], v1, off
	v_cmpx_gt_i32_e64 s12, v0
	s_cbranch_execz .LBB211_5
; %bb.3:
	s_clause 0x4
	s_load_dwordx2 s[2:3], s[4:5], 0x20
	s_load_dwordx2 s[6:7], s[4:5], 0x30
	s_load_dword s1, s[4:5], 0x0
	s_load_dwordx2 s[8:9], s[4:5], 0x10
	s_load_dwordx2 s[4:5], s[4:5], 0x40
	v_lshlrev_b32_e32 v1, 2, v4
	v_lshlrev_b32_e32 v6, 2, v5
	;; [unrolled: 1-line block ×3, first 2 shown]
	s_mov_b32 s13, 0
	s_waitcnt lgkmcnt(0)
	s_cmp_eq_u32 s1, 0
	s_cselect_b32 vcc_lo, -1, 0
	s_lshl_b32 s0, s0, 4
	v_add3_u32 v1, v3, s0, v1
	s_lshl_b32 s0, s11, 4
	v_subrev_nc_u32_e32 v3, s0, v1
.LBB211_4:                              ; =>This Inner Loop Header: Depth=1
	v_ashrrev_i32_e32 v1, 31, v0
	v_add_nc_u32_e32 v4, v5, v7
	v_add_nc_u32_e32 v10, v6, v7
	;; [unrolled: 1-line block ×3, first 2 shown]
	v_lshlrev_b64 v[8:9], 2, v[0:1]
	v_add_nc_u32_e32 v13, 4, v4
	v_cndmask_b32_e32 v1, v4, v10, vcc_lo
	v_add_nc_u32_e32 v12, 1, v10
	v_add_nc_u32_e32 v14, 2, v10
	;; [unrolled: 1-line block ×4, first 2 shown]
	v_lshlrev_b64 v[10:11], 3, v[1:2]
	v_cndmask_b32_e32 v1, v13, v12, vcc_lo
	v_add_co_u32 v8, s0, s2, v8
	v_add_co_ci_u32_e64 v9, null, s3, v9, s0
	v_add_nc_u32_e32 v4, 12, v4
	v_lshlrev_b64 v[12:13], 3, v[1:2]
	v_cndmask_b32_e32 v1, v15, v14, vcc_lo
	global_load_dword v22, v[8:9], off
	v_add_co_u32 v8, s0, s8, v10
	v_add_co_ci_u32_e64 v9, null, s9, v11, s0
	v_lshlrev_b64 v[10:11], 3, v[1:2]
	v_cndmask_b32_e32 v1, v4, v16, vcc_lo
	v_add_co_u32 v12, s0, s8, v12
	v_add_co_ci_u32_e64 v13, null, s9, v13, s0
	v_lshlrev_b64 v[14:15], 3, v[1:2]
	v_add_co_u32 v16, s0, s8, v10
	v_add_co_ci_u32_e64 v17, null, s9, v11, s0
	v_ashrrev_i32_e32 v4, 31, v3
	v_add_co_u32 v14, s0, s8, v14
	v_add_co_ci_u32_e64 v15, null, s9, v15, s0
	s_clause 0x3
	global_load_dwordx2 v[8:9], v[8:9], off
	global_load_dwordx2 v[10:11], v[12:13], off
	global_load_dwordx2 v[12:13], v[16:17], off
	global_load_dwordx2 v[14:15], v[14:15], off
	v_lshlrev_b64 v[16:17], 2, v[3:4]
	v_lshlrev_b64 v[18:19], 3, v[3:4]
	v_add_nc_u32_e32 v0, 64, v0
	v_add_nc_u32_e32 v3, 0x100, v3
	v_add_co_u32 v20, s1, s4, v16
	v_cmp_le_i32_e64 s0, s12, v0
	v_add_co_ci_u32_e64 v21, null, s5, v17, s1
	s_or_b32 s13, s0, s13
	s_waitcnt vmcnt(4)
	v_subrev_nc_u32_e32 v1, s11, v22
	v_add_co_u32 v22, s1, s6, v18
	v_add_co_ci_u32_e64 v23, null, s7, v19, s1
	v_lshl_add_u32 v16, v1, 2, s10
	v_add_nc_u32_e32 v17, 1, v16
	v_add_nc_u32_e32 v18, 2, v16
	;; [unrolled: 1-line block ×3, first 2 shown]
	s_waitcnt vmcnt(2)
	global_store_dwordx4 v[22:23], v[8:11], off
	global_store_dwordx4 v[20:21], v[16:19], off
	s_waitcnt vmcnt(0)
	global_store_dwordx4 v[22:23], v[12:15], off offset:16
	s_andn2_b32 exec_lo, exec_lo, s13
	s_cbranch_execnz .LBB211_4
.LBB211_5:
	s_endpgm
	.section	.rodata,"a",@progbits
	.p2align	6, 0x0
	.amdhsa_kernel _ZN9rocsparseL32bsr2csr_block_per_row_2_7_kernelILj256ELj4EdiiEEv20rocsparse_direction_T3_S2_21rocsparse_index_base_PKT1_PKT2_PKS2_S2_S3_PS4_PS7_PS2_
		.amdhsa_group_segment_fixed_size 0
		.amdhsa_private_segment_fixed_size 0
		.amdhsa_kernarg_size 72
		.amdhsa_user_sgpr_count 6
		.amdhsa_user_sgpr_private_segment_buffer 1
		.amdhsa_user_sgpr_dispatch_ptr 0
		.amdhsa_user_sgpr_queue_ptr 0
		.amdhsa_user_sgpr_kernarg_segment_ptr 1
		.amdhsa_user_sgpr_dispatch_id 0
		.amdhsa_user_sgpr_flat_scratch_init 0
		.amdhsa_user_sgpr_private_segment_size 0
		.amdhsa_wavefront_size32 1
		.amdhsa_uses_dynamic_stack 0
		.amdhsa_system_sgpr_private_segment_wavefront_offset 0
		.amdhsa_system_sgpr_workgroup_id_x 1
		.amdhsa_system_sgpr_workgroup_id_y 0
		.amdhsa_system_sgpr_workgroup_id_z 0
		.amdhsa_system_sgpr_workgroup_info 0
		.amdhsa_system_vgpr_workitem_id 0
		.amdhsa_next_free_vgpr 24
		.amdhsa_next_free_sgpr 14
		.amdhsa_reserve_vcc 1
		.amdhsa_reserve_flat_scratch 0
		.amdhsa_float_round_mode_32 0
		.amdhsa_float_round_mode_16_64 0
		.amdhsa_float_denorm_mode_32 3
		.amdhsa_float_denorm_mode_16_64 3
		.amdhsa_dx10_clamp 1
		.amdhsa_ieee_mode 1
		.amdhsa_fp16_overflow 0
		.amdhsa_workgroup_processor_mode 1
		.amdhsa_memory_ordered 1
		.amdhsa_forward_progress 1
		.amdhsa_shared_vgpr_count 0
		.amdhsa_exception_fp_ieee_invalid_op 0
		.amdhsa_exception_fp_denorm_src 0
		.amdhsa_exception_fp_ieee_div_zero 0
		.amdhsa_exception_fp_ieee_overflow 0
		.amdhsa_exception_fp_ieee_underflow 0
		.amdhsa_exception_fp_ieee_inexact 0
		.amdhsa_exception_int_div_zero 0
	.end_amdhsa_kernel
	.section	.text._ZN9rocsparseL32bsr2csr_block_per_row_2_7_kernelILj256ELj4EdiiEEv20rocsparse_direction_T3_S2_21rocsparse_index_base_PKT1_PKT2_PKS2_S2_S3_PS4_PS7_PS2_,"axG",@progbits,_ZN9rocsparseL32bsr2csr_block_per_row_2_7_kernelILj256ELj4EdiiEEv20rocsparse_direction_T3_S2_21rocsparse_index_base_PKT1_PKT2_PKS2_S2_S3_PS4_PS7_PS2_,comdat
.Lfunc_end211:
	.size	_ZN9rocsparseL32bsr2csr_block_per_row_2_7_kernelILj256ELj4EdiiEEv20rocsparse_direction_T3_S2_21rocsparse_index_base_PKT1_PKT2_PKS2_S2_S3_PS4_PS7_PS2_, .Lfunc_end211-_ZN9rocsparseL32bsr2csr_block_per_row_2_7_kernelILj256ELj4EdiiEEv20rocsparse_direction_T3_S2_21rocsparse_index_base_PKT1_PKT2_PKS2_S2_S3_PS4_PS7_PS2_
                                        ; -- End function
	.set _ZN9rocsparseL32bsr2csr_block_per_row_2_7_kernelILj256ELj4EdiiEEv20rocsparse_direction_T3_S2_21rocsparse_index_base_PKT1_PKT2_PKS2_S2_S3_PS4_PS7_PS2_.num_vgpr, 24
	.set _ZN9rocsparseL32bsr2csr_block_per_row_2_7_kernelILj256ELj4EdiiEEv20rocsparse_direction_T3_S2_21rocsparse_index_base_PKT1_PKT2_PKS2_S2_S3_PS4_PS7_PS2_.num_agpr, 0
	.set _ZN9rocsparseL32bsr2csr_block_per_row_2_7_kernelILj256ELj4EdiiEEv20rocsparse_direction_T3_S2_21rocsparse_index_base_PKT1_PKT2_PKS2_S2_S3_PS4_PS7_PS2_.numbered_sgpr, 14
	.set _ZN9rocsparseL32bsr2csr_block_per_row_2_7_kernelILj256ELj4EdiiEEv20rocsparse_direction_T3_S2_21rocsparse_index_base_PKT1_PKT2_PKS2_S2_S3_PS4_PS7_PS2_.num_named_barrier, 0
	.set _ZN9rocsparseL32bsr2csr_block_per_row_2_7_kernelILj256ELj4EdiiEEv20rocsparse_direction_T3_S2_21rocsparse_index_base_PKT1_PKT2_PKS2_S2_S3_PS4_PS7_PS2_.private_seg_size, 0
	.set _ZN9rocsparseL32bsr2csr_block_per_row_2_7_kernelILj256ELj4EdiiEEv20rocsparse_direction_T3_S2_21rocsparse_index_base_PKT1_PKT2_PKS2_S2_S3_PS4_PS7_PS2_.uses_vcc, 1
	.set _ZN9rocsparseL32bsr2csr_block_per_row_2_7_kernelILj256ELj4EdiiEEv20rocsparse_direction_T3_S2_21rocsparse_index_base_PKT1_PKT2_PKS2_S2_S3_PS4_PS7_PS2_.uses_flat_scratch, 0
	.set _ZN9rocsparseL32bsr2csr_block_per_row_2_7_kernelILj256ELj4EdiiEEv20rocsparse_direction_T3_S2_21rocsparse_index_base_PKT1_PKT2_PKS2_S2_S3_PS4_PS7_PS2_.has_dyn_sized_stack, 0
	.set _ZN9rocsparseL32bsr2csr_block_per_row_2_7_kernelILj256ELj4EdiiEEv20rocsparse_direction_T3_S2_21rocsparse_index_base_PKT1_PKT2_PKS2_S2_S3_PS4_PS7_PS2_.has_recursion, 0
	.set _ZN9rocsparseL32bsr2csr_block_per_row_2_7_kernelILj256ELj4EdiiEEv20rocsparse_direction_T3_S2_21rocsparse_index_base_PKT1_PKT2_PKS2_S2_S3_PS4_PS7_PS2_.has_indirect_call, 0
	.section	.AMDGPU.csdata,"",@progbits
; Kernel info:
; codeLenInByte = 684
; TotalNumSgprs: 16
; NumVgprs: 24
; ScratchSize: 0
; MemoryBound: 0
; FloatMode: 240
; IeeeMode: 1
; LDSByteSize: 0 bytes/workgroup (compile time only)
; SGPRBlocks: 0
; VGPRBlocks: 2
; NumSGPRsForWavesPerEU: 16
; NumVGPRsForWavesPerEU: 24
; Occupancy: 16
; WaveLimiterHint : 0
; COMPUTE_PGM_RSRC2:SCRATCH_EN: 0
; COMPUTE_PGM_RSRC2:USER_SGPR: 6
; COMPUTE_PGM_RSRC2:TRAP_HANDLER: 0
; COMPUTE_PGM_RSRC2:TGID_X_EN: 1
; COMPUTE_PGM_RSRC2:TGID_Y_EN: 0
; COMPUTE_PGM_RSRC2:TGID_Z_EN: 0
; COMPUTE_PGM_RSRC2:TIDIG_COMP_CNT: 0
	.section	.text._ZN9rocsparseL32bsr2csr_block_per_row_2_7_kernelILj256ELj5EdiiEEv20rocsparse_direction_T3_S2_21rocsparse_index_base_PKT1_PKT2_PKS2_S2_S3_PS4_PS7_PS2_,"axG",@progbits,_ZN9rocsparseL32bsr2csr_block_per_row_2_7_kernelILj256ELj5EdiiEEv20rocsparse_direction_T3_S2_21rocsparse_index_base_PKT1_PKT2_PKS2_S2_S3_PS4_PS7_PS2_,comdat
	.globl	_ZN9rocsparseL32bsr2csr_block_per_row_2_7_kernelILj256ELj5EdiiEEv20rocsparse_direction_T3_S2_21rocsparse_index_base_PKT1_PKT2_PKS2_S2_S3_PS4_PS7_PS2_ ; -- Begin function _ZN9rocsparseL32bsr2csr_block_per_row_2_7_kernelILj256ELj5EdiiEEv20rocsparse_direction_T3_S2_21rocsparse_index_base_PKT1_PKT2_PKS2_S2_S3_PS4_PS7_PS2_
	.p2align	8
	.type	_ZN9rocsparseL32bsr2csr_block_per_row_2_7_kernelILj256ELj5EdiiEEv20rocsparse_direction_T3_S2_21rocsparse_index_base_PKT1_PKT2_PKS2_S2_S3_PS4_PS7_PS2_,@function
_ZN9rocsparseL32bsr2csr_block_per_row_2_7_kernelILj256ELj5EdiiEEv20rocsparse_direction_T3_S2_21rocsparse_index_base_PKT1_PKT2_PKS2_S2_S3_PS4_PS7_PS2_: ; @_ZN9rocsparseL32bsr2csr_block_per_row_2_7_kernelILj256ELj5EdiiEEv20rocsparse_direction_T3_S2_21rocsparse_index_base_PKT1_PKT2_PKS2_S2_S3_PS4_PS7_PS2_
; %bb.0:
	s_clause 0x2
	s_load_dwordx2 s[8:9], s[4:5], 0x18
	s_load_dword s2, s[4:5], 0x2c
	s_load_dwordx2 s[0:1], s[4:5], 0x38
	s_ashr_i32 s7, s6, 31
	v_or_b32_e32 v1, s6, v0
	s_lshl_b64 s[10:11], s[6:7], 2
	s_mov_b32 s3, exec_lo
	s_waitcnt lgkmcnt(0)
	s_add_u32 s8, s8, s10
	s_addc_u32 s9, s9, s11
	v_cmpx_eq_u32_e32 0, v1
	s_cbranch_execz .LBB212_2
; %bb.1:
	v_mov_b32_e32 v1, 0
	v_mov_b32_e32 v2, s2
	global_store_dword v1, v2, s[0:1]
.LBB212_2:
	s_or_b32 exec_lo, exec_lo, s3
	v_and_b32_e32 v3, 7, v0
	s_mov_b32 s3, exec_lo
	v_cmpx_gt_u32_e32 5, v3
	s_cbranch_execz .LBB212_6
; %bb.3:
	s_load_dwordx2 s[12:13], s[8:9], 0x0
	s_load_dword s3, s[4:5], 0xc
	s_mul_i32 s6, s6, 5
	v_mov_b32_e32 v2, 0
	v_add3_u32 v1, v3, s6, 1
	v_lshrrev_b32_e32 v5, 3, v0
	v_lshlrev_b64 v[6:7], 2, v[1:2]
	v_add_co_u32 v6, vcc_lo, s0, v6
	v_add_co_ci_u32_e64 v7, null, s1, v7, vcc_lo
	s_waitcnt lgkmcnt(0)
	s_sub_i32 s7, s12, s3
	s_sub_i32 s13, s13, s3
	v_add_nc_u32_e32 v0, s7, v5
	s_sub_i32 s8, s13, s7
	s_mul_i32 s6, s7, 25
	s_mul_i32 s8, s8, 5
	v_mul_lo_u32 v4, s8, v3
	s_add_i32 s8, s8, s2
	v_cmp_gt_i32_e32 vcc_lo, s13, v0
	v_add3_u32 v1, s8, s6, v4
	global_store_dword v[6:7], v1, off
	s_and_b32 exec_lo, exec_lo, vcc_lo
	s_cbranch_execz .LBB212_6
; %bb.4:
	s_clause 0x2
	s_load_dwordx2 s[6:7], s[4:5], 0x20
	s_load_dwordx2 s[8:9], s[4:5], 0x30
	s_load_dword s0, s[4:5], 0x0
	v_add_nc_u32_e32 v1, s12, v5
	s_clause 0x1
	s_load_dwordx2 s[10:11], s[4:5], 0x10
	s_load_dwordx2 s[4:5], s[4:5], 0x40
	v_mul_u32_u24_e32 v5, 5, v5
	s_mul_i32 s1, s12, 25
	s_mov_b32 s12, 0
	v_mul_lo_u32 v1, v1, 25
	s_mov_b32 s14, 0
	v_add3_u32 v5, v4, s1, v5
	s_mul_i32 s1, s3, 25
	v_mad_u32_u24 v1, v3, 5, v1
	v_mad_u64_u32 v[3:4], null, v0, 25, v[3:4]
	v_subrev_nc_u32_e32 v4, s1, v5
	v_subrev_nc_u32_e32 v6, s1, v1
	s_waitcnt lgkmcnt(0)
	s_cmp_eq_u32 s0, 0
	s_cselect_b32 vcc_lo, -1, 0
.LBB212_5:                              ; =>This Inner Loop Header: Depth=1
	v_ashrrev_i32_e32 v1, 31, v0
	v_add_nc_u32_e32 v5, s14, v3
	v_add_nc_u32_e32 v9, s14, v6
	s_addk_i32 s14, 0x320
	v_lshlrev_b64 v[7:8], 2, v[0:1]
	v_add_nc_u32_e32 v12, 5, v5
	v_cndmask_b32_e32 v1, v5, v9, vcc_lo
	v_add_nc_u32_e32 v11, 1, v9
	v_add_nc_u32_e32 v13, 2, v9
	;; [unrolled: 1-line block ×5, first 2 shown]
	v_lshlrev_b64 v[9:10], 3, v[1:2]
	v_cndmask_b32_e32 v1, v12, v11, vcc_lo
	v_add_co_u32 v7, s0, s6, v7
	v_add_nc_u32_e32 v16, 15, v5
	v_add_co_ci_u32_e64 v8, null, s7, v8, s0
	v_lshlrev_b64 v[11:12], 3, v[1:2]
	v_cndmask_b32_e32 v1, v14, v13, vcc_lo
	v_add_co_u32 v9, s0, s10, v9
	v_add_co_ci_u32_e64 v10, null, s11, v10, s0
	v_add_nc_u32_e32 v5, 20, v5
	v_lshlrev_b64 v[13:14], 3, v[1:2]
	v_cndmask_b32_e32 v1, v16, v15, vcc_lo
	global_load_dword v24, v[7:8], off
	global_load_dwordx2 v[7:8], v[9:10], off
	v_add_co_u32 v9, s0, s10, v11
	v_add_co_ci_u32_e64 v10, null, s11, v12, s0
	v_lshlrev_b64 v[11:12], 3, v[1:2]
	v_cndmask_b32_e32 v1, v5, v17, vcc_lo
	v_add_co_u32 v13, s0, s10, v13
	v_add_co_ci_u32_e64 v14, null, s11, v14, s0
	v_lshlrev_b64 v[15:16], 3, v[1:2]
	v_add_co_u32 v17, s0, s10, v11
	v_add_co_ci_u32_e64 v18, null, s11, v12, s0
	v_ashrrev_i32_e32 v5, 31, v4
	v_add_co_u32 v15, s0, s10, v15
	v_add_co_ci_u32_e64 v16, null, s11, v16, s0
	s_clause 0x3
	global_load_dwordx2 v[9:10], v[9:10], off
	global_load_dwordx2 v[11:12], v[13:14], off
	;; [unrolled: 1-line block ×4, first 2 shown]
	v_lshlrev_b64 v[15:16], 2, v[4:5]
	v_lshlrev_b64 v[17:18], 3, v[4:5]
	v_add_nc_u32_e32 v0, 32, v0
	v_add_nc_u32_e32 v4, 0xa0, v4
	v_add_co_u32 v21, s1, s4, v15
	v_add_co_ci_u32_e64 v22, null, s5, v16, s1
	v_cmp_le_i32_e64 s0, s13, v0
	v_add_co_u32 v23, s1, s8, v17
	s_or_b32 s12, s0, s12
	s_waitcnt vmcnt(5)
	v_subrev_nc_u32_e32 v1, s3, v24
	v_add_co_ci_u32_e64 v24, null, s9, v18, s1
	v_mad_u64_u32 v[15:16], null, v1, 5, s[2:3]
	v_add_nc_u32_e32 v16, 1, v15
	v_add_nc_u32_e32 v17, 2, v15
	;; [unrolled: 1-line block ×4, first 2 shown]
	s_waitcnt vmcnt(3)
	global_store_dwordx4 v[23:24], v[7:10], off
	global_store_dwordx4 v[21:22], v[15:18], off
	global_store_dword v[21:22], v1, off offset:16
	s_waitcnt vmcnt(1)
	global_store_dwordx4 v[23:24], v[11:14], off offset:16
	s_waitcnt vmcnt(0)
	global_store_dwordx2 v[23:24], v[19:20], off offset:32
	s_andn2_b32 exec_lo, exec_lo, s12
	s_cbranch_execnz .LBB212_5
.LBB212_6:
	s_endpgm
	.section	.rodata,"a",@progbits
	.p2align	6, 0x0
	.amdhsa_kernel _ZN9rocsparseL32bsr2csr_block_per_row_2_7_kernelILj256ELj5EdiiEEv20rocsparse_direction_T3_S2_21rocsparse_index_base_PKT1_PKT2_PKS2_S2_S3_PS4_PS7_PS2_
		.amdhsa_group_segment_fixed_size 0
		.amdhsa_private_segment_fixed_size 0
		.amdhsa_kernarg_size 72
		.amdhsa_user_sgpr_count 6
		.amdhsa_user_sgpr_private_segment_buffer 1
		.amdhsa_user_sgpr_dispatch_ptr 0
		.amdhsa_user_sgpr_queue_ptr 0
		.amdhsa_user_sgpr_kernarg_segment_ptr 1
		.amdhsa_user_sgpr_dispatch_id 0
		.amdhsa_user_sgpr_flat_scratch_init 0
		.amdhsa_user_sgpr_private_segment_size 0
		.amdhsa_wavefront_size32 1
		.amdhsa_uses_dynamic_stack 0
		.amdhsa_system_sgpr_private_segment_wavefront_offset 0
		.amdhsa_system_sgpr_workgroup_id_x 1
		.amdhsa_system_sgpr_workgroup_id_y 0
		.amdhsa_system_sgpr_workgroup_id_z 0
		.amdhsa_system_sgpr_workgroup_info 0
		.amdhsa_system_vgpr_workitem_id 0
		.amdhsa_next_free_vgpr 25
		.amdhsa_next_free_sgpr 15
		.amdhsa_reserve_vcc 1
		.amdhsa_reserve_flat_scratch 0
		.amdhsa_float_round_mode_32 0
		.amdhsa_float_round_mode_16_64 0
		.amdhsa_float_denorm_mode_32 3
		.amdhsa_float_denorm_mode_16_64 3
		.amdhsa_dx10_clamp 1
		.amdhsa_ieee_mode 1
		.amdhsa_fp16_overflow 0
		.amdhsa_workgroup_processor_mode 1
		.amdhsa_memory_ordered 1
		.amdhsa_forward_progress 1
		.amdhsa_shared_vgpr_count 0
		.amdhsa_exception_fp_ieee_invalid_op 0
		.amdhsa_exception_fp_denorm_src 0
		.amdhsa_exception_fp_ieee_div_zero 0
		.amdhsa_exception_fp_ieee_overflow 0
		.amdhsa_exception_fp_ieee_underflow 0
		.amdhsa_exception_fp_ieee_inexact 0
		.amdhsa_exception_int_div_zero 0
	.end_amdhsa_kernel
	.section	.text._ZN9rocsparseL32bsr2csr_block_per_row_2_7_kernelILj256ELj5EdiiEEv20rocsparse_direction_T3_S2_21rocsparse_index_base_PKT1_PKT2_PKS2_S2_S3_PS4_PS7_PS2_,"axG",@progbits,_ZN9rocsparseL32bsr2csr_block_per_row_2_7_kernelILj256ELj5EdiiEEv20rocsparse_direction_T3_S2_21rocsparse_index_base_PKT1_PKT2_PKS2_S2_S3_PS4_PS7_PS2_,comdat
.Lfunc_end212:
	.size	_ZN9rocsparseL32bsr2csr_block_per_row_2_7_kernelILj256ELj5EdiiEEv20rocsparse_direction_T3_S2_21rocsparse_index_base_PKT1_PKT2_PKS2_S2_S3_PS4_PS7_PS2_, .Lfunc_end212-_ZN9rocsparseL32bsr2csr_block_per_row_2_7_kernelILj256ELj5EdiiEEv20rocsparse_direction_T3_S2_21rocsparse_index_base_PKT1_PKT2_PKS2_S2_S3_PS4_PS7_PS2_
                                        ; -- End function
	.set _ZN9rocsparseL32bsr2csr_block_per_row_2_7_kernelILj256ELj5EdiiEEv20rocsparse_direction_T3_S2_21rocsparse_index_base_PKT1_PKT2_PKS2_S2_S3_PS4_PS7_PS2_.num_vgpr, 25
	.set _ZN9rocsparseL32bsr2csr_block_per_row_2_7_kernelILj256ELj5EdiiEEv20rocsparse_direction_T3_S2_21rocsparse_index_base_PKT1_PKT2_PKS2_S2_S3_PS4_PS7_PS2_.num_agpr, 0
	.set _ZN9rocsparseL32bsr2csr_block_per_row_2_7_kernelILj256ELj5EdiiEEv20rocsparse_direction_T3_S2_21rocsparse_index_base_PKT1_PKT2_PKS2_S2_S3_PS4_PS7_PS2_.numbered_sgpr, 15
	.set _ZN9rocsparseL32bsr2csr_block_per_row_2_7_kernelILj256ELj5EdiiEEv20rocsparse_direction_T3_S2_21rocsparse_index_base_PKT1_PKT2_PKS2_S2_S3_PS4_PS7_PS2_.num_named_barrier, 0
	.set _ZN9rocsparseL32bsr2csr_block_per_row_2_7_kernelILj256ELj5EdiiEEv20rocsparse_direction_T3_S2_21rocsparse_index_base_PKT1_PKT2_PKS2_S2_S3_PS4_PS7_PS2_.private_seg_size, 0
	.set _ZN9rocsparseL32bsr2csr_block_per_row_2_7_kernelILj256ELj5EdiiEEv20rocsparse_direction_T3_S2_21rocsparse_index_base_PKT1_PKT2_PKS2_S2_S3_PS4_PS7_PS2_.uses_vcc, 1
	.set _ZN9rocsparseL32bsr2csr_block_per_row_2_7_kernelILj256ELj5EdiiEEv20rocsparse_direction_T3_S2_21rocsparse_index_base_PKT1_PKT2_PKS2_S2_S3_PS4_PS7_PS2_.uses_flat_scratch, 0
	.set _ZN9rocsparseL32bsr2csr_block_per_row_2_7_kernelILj256ELj5EdiiEEv20rocsparse_direction_T3_S2_21rocsparse_index_base_PKT1_PKT2_PKS2_S2_S3_PS4_PS7_PS2_.has_dyn_sized_stack, 0
	.set _ZN9rocsparseL32bsr2csr_block_per_row_2_7_kernelILj256ELj5EdiiEEv20rocsparse_direction_T3_S2_21rocsparse_index_base_PKT1_PKT2_PKS2_S2_S3_PS4_PS7_PS2_.has_recursion, 0
	.set _ZN9rocsparseL32bsr2csr_block_per_row_2_7_kernelILj256ELj5EdiiEEv20rocsparse_direction_T3_S2_21rocsparse_index_base_PKT1_PKT2_PKS2_S2_S3_PS4_PS7_PS2_.has_indirect_call, 0
	.section	.AMDGPU.csdata,"",@progbits
; Kernel info:
; codeLenInByte = 788
; TotalNumSgprs: 17
; NumVgprs: 25
; ScratchSize: 0
; MemoryBound: 0
; FloatMode: 240
; IeeeMode: 1
; LDSByteSize: 0 bytes/workgroup (compile time only)
; SGPRBlocks: 0
; VGPRBlocks: 3
; NumSGPRsForWavesPerEU: 17
; NumVGPRsForWavesPerEU: 25
; Occupancy: 16
; WaveLimiterHint : 1
; COMPUTE_PGM_RSRC2:SCRATCH_EN: 0
; COMPUTE_PGM_RSRC2:USER_SGPR: 6
; COMPUTE_PGM_RSRC2:TRAP_HANDLER: 0
; COMPUTE_PGM_RSRC2:TGID_X_EN: 1
; COMPUTE_PGM_RSRC2:TGID_Y_EN: 0
; COMPUTE_PGM_RSRC2:TGID_Z_EN: 0
; COMPUTE_PGM_RSRC2:TIDIG_COMP_CNT: 0
	.section	.text._ZN9rocsparseL32bsr2csr_block_per_row_2_7_kernelILj256ELj6EdiiEEv20rocsparse_direction_T3_S2_21rocsparse_index_base_PKT1_PKT2_PKS2_S2_S3_PS4_PS7_PS2_,"axG",@progbits,_ZN9rocsparseL32bsr2csr_block_per_row_2_7_kernelILj256ELj6EdiiEEv20rocsparse_direction_T3_S2_21rocsparse_index_base_PKT1_PKT2_PKS2_S2_S3_PS4_PS7_PS2_,comdat
	.globl	_ZN9rocsparseL32bsr2csr_block_per_row_2_7_kernelILj256ELj6EdiiEEv20rocsparse_direction_T3_S2_21rocsparse_index_base_PKT1_PKT2_PKS2_S2_S3_PS4_PS7_PS2_ ; -- Begin function _ZN9rocsparseL32bsr2csr_block_per_row_2_7_kernelILj256ELj6EdiiEEv20rocsparse_direction_T3_S2_21rocsparse_index_base_PKT1_PKT2_PKS2_S2_S3_PS4_PS7_PS2_
	.p2align	8
	.type	_ZN9rocsparseL32bsr2csr_block_per_row_2_7_kernelILj256ELj6EdiiEEv20rocsparse_direction_T3_S2_21rocsparse_index_base_PKT1_PKT2_PKS2_S2_S3_PS4_PS7_PS2_,@function
_ZN9rocsparseL32bsr2csr_block_per_row_2_7_kernelILj256ELj6EdiiEEv20rocsparse_direction_T3_S2_21rocsparse_index_base_PKT1_PKT2_PKS2_S2_S3_PS4_PS7_PS2_: ; @_ZN9rocsparseL32bsr2csr_block_per_row_2_7_kernelILj256ELj6EdiiEEv20rocsparse_direction_T3_S2_21rocsparse_index_base_PKT1_PKT2_PKS2_S2_S3_PS4_PS7_PS2_
; %bb.0:
	s_clause 0x2
	s_load_dwordx2 s[8:9], s[4:5], 0x18
	s_load_dword s2, s[4:5], 0x2c
	s_load_dwordx2 s[0:1], s[4:5], 0x38
	s_ashr_i32 s7, s6, 31
	v_or_b32_e32 v1, s6, v0
	s_lshl_b64 s[10:11], s[6:7], 2
	s_mov_b32 s3, exec_lo
	s_waitcnt lgkmcnt(0)
	s_add_u32 s8, s8, s10
	s_addc_u32 s9, s9, s11
	v_cmpx_eq_u32_e32 0, v1
	s_cbranch_execz .LBB213_2
; %bb.1:
	v_mov_b32_e32 v1, 0
	v_mov_b32_e32 v2, s2
	global_store_dword v1, v2, s[0:1]
.LBB213_2:
	s_or_b32 exec_lo, exec_lo, s3
	v_and_b32_e32 v5, 7, v0
	s_mov_b32 s3, exec_lo
	v_cmpx_gt_u32_e32 6, v5
	s_cbranch_execz .LBB213_6
; %bb.3:
	s_load_dwordx2 s[12:13], s[8:9], 0x0
	s_load_dword s3, s[4:5], 0xc
	s_mul_i32 s6, s6, 6
	v_mov_b32_e32 v2, 0
	v_add3_u32 v1, v5, s6, 1
	v_lshrrev_b32_e32 v4, 3, v0
	v_lshlrev_b64 v[6:7], 2, v[1:2]
	v_add_co_u32 v6, vcc_lo, s0, v6
	v_add_co_ci_u32_e64 v7, null, s1, v7, vcc_lo
	s_waitcnt lgkmcnt(0)
	s_sub_i32 s7, s12, s3
	s_sub_i32 s13, s13, s3
	v_add_nc_u32_e32 v0, s7, v4
	s_sub_i32 s8, s13, s7
	s_mul_i32 s6, s7, 36
	s_mul_i32 s8, s8, 6
	v_mul_lo_u32 v3, s8, v5
	s_add_i32 s8, s8, s2
	v_cmp_gt_i32_e32 vcc_lo, s13, v0
	v_add3_u32 v1, s8, s6, v3
	global_store_dword v[6:7], v1, off
	s_and_b32 exec_lo, exec_lo, vcc_lo
	s_cbranch_execz .LBB213_6
; %bb.4:
	s_clause 0x4
	s_load_dwordx2 s[6:7], s[4:5], 0x20
	s_load_dwordx2 s[8:9], s[4:5], 0x30
	s_load_dword s0, s[4:5], 0x0
	s_load_dwordx2 s[10:11], s[4:5], 0x10
	s_load_dwordx2 s[4:5], s[4:5], 0x40
	v_mul_u32_u24_e32 v1, 6, v4
	s_mul_i32 s1, s12, 36
	s_mov_b32 s12, 0
	v_add3_u32 v1, v3, s1, v1
	v_mad_u64_u32 v[3:4], null, v0, 36, v[5:6]
	s_mul_i32 s1, s3, 36
	v_mul_u32_u24_e32 v6, 5, v5
	v_subrev_nc_u32_e32 v4, s1, v1
	s_waitcnt lgkmcnt(0)
	s_cmp_eq_u32 s0, 0
	s_cselect_b32 vcc_lo, -1, 0
.LBB213_5:                              ; =>This Inner Loop Header: Depth=1
	v_ashrrev_i32_e32 v1, 31, v0
	v_add_nc_u32_e32 v5, v6, v3
	v_add_nc_u32_e32 v11, 6, v3
	;; [unrolled: 1-line block ×4, first 2 shown]
	v_lshlrev_b64 v[7:8], 2, v[0:1]
	v_cndmask_b32_e32 v1, v3, v5, vcc_lo
	v_add_nc_u32_e32 v12, 1, v5
	v_add_nc_u32_e32 v14, 2, v5
	;; [unrolled: 1-line block ×4, first 2 shown]
	v_lshlrev_b64 v[9:10], 3, v[1:2]
	v_cndmask_b32_e32 v1, v11, v12, vcc_lo
	v_add_co_u32 v7, s0, s6, v7
	v_add_co_ci_u32_e64 v8, null, s7, v8, s0
	v_lshlrev_b64 v[11:12], 3, v[1:2]
	v_cndmask_b32_e32 v1, v13, v14, vcc_lo
	v_add_co_u32 v9, s0, s10, v9
	v_add_co_ci_u32_e64 v10, null, s11, v10, s0
	v_add_nc_u32_e32 v19, 4, v5
	v_lshlrev_b64 v[13:14], 3, v[1:2]
	v_cndmask_b32_e32 v1, v15, v18, vcc_lo
	global_load_dword v27, v[7:8], off
	global_load_dwordx2 v[7:8], v[9:10], off
	v_add_co_u32 v9, s0, s10, v11
	v_add_nc_u32_e32 v17, 30, v3
	v_add_nc_u32_e32 v5, 5, v5
	v_add_co_ci_u32_e64 v10, null, s11, v12, s0
	v_lshlrev_b64 v[11:12], 3, v[1:2]
	v_cndmask_b32_e32 v1, v16, v19, vcc_lo
	v_add_co_u32 v13, s0, s10, v13
	v_add_co_ci_u32_e64 v14, null, s11, v14, s0
	v_lshlrev_b64 v[15:16], 3, v[1:2]
	v_cndmask_b32_e32 v1, v17, v5, vcc_lo
	v_add_co_u32 v17, s0, s10, v11
	v_add_co_ci_u32_e64 v18, null, s11, v12, s0
	v_lshlrev_b64 v[11:12], 3, v[1:2]
	v_add_co_u32 v15, s0, s10, v15
	v_add_co_ci_u32_e64 v16, null, s11, v16, s0
	v_ashrrev_i32_e32 v5, 31, v4
	v_add_co_u32 v19, s0, s10, v11
	v_add_co_ci_u32_e64 v20, null, s11, v12, s0
	s_clause 0x4
	global_load_dwordx2 v[9:10], v[9:10], off
	global_load_dwordx2 v[11:12], v[13:14], off
	;; [unrolled: 1-line block ×5, first 2 shown]
	v_lshlrev_b64 v[19:20], 2, v[4:5]
	v_lshlrev_b64 v[21:22], 3, v[4:5]
	v_add_nc_u32_e32 v0, 32, v0
	v_add_nc_u32_e32 v3, 0x480, v3
	;; [unrolled: 1-line block ×3, first 2 shown]
	v_add_co_u32 v23, s1, s4, v19
	v_add_co_ci_u32_e64 v24, null, s5, v20, s1
	v_cmp_le_i32_e64 s0, s13, v0
	v_add_co_u32 v25, s1, s8, v21
	v_add_co_ci_u32_e64 v26, null, s9, v22, s1
	s_or_b32 s12, s0, s12
	s_waitcnt vmcnt(6)
	v_subrev_nc_u32_e32 v1, s3, v27
	v_mad_u64_u32 v[19:20], null, v1, 6, s[2:3]
	v_add_nc_u32_e32 v20, 1, v19
	v_add_nc_u32_e32 v21, 2, v19
	;; [unrolled: 1-line block ×5, first 2 shown]
	s_waitcnt vmcnt(4)
	global_store_dwordx4 v[25:26], v[7:10], off
	global_store_dwordx4 v[23:24], v[19:22], off
	global_store_dwordx2 v[23:24], v[27:28], off offset:16
	s_waitcnt vmcnt(2)
	global_store_dwordx4 v[25:26], v[11:14], off offset:16
	s_waitcnt vmcnt(0)
	global_store_dwordx4 v[25:26], v[15:18], off offset:32
	s_andn2_b32 exec_lo, exec_lo, s12
	s_cbranch_execnz .LBB213_5
.LBB213_6:
	s_endpgm
	.section	.rodata,"a",@progbits
	.p2align	6, 0x0
	.amdhsa_kernel _ZN9rocsparseL32bsr2csr_block_per_row_2_7_kernelILj256ELj6EdiiEEv20rocsparse_direction_T3_S2_21rocsparse_index_base_PKT1_PKT2_PKS2_S2_S3_PS4_PS7_PS2_
		.amdhsa_group_segment_fixed_size 0
		.amdhsa_private_segment_fixed_size 0
		.amdhsa_kernarg_size 72
		.amdhsa_user_sgpr_count 6
		.amdhsa_user_sgpr_private_segment_buffer 1
		.amdhsa_user_sgpr_dispatch_ptr 0
		.amdhsa_user_sgpr_queue_ptr 0
		.amdhsa_user_sgpr_kernarg_segment_ptr 1
		.amdhsa_user_sgpr_dispatch_id 0
		.amdhsa_user_sgpr_flat_scratch_init 0
		.amdhsa_user_sgpr_private_segment_size 0
		.amdhsa_wavefront_size32 1
		.amdhsa_uses_dynamic_stack 0
		.amdhsa_system_sgpr_private_segment_wavefront_offset 0
		.amdhsa_system_sgpr_workgroup_id_x 1
		.amdhsa_system_sgpr_workgroup_id_y 0
		.amdhsa_system_sgpr_workgroup_id_z 0
		.amdhsa_system_sgpr_workgroup_info 0
		.amdhsa_system_vgpr_workitem_id 0
		.amdhsa_next_free_vgpr 29
		.amdhsa_next_free_sgpr 14
		.amdhsa_reserve_vcc 1
		.amdhsa_reserve_flat_scratch 0
		.amdhsa_float_round_mode_32 0
		.amdhsa_float_round_mode_16_64 0
		.amdhsa_float_denorm_mode_32 3
		.amdhsa_float_denorm_mode_16_64 3
		.amdhsa_dx10_clamp 1
		.amdhsa_ieee_mode 1
		.amdhsa_fp16_overflow 0
		.amdhsa_workgroup_processor_mode 1
		.amdhsa_memory_ordered 1
		.amdhsa_forward_progress 1
		.amdhsa_shared_vgpr_count 0
		.amdhsa_exception_fp_ieee_invalid_op 0
		.amdhsa_exception_fp_denorm_src 0
		.amdhsa_exception_fp_ieee_div_zero 0
		.amdhsa_exception_fp_ieee_overflow 0
		.amdhsa_exception_fp_ieee_underflow 0
		.amdhsa_exception_fp_ieee_inexact 0
		.amdhsa_exception_int_div_zero 0
	.end_amdhsa_kernel
	.section	.text._ZN9rocsparseL32bsr2csr_block_per_row_2_7_kernelILj256ELj6EdiiEEv20rocsparse_direction_T3_S2_21rocsparse_index_base_PKT1_PKT2_PKS2_S2_S3_PS4_PS7_PS2_,"axG",@progbits,_ZN9rocsparseL32bsr2csr_block_per_row_2_7_kernelILj256ELj6EdiiEEv20rocsparse_direction_T3_S2_21rocsparse_index_base_PKT1_PKT2_PKS2_S2_S3_PS4_PS7_PS2_,comdat
.Lfunc_end213:
	.size	_ZN9rocsparseL32bsr2csr_block_per_row_2_7_kernelILj256ELj6EdiiEEv20rocsparse_direction_T3_S2_21rocsparse_index_base_PKT1_PKT2_PKS2_S2_S3_PS4_PS7_PS2_, .Lfunc_end213-_ZN9rocsparseL32bsr2csr_block_per_row_2_7_kernelILj256ELj6EdiiEEv20rocsparse_direction_T3_S2_21rocsparse_index_base_PKT1_PKT2_PKS2_S2_S3_PS4_PS7_PS2_
                                        ; -- End function
	.set _ZN9rocsparseL32bsr2csr_block_per_row_2_7_kernelILj256ELj6EdiiEEv20rocsparse_direction_T3_S2_21rocsparse_index_base_PKT1_PKT2_PKS2_S2_S3_PS4_PS7_PS2_.num_vgpr, 29
	.set _ZN9rocsparseL32bsr2csr_block_per_row_2_7_kernelILj256ELj6EdiiEEv20rocsparse_direction_T3_S2_21rocsparse_index_base_PKT1_PKT2_PKS2_S2_S3_PS4_PS7_PS2_.num_agpr, 0
	.set _ZN9rocsparseL32bsr2csr_block_per_row_2_7_kernelILj256ELj6EdiiEEv20rocsparse_direction_T3_S2_21rocsparse_index_base_PKT1_PKT2_PKS2_S2_S3_PS4_PS7_PS2_.numbered_sgpr, 14
	.set _ZN9rocsparseL32bsr2csr_block_per_row_2_7_kernelILj256ELj6EdiiEEv20rocsparse_direction_T3_S2_21rocsparse_index_base_PKT1_PKT2_PKS2_S2_S3_PS4_PS7_PS2_.num_named_barrier, 0
	.set _ZN9rocsparseL32bsr2csr_block_per_row_2_7_kernelILj256ELj6EdiiEEv20rocsparse_direction_T3_S2_21rocsparse_index_base_PKT1_PKT2_PKS2_S2_S3_PS4_PS7_PS2_.private_seg_size, 0
	.set _ZN9rocsparseL32bsr2csr_block_per_row_2_7_kernelILj256ELj6EdiiEEv20rocsparse_direction_T3_S2_21rocsparse_index_base_PKT1_PKT2_PKS2_S2_S3_PS4_PS7_PS2_.uses_vcc, 1
	.set _ZN9rocsparseL32bsr2csr_block_per_row_2_7_kernelILj256ELj6EdiiEEv20rocsparse_direction_T3_S2_21rocsparse_index_base_PKT1_PKT2_PKS2_S2_S3_PS4_PS7_PS2_.uses_flat_scratch, 0
	.set _ZN9rocsparseL32bsr2csr_block_per_row_2_7_kernelILj256ELj6EdiiEEv20rocsparse_direction_T3_S2_21rocsparse_index_base_PKT1_PKT2_PKS2_S2_S3_PS4_PS7_PS2_.has_dyn_sized_stack, 0
	.set _ZN9rocsparseL32bsr2csr_block_per_row_2_7_kernelILj256ELj6EdiiEEv20rocsparse_direction_T3_S2_21rocsparse_index_base_PKT1_PKT2_PKS2_S2_S3_PS4_PS7_PS2_.has_recursion, 0
	.set _ZN9rocsparseL32bsr2csr_block_per_row_2_7_kernelILj256ELj6EdiiEEv20rocsparse_direction_T3_S2_21rocsparse_index_base_PKT1_PKT2_PKS2_S2_S3_PS4_PS7_PS2_.has_indirect_call, 0
	.section	.AMDGPU.csdata,"",@progbits
; Kernel info:
; codeLenInByte = 808
; TotalNumSgprs: 16
; NumVgprs: 29
; ScratchSize: 0
; MemoryBound: 0
; FloatMode: 240
; IeeeMode: 1
; LDSByteSize: 0 bytes/workgroup (compile time only)
; SGPRBlocks: 0
; VGPRBlocks: 3
; NumSGPRsForWavesPerEU: 16
; NumVGPRsForWavesPerEU: 29
; Occupancy: 16
; WaveLimiterHint : 0
; COMPUTE_PGM_RSRC2:SCRATCH_EN: 0
; COMPUTE_PGM_RSRC2:USER_SGPR: 6
; COMPUTE_PGM_RSRC2:TRAP_HANDLER: 0
; COMPUTE_PGM_RSRC2:TGID_X_EN: 1
; COMPUTE_PGM_RSRC2:TGID_Y_EN: 0
; COMPUTE_PGM_RSRC2:TGID_Z_EN: 0
; COMPUTE_PGM_RSRC2:TIDIG_COMP_CNT: 0
	.section	.text._ZN9rocsparseL32bsr2csr_block_per_row_2_7_kernelILj256ELj7EdiiEEv20rocsparse_direction_T3_S2_21rocsparse_index_base_PKT1_PKT2_PKS2_S2_S3_PS4_PS7_PS2_,"axG",@progbits,_ZN9rocsparseL32bsr2csr_block_per_row_2_7_kernelILj256ELj7EdiiEEv20rocsparse_direction_T3_S2_21rocsparse_index_base_PKT1_PKT2_PKS2_S2_S3_PS4_PS7_PS2_,comdat
	.globl	_ZN9rocsparseL32bsr2csr_block_per_row_2_7_kernelILj256ELj7EdiiEEv20rocsparse_direction_T3_S2_21rocsparse_index_base_PKT1_PKT2_PKS2_S2_S3_PS4_PS7_PS2_ ; -- Begin function _ZN9rocsparseL32bsr2csr_block_per_row_2_7_kernelILj256ELj7EdiiEEv20rocsparse_direction_T3_S2_21rocsparse_index_base_PKT1_PKT2_PKS2_S2_S3_PS4_PS7_PS2_
	.p2align	8
	.type	_ZN9rocsparseL32bsr2csr_block_per_row_2_7_kernelILj256ELj7EdiiEEv20rocsparse_direction_T3_S2_21rocsparse_index_base_PKT1_PKT2_PKS2_S2_S3_PS4_PS7_PS2_,@function
_ZN9rocsparseL32bsr2csr_block_per_row_2_7_kernelILj256ELj7EdiiEEv20rocsparse_direction_T3_S2_21rocsparse_index_base_PKT1_PKT2_PKS2_S2_S3_PS4_PS7_PS2_: ; @_ZN9rocsparseL32bsr2csr_block_per_row_2_7_kernelILj256ELj7EdiiEEv20rocsparse_direction_T3_S2_21rocsparse_index_base_PKT1_PKT2_PKS2_S2_S3_PS4_PS7_PS2_
; %bb.0:
	s_clause 0x2
	s_load_dwordx2 s[8:9], s[4:5], 0x18
	s_load_dword s2, s[4:5], 0x2c
	s_load_dwordx2 s[0:1], s[4:5], 0x38
	s_ashr_i32 s7, s6, 31
	v_or_b32_e32 v1, s6, v0
	s_lshl_b64 s[10:11], s[6:7], 2
	s_mov_b32 s3, exec_lo
	s_waitcnt lgkmcnt(0)
	s_add_u32 s8, s8, s10
	s_addc_u32 s9, s9, s11
	v_cmpx_eq_u32_e32 0, v1
	s_cbranch_execz .LBB214_2
; %bb.1:
	v_mov_b32_e32 v1, 0
	v_mov_b32_e32 v2, s2
	global_store_dword v1, v2, s[0:1]
.LBB214_2:
	s_or_b32 exec_lo, exec_lo, s3
	v_and_b32_e32 v5, 7, v0
	s_mov_b32 s3, exec_lo
	v_cmpx_ne_u32_e32 7, v5
	s_cbranch_execz .LBB214_6
; %bb.3:
	s_load_dwordx2 s[12:13], s[8:9], 0x0
	s_load_dword s3, s[4:5], 0xc
	s_mul_i32 s6, s6, 7
	v_mov_b32_e32 v2, 0
	v_add3_u32 v1, v5, s6, 1
	v_lshrrev_b32_e32 v4, 3, v0
	v_lshlrev_b64 v[6:7], 2, v[1:2]
	v_add_co_u32 v6, vcc_lo, s0, v6
	v_add_co_ci_u32_e64 v7, null, s1, v7, vcc_lo
	s_waitcnt lgkmcnt(0)
	s_sub_i32 s7, s12, s3
	s_sub_i32 s13, s13, s3
	v_add_nc_u32_e32 v0, s7, v4
	s_sub_i32 s8, s13, s7
	s_mul_i32 s6, s7, 49
	s_mul_i32 s8, s8, 7
	v_mul_lo_u32 v3, s8, v5
	s_add_i32 s8, s8, s2
	v_cmp_gt_i32_e32 vcc_lo, s13, v0
	v_add3_u32 v1, s8, s6, v3
	global_store_dword v[6:7], v1, off
	s_and_b32 exec_lo, exec_lo, vcc_lo
	s_cbranch_execz .LBB214_6
; %bb.4:
	s_clause 0x4
	s_load_dwordx2 s[6:7], s[4:5], 0x20
	s_load_dwordx2 s[8:9], s[4:5], 0x30
	s_load_dword s0, s[4:5], 0x0
	s_load_dwordx2 s[10:11], s[4:5], 0x10
	s_load_dwordx2 s[4:5], s[4:5], 0x40
	v_mul_u32_u24_e32 v1, 7, v4
	s_mul_i32 s1, s12, 49
	s_mov_b32 s12, 0
	v_add3_u32 v1, v3, s1, v1
	v_mad_u64_u32 v[3:4], null, v0, 49, v[5:6]
	s_mul_i32 s1, s3, 49
	v_mul_u32_u24_e32 v6, 6, v5
	v_subrev_nc_u32_e32 v4, s1, v1
	s_waitcnt lgkmcnt(0)
	s_cmp_eq_u32 s0, 0
	s_cselect_b32 vcc_lo, -1, 0
.LBB214_5:                              ; =>This Inner Loop Header: Depth=1
	v_ashrrev_i32_e32 v1, 31, v0
	v_add_nc_u32_e32 v5, v6, v3
	v_add_nc_u32_e32 v11, 7, v3
	v_add_nc_u32_e32 v13, 14, v3
	v_add_nc_u32_e32 v15, 21, v3
	v_lshlrev_b64 v[7:8], 2, v[0:1]
	v_cndmask_b32_e32 v1, v3, v5, vcc_lo
	v_add_nc_u32_e32 v12, 1, v5
	v_add_nc_u32_e32 v14, 2, v5
	;; [unrolled: 1-line block ×4, first 2 shown]
	v_lshlrev_b64 v[9:10], 3, v[1:2]
	v_cndmask_b32_e32 v1, v11, v12, vcc_lo
	v_add_co_u32 v7, s0, s6, v7
	v_add_co_ci_u32_e64 v8, null, s7, v8, s0
	v_lshlrev_b64 v[11:12], 3, v[1:2]
	v_cndmask_b32_e32 v1, v13, v14, vcc_lo
	v_add_nc_u32_e32 v20, 4, v5
	global_load_dword v29, v[7:8], off
	v_add_co_u32 v7, s0, s10, v9
	v_lshlrev_b64 v[13:14], 3, v[1:2]
	v_cndmask_b32_e32 v1, v15, v18, vcc_lo
	v_add_co_ci_u32_e64 v8, null, s11, v10, s0
	v_add_co_u32 v9, s0, s10, v11
	v_add_nc_u32_e32 v17, 35, v3
	v_add_nc_u32_e32 v21, 5, v5
	v_add_co_ci_u32_e64 v10, null, s11, v12, s0
	v_lshlrev_b64 v[11:12], 3, v[1:2]
	v_cndmask_b32_e32 v1, v16, v20, vcc_lo
	v_add_nc_u32_e32 v19, 42, v3
	v_add_nc_u32_e32 v5, 6, v5
	v_add_co_u32 v13, s0, s10, v13
	v_lshlrev_b64 v[15:16], 3, v[1:2]
	v_cndmask_b32_e32 v1, v17, v21, vcc_lo
	v_add_co_ci_u32_e64 v14, null, s11, v14, s0
	v_add_co_u32 v17, s0, s10, v11
	v_add_co_ci_u32_e64 v18, null, s11, v12, s0
	v_lshlrev_b64 v[11:12], 3, v[1:2]
	v_cndmask_b32_e32 v1, v19, v5, vcc_lo
	v_add_co_u32 v15, s0, s10, v15
	v_add_co_ci_u32_e64 v16, null, s11, v16, s0
	v_lshlrev_b64 v[19:20], 3, v[1:2]
	v_add_co_u32 v21, s0, s10, v11
	s_clause 0x1
	global_load_dwordx2 v[7:8], v[7:8], off
	global_load_dwordx2 v[9:10], v[9:10], off
	v_add_co_ci_u32_e64 v22, null, s11, v12, s0
	v_add_co_u32 v19, s0, s10, v19
	v_add_co_ci_u32_e64 v20, null, s11, v20, s0
	s_clause 0x4
	global_load_dwordx2 v[11:12], v[13:14], off
	global_load_dwordx2 v[13:14], v[17:18], off
	;; [unrolled: 1-line block ×5, first 2 shown]
	v_ashrrev_i32_e32 v5, 31, v4
	v_add_nc_u32_e32 v0, 32, v0
	v_add_nc_u32_e32 v3, 0x620, v3
	v_lshlrev_b64 v[19:20], 2, v[4:5]
	v_lshlrev_b64 v[21:22], 3, v[4:5]
	v_cmp_le_i32_e64 s0, s13, v0
	v_add_nc_u32_e32 v4, 0xe0, v4
	v_add_co_u32 v25, s1, s4, v19
	v_add_co_ci_u32_e64 v26, null, s5, v20, s1
	v_add_co_u32 v27, s1, s8, v21
	v_add_co_ci_u32_e64 v28, null, s9, v22, s1
	s_or_b32 s12, s0, s12
	s_waitcnt vmcnt(7)
	v_subrev_nc_u32_e32 v1, s3, v29
	v_mad_u64_u32 v[19:20], null, v1, 7, s[2:3]
	v_add_nc_u32_e32 v20, 1, v19
	v_add_nc_u32_e32 v21, 2, v19
	;; [unrolled: 1-line block ×3, first 2 shown]
	s_waitcnt vmcnt(5)
	global_store_dwordx4 v[27:28], v[7:10], off
	v_add_nc_u32_e32 v7, 4, v19
	v_add_nc_u32_e32 v8, 5, v19
	;; [unrolled: 1-line block ×3, first 2 shown]
	global_store_dwordx4 v[25:26], v[19:22], off
	global_store_dwordx3 v[25:26], v[7:9], off offset:16
	s_waitcnt vmcnt(3)
	global_store_dwordx4 v[27:28], v[11:14], off offset:16
	s_waitcnt vmcnt(1)
	global_store_dwordx4 v[27:28], v[15:18], off offset:32
	s_waitcnt vmcnt(0)
	global_store_dwordx2 v[27:28], v[23:24], off offset:48
	s_andn2_b32 exec_lo, exec_lo, s12
	s_cbranch_execnz .LBB214_5
.LBB214_6:
	s_endpgm
	.section	.rodata,"a",@progbits
	.p2align	6, 0x0
	.amdhsa_kernel _ZN9rocsparseL32bsr2csr_block_per_row_2_7_kernelILj256ELj7EdiiEEv20rocsparse_direction_T3_S2_21rocsparse_index_base_PKT1_PKT2_PKS2_S2_S3_PS4_PS7_PS2_
		.amdhsa_group_segment_fixed_size 0
		.amdhsa_private_segment_fixed_size 0
		.amdhsa_kernarg_size 72
		.amdhsa_user_sgpr_count 6
		.amdhsa_user_sgpr_private_segment_buffer 1
		.amdhsa_user_sgpr_dispatch_ptr 0
		.amdhsa_user_sgpr_queue_ptr 0
		.amdhsa_user_sgpr_kernarg_segment_ptr 1
		.amdhsa_user_sgpr_dispatch_id 0
		.amdhsa_user_sgpr_flat_scratch_init 0
		.amdhsa_user_sgpr_private_segment_size 0
		.amdhsa_wavefront_size32 1
		.amdhsa_uses_dynamic_stack 0
		.amdhsa_system_sgpr_private_segment_wavefront_offset 0
		.amdhsa_system_sgpr_workgroup_id_x 1
		.amdhsa_system_sgpr_workgroup_id_y 0
		.amdhsa_system_sgpr_workgroup_id_z 0
		.amdhsa_system_sgpr_workgroup_info 0
		.amdhsa_system_vgpr_workitem_id 0
		.amdhsa_next_free_vgpr 30
		.amdhsa_next_free_sgpr 14
		.amdhsa_reserve_vcc 1
		.amdhsa_reserve_flat_scratch 0
		.amdhsa_float_round_mode_32 0
		.amdhsa_float_round_mode_16_64 0
		.amdhsa_float_denorm_mode_32 3
		.amdhsa_float_denorm_mode_16_64 3
		.amdhsa_dx10_clamp 1
		.amdhsa_ieee_mode 1
		.amdhsa_fp16_overflow 0
		.amdhsa_workgroup_processor_mode 1
		.amdhsa_memory_ordered 1
		.amdhsa_forward_progress 1
		.amdhsa_shared_vgpr_count 0
		.amdhsa_exception_fp_ieee_invalid_op 0
		.amdhsa_exception_fp_denorm_src 0
		.amdhsa_exception_fp_ieee_div_zero 0
		.amdhsa_exception_fp_ieee_overflow 0
		.amdhsa_exception_fp_ieee_underflow 0
		.amdhsa_exception_fp_ieee_inexact 0
		.amdhsa_exception_int_div_zero 0
	.end_amdhsa_kernel
	.section	.text._ZN9rocsparseL32bsr2csr_block_per_row_2_7_kernelILj256ELj7EdiiEEv20rocsparse_direction_T3_S2_21rocsparse_index_base_PKT1_PKT2_PKS2_S2_S3_PS4_PS7_PS2_,"axG",@progbits,_ZN9rocsparseL32bsr2csr_block_per_row_2_7_kernelILj256ELj7EdiiEEv20rocsparse_direction_T3_S2_21rocsparse_index_base_PKT1_PKT2_PKS2_S2_S3_PS4_PS7_PS2_,comdat
.Lfunc_end214:
	.size	_ZN9rocsparseL32bsr2csr_block_per_row_2_7_kernelILj256ELj7EdiiEEv20rocsparse_direction_T3_S2_21rocsparse_index_base_PKT1_PKT2_PKS2_S2_S3_PS4_PS7_PS2_, .Lfunc_end214-_ZN9rocsparseL32bsr2csr_block_per_row_2_7_kernelILj256ELj7EdiiEEv20rocsparse_direction_T3_S2_21rocsparse_index_base_PKT1_PKT2_PKS2_S2_S3_PS4_PS7_PS2_
                                        ; -- End function
	.set _ZN9rocsparseL32bsr2csr_block_per_row_2_7_kernelILj256ELj7EdiiEEv20rocsparse_direction_T3_S2_21rocsparse_index_base_PKT1_PKT2_PKS2_S2_S3_PS4_PS7_PS2_.num_vgpr, 30
	.set _ZN9rocsparseL32bsr2csr_block_per_row_2_7_kernelILj256ELj7EdiiEEv20rocsparse_direction_T3_S2_21rocsparse_index_base_PKT1_PKT2_PKS2_S2_S3_PS4_PS7_PS2_.num_agpr, 0
	.set _ZN9rocsparseL32bsr2csr_block_per_row_2_7_kernelILj256ELj7EdiiEEv20rocsparse_direction_T3_S2_21rocsparse_index_base_PKT1_PKT2_PKS2_S2_S3_PS4_PS7_PS2_.numbered_sgpr, 14
	.set _ZN9rocsparseL32bsr2csr_block_per_row_2_7_kernelILj256ELj7EdiiEEv20rocsparse_direction_T3_S2_21rocsparse_index_base_PKT1_PKT2_PKS2_S2_S3_PS4_PS7_PS2_.num_named_barrier, 0
	.set _ZN9rocsparseL32bsr2csr_block_per_row_2_7_kernelILj256ELj7EdiiEEv20rocsparse_direction_T3_S2_21rocsparse_index_base_PKT1_PKT2_PKS2_S2_S3_PS4_PS7_PS2_.private_seg_size, 0
	.set _ZN9rocsparseL32bsr2csr_block_per_row_2_7_kernelILj256ELj7EdiiEEv20rocsparse_direction_T3_S2_21rocsparse_index_base_PKT1_PKT2_PKS2_S2_S3_PS4_PS7_PS2_.uses_vcc, 1
	.set _ZN9rocsparseL32bsr2csr_block_per_row_2_7_kernelILj256ELj7EdiiEEv20rocsparse_direction_T3_S2_21rocsparse_index_base_PKT1_PKT2_PKS2_S2_S3_PS4_PS7_PS2_.uses_flat_scratch, 0
	.set _ZN9rocsparseL32bsr2csr_block_per_row_2_7_kernelILj256ELj7EdiiEEv20rocsparse_direction_T3_S2_21rocsparse_index_base_PKT1_PKT2_PKS2_S2_S3_PS4_PS7_PS2_.has_dyn_sized_stack, 0
	.set _ZN9rocsparseL32bsr2csr_block_per_row_2_7_kernelILj256ELj7EdiiEEv20rocsparse_direction_T3_S2_21rocsparse_index_base_PKT1_PKT2_PKS2_S2_S3_PS4_PS7_PS2_.has_recursion, 0
	.set _ZN9rocsparseL32bsr2csr_block_per_row_2_7_kernelILj256ELj7EdiiEEv20rocsparse_direction_T3_S2_21rocsparse_index_base_PKT1_PKT2_PKS2_S2_S3_PS4_PS7_PS2_.has_indirect_call, 0
	.section	.AMDGPU.csdata,"",@progbits
; Kernel info:
; codeLenInByte = 872
; TotalNumSgprs: 16
; NumVgprs: 30
; ScratchSize: 0
; MemoryBound: 0
; FloatMode: 240
; IeeeMode: 1
; LDSByteSize: 0 bytes/workgroup (compile time only)
; SGPRBlocks: 0
; VGPRBlocks: 3
; NumSGPRsForWavesPerEU: 16
; NumVGPRsForWavesPerEU: 30
; Occupancy: 16
; WaveLimiterHint : 0
; COMPUTE_PGM_RSRC2:SCRATCH_EN: 0
; COMPUTE_PGM_RSRC2:USER_SGPR: 6
; COMPUTE_PGM_RSRC2:TRAP_HANDLER: 0
; COMPUTE_PGM_RSRC2:TGID_X_EN: 1
; COMPUTE_PGM_RSRC2:TGID_Y_EN: 0
; COMPUTE_PGM_RSRC2:TGID_Z_EN: 0
; COMPUTE_PGM_RSRC2:TIDIG_COMP_CNT: 0
	.section	.text._ZN9rocsparseL33bsr2csr_block_per_row_8_32_kernelILj1024ELj8EdiiEEv20rocsparse_direction_T3_S2_21rocsparse_index_base_PKT1_PKT2_PKS2_S2_S3_PS4_PS7_PS2_,"axG",@progbits,_ZN9rocsparseL33bsr2csr_block_per_row_8_32_kernelILj1024ELj8EdiiEEv20rocsparse_direction_T3_S2_21rocsparse_index_base_PKT1_PKT2_PKS2_S2_S3_PS4_PS7_PS2_,comdat
	.globl	_ZN9rocsparseL33bsr2csr_block_per_row_8_32_kernelILj1024ELj8EdiiEEv20rocsparse_direction_T3_S2_21rocsparse_index_base_PKT1_PKT2_PKS2_S2_S3_PS4_PS7_PS2_ ; -- Begin function _ZN9rocsparseL33bsr2csr_block_per_row_8_32_kernelILj1024ELj8EdiiEEv20rocsparse_direction_T3_S2_21rocsparse_index_base_PKT1_PKT2_PKS2_S2_S3_PS4_PS7_PS2_
	.p2align	8
	.type	_ZN9rocsparseL33bsr2csr_block_per_row_8_32_kernelILj1024ELj8EdiiEEv20rocsparse_direction_T3_S2_21rocsparse_index_base_PKT1_PKT2_PKS2_S2_S3_PS4_PS7_PS2_,@function
_ZN9rocsparseL33bsr2csr_block_per_row_8_32_kernelILj1024ELj8EdiiEEv20rocsparse_direction_T3_S2_21rocsparse_index_base_PKT1_PKT2_PKS2_S2_S3_PS4_PS7_PS2_: ; @_ZN9rocsparseL33bsr2csr_block_per_row_8_32_kernelILj1024ELj8EdiiEEv20rocsparse_direction_T3_S2_21rocsparse_index_base_PKT1_PKT2_PKS2_S2_S3_PS4_PS7_PS2_
; %bb.0:
	s_clause 0x2
	s_load_dwordx2 s[8:9], s[4:5], 0x18
	s_load_dwordx2 s[2:3], s[4:5], 0x28
	;; [unrolled: 1-line block ×3, first 2 shown]
	s_ashr_i32 s7, s6, 31
	v_or_b32_e32 v1, s6, v0
	s_lshl_b64 s[10:11], s[6:7], 2
	s_mov_b32 s7, exec_lo
	s_waitcnt lgkmcnt(0)
	s_add_u32 s8, s8, s10
	s_addc_u32 s9, s9, s11
	v_cmpx_eq_u32_e32 0, v1
	s_cbranch_execz .LBB215_2
; %bb.1:
	v_mov_b32_e32 v1, 0
	v_mov_b32_e32 v2, s3
	global_store_dword v1, v2, s[0:1]
.LBB215_2:
	s_or_b32 exec_lo, exec_lo, s7
	v_and_b32_e32 v1, 7, v0
	v_bfe_u32 v2, v0, 3, 3
	s_mov_b32 s7, exec_lo
	v_max_i32_e32 v3, v2, v1
	v_cmpx_gt_i32_e64 s2, v3
	s_cbranch_execz .LBB215_6
; %bb.3:
	s_load_dwordx2 s[8:9], s[8:9], 0x0
	s_load_dword s12, s[4:5], 0xc
	v_mad_u64_u32 v[4:5], null, s2, s6, v[2:3]
	v_lshrrev_b32_e32 v3, 6, v0
	s_mul_i32 s14, s2, s2
	v_ashrrev_i32_e32 v5, 31, v4
	v_lshlrev_b64 v[4:5], 2, v[4:5]
	v_add_co_u32 v4, vcc_lo, s0, v4
	s_waitcnt lgkmcnt(0)
	s_sub_i32 s15, s8, s12
	s_sub_i32 s13, s9, s12
	v_add_nc_u32_e32 v0, s15, v3
	s_sub_i32 s16, s13, s15
	s_mul_i32 s7, s15, s14
	s_mul_i32 s6, s16, s2
	v_add_co_ci_u32_e64 v5, null, s1, v5, vcc_lo
	v_mul_lo_u32 v6, s6, v2
	s_add_i32 s6, s6, s3
	v_cmp_gt_i32_e32 vcc_lo, s13, v0
	v_add3_u32 v6, s6, s7, v6
	global_store_dword v[4:5], v6, off offset:4
	s_and_b32 exec_lo, exec_lo, vcc_lo
	s_cbranch_execz .LBB215_6
; %bb.4:
	s_clause 0x2
	s_load_dwordx2 s[6:7], s[4:5], 0x20
	s_load_dwordx2 s[8:9], s[4:5], 0x30
	s_load_dword s0, s[4:5], 0x0
	v_mad_u64_u32 v[4:5], null, s2, v1, v[2:3]
	v_mad_u64_u32 v[5:6], null, s2, v2, v[1:2]
	v_mul_lo_u32 v6, s16, v2
	s_clause 0x1
	s_load_dwordx2 s[10:11], s[4:5], 0x10
	s_load_dwordx2 s[4:5], s[4:5], 0x40
	s_mov_b32 s1, 0
	s_waitcnt lgkmcnt(0)
	s_cmp_eq_u32 s0, 0
	s_mul_i32 s0, s2, s15
	s_cselect_b32 vcc_lo, -1, 0
	v_cndmask_b32_e32 v2, v4, v5, vcc_lo
	v_add3_u32 v4, v3, s0, v6
	v_add_nc_u32_e32 v6, s3, v1
	s_lshl_b32 s3, s14, 4
	v_mad_u64_u32 v[2:3], null, s14, v0, v[2:3]
	s_lshl_b32 s14, s2, 4
	v_mad_u64_u32 v[4:5], null, s2, v4, v[1:2]
	s_inst_prefetch 0x1
	.p2align	6
.LBB215_5:                              ; =>This Inner Loop Header: Depth=1
	v_ashrrev_i32_e32 v1, 31, v0
	v_ashrrev_i32_e32 v3, 31, v2
	;; [unrolled: 1-line block ×3, first 2 shown]
	v_lshlrev_b64 v[7:8], 2, v[0:1]
	v_add_nc_u32_e32 v0, 16, v0
	v_lshlrev_b64 v[9:10], 2, v[4:5]
	v_lshlrev_b64 v[11:12], 3, v[4:5]
	v_add_nc_u32_e32 v4, s14, v4
	v_add_co_u32 v7, vcc_lo, s6, v7
	v_add_co_ci_u32_e64 v8, null, s7, v8, vcc_lo
	v_add_co_u32 v9, s0, s4, v9
	v_add_co_ci_u32_e64 v10, null, s5, v10, s0
	global_load_dword v1, v[7:8], off
	v_lshlrev_b64 v[7:8], 3, v[2:3]
	v_add_co_u32 v11, s0, s8, v11
	v_add_nc_u32_e32 v2, s3, v2
	v_add_co_ci_u32_e64 v12, null, s9, v12, s0
	v_add_co_u32 v7, vcc_lo, s10, v7
	v_add_co_ci_u32_e64 v8, null, s11, v8, vcc_lo
	v_cmp_le_i32_e32 vcc_lo, s13, v0
	global_load_dwordx2 v[7:8], v[7:8], off
	s_or_b32 s1, vcc_lo, s1
	s_waitcnt vmcnt(1)
	v_subrev_nc_u32_e32 v1, s12, v1
	s_waitcnt vmcnt(0)
	v_mad_u64_u32 v[13:14], null, v1, s2, v[6:7]
	global_store_dword v[9:10], v13, off
	global_store_dwordx2 v[11:12], v[7:8], off
	s_andn2_b32 exec_lo, exec_lo, s1
	s_cbranch_execnz .LBB215_5
.LBB215_6:
	s_inst_prefetch 0x2
	s_endpgm
	.section	.rodata,"a",@progbits
	.p2align	6, 0x0
	.amdhsa_kernel _ZN9rocsparseL33bsr2csr_block_per_row_8_32_kernelILj1024ELj8EdiiEEv20rocsparse_direction_T3_S2_21rocsparse_index_base_PKT1_PKT2_PKS2_S2_S3_PS4_PS7_PS2_
		.amdhsa_group_segment_fixed_size 0
		.amdhsa_private_segment_fixed_size 0
		.amdhsa_kernarg_size 72
		.amdhsa_user_sgpr_count 6
		.amdhsa_user_sgpr_private_segment_buffer 1
		.amdhsa_user_sgpr_dispatch_ptr 0
		.amdhsa_user_sgpr_queue_ptr 0
		.amdhsa_user_sgpr_kernarg_segment_ptr 1
		.amdhsa_user_sgpr_dispatch_id 0
		.amdhsa_user_sgpr_flat_scratch_init 0
		.amdhsa_user_sgpr_private_segment_size 0
		.amdhsa_wavefront_size32 1
		.amdhsa_uses_dynamic_stack 0
		.amdhsa_system_sgpr_private_segment_wavefront_offset 0
		.amdhsa_system_sgpr_workgroup_id_x 1
		.amdhsa_system_sgpr_workgroup_id_y 0
		.amdhsa_system_sgpr_workgroup_id_z 0
		.amdhsa_system_sgpr_workgroup_info 0
		.amdhsa_system_vgpr_workitem_id 0
		.amdhsa_next_free_vgpr 15
		.amdhsa_next_free_sgpr 17
		.amdhsa_reserve_vcc 1
		.amdhsa_reserve_flat_scratch 0
		.amdhsa_float_round_mode_32 0
		.amdhsa_float_round_mode_16_64 0
		.amdhsa_float_denorm_mode_32 3
		.amdhsa_float_denorm_mode_16_64 3
		.amdhsa_dx10_clamp 1
		.amdhsa_ieee_mode 1
		.amdhsa_fp16_overflow 0
		.amdhsa_workgroup_processor_mode 1
		.amdhsa_memory_ordered 1
		.amdhsa_forward_progress 1
		.amdhsa_shared_vgpr_count 0
		.amdhsa_exception_fp_ieee_invalid_op 0
		.amdhsa_exception_fp_denorm_src 0
		.amdhsa_exception_fp_ieee_div_zero 0
		.amdhsa_exception_fp_ieee_overflow 0
		.amdhsa_exception_fp_ieee_underflow 0
		.amdhsa_exception_fp_ieee_inexact 0
		.amdhsa_exception_int_div_zero 0
	.end_amdhsa_kernel
	.section	.text._ZN9rocsparseL33bsr2csr_block_per_row_8_32_kernelILj1024ELj8EdiiEEv20rocsparse_direction_T3_S2_21rocsparse_index_base_PKT1_PKT2_PKS2_S2_S3_PS4_PS7_PS2_,"axG",@progbits,_ZN9rocsparseL33bsr2csr_block_per_row_8_32_kernelILj1024ELj8EdiiEEv20rocsparse_direction_T3_S2_21rocsparse_index_base_PKT1_PKT2_PKS2_S2_S3_PS4_PS7_PS2_,comdat
.Lfunc_end215:
	.size	_ZN9rocsparseL33bsr2csr_block_per_row_8_32_kernelILj1024ELj8EdiiEEv20rocsparse_direction_T3_S2_21rocsparse_index_base_PKT1_PKT2_PKS2_S2_S3_PS4_PS7_PS2_, .Lfunc_end215-_ZN9rocsparseL33bsr2csr_block_per_row_8_32_kernelILj1024ELj8EdiiEEv20rocsparse_direction_T3_S2_21rocsparse_index_base_PKT1_PKT2_PKS2_S2_S3_PS4_PS7_PS2_
                                        ; -- End function
	.set _ZN9rocsparseL33bsr2csr_block_per_row_8_32_kernelILj1024ELj8EdiiEEv20rocsparse_direction_T3_S2_21rocsparse_index_base_PKT1_PKT2_PKS2_S2_S3_PS4_PS7_PS2_.num_vgpr, 15
	.set _ZN9rocsparseL33bsr2csr_block_per_row_8_32_kernelILj1024ELj8EdiiEEv20rocsparse_direction_T3_S2_21rocsparse_index_base_PKT1_PKT2_PKS2_S2_S3_PS4_PS7_PS2_.num_agpr, 0
	.set _ZN9rocsparseL33bsr2csr_block_per_row_8_32_kernelILj1024ELj8EdiiEEv20rocsparse_direction_T3_S2_21rocsparse_index_base_PKT1_PKT2_PKS2_S2_S3_PS4_PS7_PS2_.numbered_sgpr, 17
	.set _ZN9rocsparseL33bsr2csr_block_per_row_8_32_kernelILj1024ELj8EdiiEEv20rocsparse_direction_T3_S2_21rocsparse_index_base_PKT1_PKT2_PKS2_S2_S3_PS4_PS7_PS2_.num_named_barrier, 0
	.set _ZN9rocsparseL33bsr2csr_block_per_row_8_32_kernelILj1024ELj8EdiiEEv20rocsparse_direction_T3_S2_21rocsparse_index_base_PKT1_PKT2_PKS2_S2_S3_PS4_PS7_PS2_.private_seg_size, 0
	.set _ZN9rocsparseL33bsr2csr_block_per_row_8_32_kernelILj1024ELj8EdiiEEv20rocsparse_direction_T3_S2_21rocsparse_index_base_PKT1_PKT2_PKS2_S2_S3_PS4_PS7_PS2_.uses_vcc, 1
	.set _ZN9rocsparseL33bsr2csr_block_per_row_8_32_kernelILj1024ELj8EdiiEEv20rocsparse_direction_T3_S2_21rocsparse_index_base_PKT1_PKT2_PKS2_S2_S3_PS4_PS7_PS2_.uses_flat_scratch, 0
	.set _ZN9rocsparseL33bsr2csr_block_per_row_8_32_kernelILj1024ELj8EdiiEEv20rocsparse_direction_T3_S2_21rocsparse_index_base_PKT1_PKT2_PKS2_S2_S3_PS4_PS7_PS2_.has_dyn_sized_stack, 0
	.set _ZN9rocsparseL33bsr2csr_block_per_row_8_32_kernelILj1024ELj8EdiiEEv20rocsparse_direction_T3_S2_21rocsparse_index_base_PKT1_PKT2_PKS2_S2_S3_PS4_PS7_PS2_.has_recursion, 0
	.set _ZN9rocsparseL33bsr2csr_block_per_row_8_32_kernelILj1024ELj8EdiiEEv20rocsparse_direction_T3_S2_21rocsparse_index_base_PKT1_PKT2_PKS2_S2_S3_PS4_PS7_PS2_.has_indirect_call, 0
	.section	.AMDGPU.csdata,"",@progbits
; Kernel info:
; codeLenInByte = 580
; TotalNumSgprs: 19
; NumVgprs: 15
; ScratchSize: 0
; MemoryBound: 0
; FloatMode: 240
; IeeeMode: 1
; LDSByteSize: 0 bytes/workgroup (compile time only)
; SGPRBlocks: 0
; VGPRBlocks: 1
; NumSGPRsForWavesPerEU: 19
; NumVGPRsForWavesPerEU: 15
; Occupancy: 16
; WaveLimiterHint : 0
; COMPUTE_PGM_RSRC2:SCRATCH_EN: 0
; COMPUTE_PGM_RSRC2:USER_SGPR: 6
; COMPUTE_PGM_RSRC2:TRAP_HANDLER: 0
; COMPUTE_PGM_RSRC2:TGID_X_EN: 1
; COMPUTE_PGM_RSRC2:TGID_Y_EN: 0
; COMPUTE_PGM_RSRC2:TGID_Z_EN: 0
; COMPUTE_PGM_RSRC2:TIDIG_COMP_CNT: 0
	.section	.text._ZN9rocsparseL33bsr2csr_block_per_row_8_32_kernelILj1024ELj16EdiiEEv20rocsparse_direction_T3_S2_21rocsparse_index_base_PKT1_PKT2_PKS2_S2_S3_PS4_PS7_PS2_,"axG",@progbits,_ZN9rocsparseL33bsr2csr_block_per_row_8_32_kernelILj1024ELj16EdiiEEv20rocsparse_direction_T3_S2_21rocsparse_index_base_PKT1_PKT2_PKS2_S2_S3_PS4_PS7_PS2_,comdat
	.globl	_ZN9rocsparseL33bsr2csr_block_per_row_8_32_kernelILj1024ELj16EdiiEEv20rocsparse_direction_T3_S2_21rocsparse_index_base_PKT1_PKT2_PKS2_S2_S3_PS4_PS7_PS2_ ; -- Begin function _ZN9rocsparseL33bsr2csr_block_per_row_8_32_kernelILj1024ELj16EdiiEEv20rocsparse_direction_T3_S2_21rocsparse_index_base_PKT1_PKT2_PKS2_S2_S3_PS4_PS7_PS2_
	.p2align	8
	.type	_ZN9rocsparseL33bsr2csr_block_per_row_8_32_kernelILj1024ELj16EdiiEEv20rocsparse_direction_T3_S2_21rocsparse_index_base_PKT1_PKT2_PKS2_S2_S3_PS4_PS7_PS2_,@function
_ZN9rocsparseL33bsr2csr_block_per_row_8_32_kernelILj1024ELj16EdiiEEv20rocsparse_direction_T3_S2_21rocsparse_index_base_PKT1_PKT2_PKS2_S2_S3_PS4_PS7_PS2_: ; @_ZN9rocsparseL33bsr2csr_block_per_row_8_32_kernelILj1024ELj16EdiiEEv20rocsparse_direction_T3_S2_21rocsparse_index_base_PKT1_PKT2_PKS2_S2_S3_PS4_PS7_PS2_
; %bb.0:
	s_clause 0x2
	s_load_dwordx2 s[8:9], s[4:5], 0x18
	s_load_dwordx2 s[2:3], s[4:5], 0x28
	;; [unrolled: 1-line block ×3, first 2 shown]
	s_ashr_i32 s7, s6, 31
	v_or_b32_e32 v1, s6, v0
	s_lshl_b64 s[10:11], s[6:7], 2
	s_mov_b32 s7, exec_lo
	s_waitcnt lgkmcnt(0)
	s_add_u32 s8, s8, s10
	s_addc_u32 s9, s9, s11
	v_cmpx_eq_u32_e32 0, v1
	s_cbranch_execz .LBB216_2
; %bb.1:
	v_mov_b32_e32 v1, 0
	v_mov_b32_e32 v2, s3
	global_store_dword v1, v2, s[0:1]
.LBB216_2:
	s_or_b32 exec_lo, exec_lo, s7
	v_and_b32_e32 v1, 15, v0
	v_bfe_u32 v2, v0, 4, 4
	s_mov_b32 s7, exec_lo
	v_max_i32_e32 v3, v2, v1
	v_cmpx_gt_i32_e64 s2, v3
	s_cbranch_execz .LBB216_6
; %bb.3:
	s_load_dwordx2 s[8:9], s[8:9], 0x0
	s_load_dword s12, s[4:5], 0xc
	v_mad_u64_u32 v[4:5], null, s2, s6, v[2:3]
	v_lshrrev_b32_e32 v3, 8, v0
	s_mul_i32 s14, s2, s2
	v_ashrrev_i32_e32 v5, 31, v4
	v_lshlrev_b64 v[4:5], 2, v[4:5]
	v_add_co_u32 v4, vcc_lo, s0, v4
	s_waitcnt lgkmcnt(0)
	s_sub_i32 s15, s8, s12
	s_sub_i32 s13, s9, s12
	v_add_nc_u32_e32 v0, s15, v3
	s_sub_i32 s16, s13, s15
	s_mul_i32 s7, s15, s14
	s_mul_i32 s6, s16, s2
	v_add_co_ci_u32_e64 v5, null, s1, v5, vcc_lo
	v_mul_lo_u32 v6, s6, v2
	s_add_i32 s6, s6, s3
	v_cmp_gt_i32_e32 vcc_lo, s13, v0
	v_add3_u32 v6, s6, s7, v6
	global_store_dword v[4:5], v6, off offset:4
	s_and_b32 exec_lo, exec_lo, vcc_lo
	s_cbranch_execz .LBB216_6
; %bb.4:
	s_clause 0x2
	s_load_dwordx2 s[6:7], s[4:5], 0x20
	s_load_dwordx2 s[8:9], s[4:5], 0x30
	s_load_dword s0, s[4:5], 0x0
	v_mad_u64_u32 v[4:5], null, s2, v1, v[2:3]
	v_mad_u64_u32 v[5:6], null, s2, v2, v[1:2]
	v_mul_lo_u32 v6, s16, v2
	s_clause 0x1
	s_load_dwordx2 s[10:11], s[4:5], 0x10
	s_load_dwordx2 s[4:5], s[4:5], 0x40
	s_mov_b32 s1, 0
	s_waitcnt lgkmcnt(0)
	s_cmp_eq_u32 s0, 0
	s_mul_i32 s0, s2, s15
	s_cselect_b32 vcc_lo, -1, 0
	v_cndmask_b32_e32 v2, v4, v5, vcc_lo
	v_add3_u32 v4, v3, s0, v6
	v_add_nc_u32_e32 v6, s3, v1
	s_lshl_b32 s3, s14, 2
	v_mad_u64_u32 v[2:3], null, s14, v0, v[2:3]
	s_lshl_b32 s14, s2, 2
	v_mad_u64_u32 v[4:5], null, s2, v4, v[1:2]
	s_inst_prefetch 0x1
	.p2align	6
.LBB216_5:                              ; =>This Inner Loop Header: Depth=1
	v_ashrrev_i32_e32 v1, 31, v0
	v_ashrrev_i32_e32 v3, 31, v2
	;; [unrolled: 1-line block ×3, first 2 shown]
	v_lshlrev_b64 v[7:8], 2, v[0:1]
	v_add_nc_u32_e32 v0, 4, v0
	v_lshlrev_b64 v[9:10], 2, v[4:5]
	v_lshlrev_b64 v[11:12], 3, v[4:5]
	v_add_nc_u32_e32 v4, s14, v4
	v_add_co_u32 v7, vcc_lo, s6, v7
	v_add_co_ci_u32_e64 v8, null, s7, v8, vcc_lo
	v_add_co_u32 v9, s0, s4, v9
	v_add_co_ci_u32_e64 v10, null, s5, v10, s0
	global_load_dword v1, v[7:8], off
	v_lshlrev_b64 v[7:8], 3, v[2:3]
	v_add_co_u32 v11, s0, s8, v11
	v_add_nc_u32_e32 v2, s3, v2
	v_add_co_ci_u32_e64 v12, null, s9, v12, s0
	v_add_co_u32 v7, vcc_lo, s10, v7
	v_add_co_ci_u32_e64 v8, null, s11, v8, vcc_lo
	v_cmp_le_i32_e32 vcc_lo, s13, v0
	global_load_dwordx2 v[7:8], v[7:8], off
	s_or_b32 s1, vcc_lo, s1
	s_waitcnt vmcnt(1)
	v_subrev_nc_u32_e32 v1, s12, v1
	s_waitcnt vmcnt(0)
	v_mad_u64_u32 v[13:14], null, v1, s2, v[6:7]
	global_store_dword v[9:10], v13, off
	global_store_dwordx2 v[11:12], v[7:8], off
	s_andn2_b32 exec_lo, exec_lo, s1
	s_cbranch_execnz .LBB216_5
.LBB216_6:
	s_inst_prefetch 0x2
	s_endpgm
	.section	.rodata,"a",@progbits
	.p2align	6, 0x0
	.amdhsa_kernel _ZN9rocsparseL33bsr2csr_block_per_row_8_32_kernelILj1024ELj16EdiiEEv20rocsparse_direction_T3_S2_21rocsparse_index_base_PKT1_PKT2_PKS2_S2_S3_PS4_PS7_PS2_
		.amdhsa_group_segment_fixed_size 0
		.amdhsa_private_segment_fixed_size 0
		.amdhsa_kernarg_size 72
		.amdhsa_user_sgpr_count 6
		.amdhsa_user_sgpr_private_segment_buffer 1
		.amdhsa_user_sgpr_dispatch_ptr 0
		.amdhsa_user_sgpr_queue_ptr 0
		.amdhsa_user_sgpr_kernarg_segment_ptr 1
		.amdhsa_user_sgpr_dispatch_id 0
		.amdhsa_user_sgpr_flat_scratch_init 0
		.amdhsa_user_sgpr_private_segment_size 0
		.amdhsa_wavefront_size32 1
		.amdhsa_uses_dynamic_stack 0
		.amdhsa_system_sgpr_private_segment_wavefront_offset 0
		.amdhsa_system_sgpr_workgroup_id_x 1
		.amdhsa_system_sgpr_workgroup_id_y 0
		.amdhsa_system_sgpr_workgroup_id_z 0
		.amdhsa_system_sgpr_workgroup_info 0
		.amdhsa_system_vgpr_workitem_id 0
		.amdhsa_next_free_vgpr 15
		.amdhsa_next_free_sgpr 17
		.amdhsa_reserve_vcc 1
		.amdhsa_reserve_flat_scratch 0
		.amdhsa_float_round_mode_32 0
		.amdhsa_float_round_mode_16_64 0
		.amdhsa_float_denorm_mode_32 3
		.amdhsa_float_denorm_mode_16_64 3
		.amdhsa_dx10_clamp 1
		.amdhsa_ieee_mode 1
		.amdhsa_fp16_overflow 0
		.amdhsa_workgroup_processor_mode 1
		.amdhsa_memory_ordered 1
		.amdhsa_forward_progress 1
		.amdhsa_shared_vgpr_count 0
		.amdhsa_exception_fp_ieee_invalid_op 0
		.amdhsa_exception_fp_denorm_src 0
		.amdhsa_exception_fp_ieee_div_zero 0
		.amdhsa_exception_fp_ieee_overflow 0
		.amdhsa_exception_fp_ieee_underflow 0
		.amdhsa_exception_fp_ieee_inexact 0
		.amdhsa_exception_int_div_zero 0
	.end_amdhsa_kernel
	.section	.text._ZN9rocsparseL33bsr2csr_block_per_row_8_32_kernelILj1024ELj16EdiiEEv20rocsparse_direction_T3_S2_21rocsparse_index_base_PKT1_PKT2_PKS2_S2_S3_PS4_PS7_PS2_,"axG",@progbits,_ZN9rocsparseL33bsr2csr_block_per_row_8_32_kernelILj1024ELj16EdiiEEv20rocsparse_direction_T3_S2_21rocsparse_index_base_PKT1_PKT2_PKS2_S2_S3_PS4_PS7_PS2_,comdat
.Lfunc_end216:
	.size	_ZN9rocsparseL33bsr2csr_block_per_row_8_32_kernelILj1024ELj16EdiiEEv20rocsparse_direction_T3_S2_21rocsparse_index_base_PKT1_PKT2_PKS2_S2_S3_PS4_PS7_PS2_, .Lfunc_end216-_ZN9rocsparseL33bsr2csr_block_per_row_8_32_kernelILj1024ELj16EdiiEEv20rocsparse_direction_T3_S2_21rocsparse_index_base_PKT1_PKT2_PKS2_S2_S3_PS4_PS7_PS2_
                                        ; -- End function
	.set _ZN9rocsparseL33bsr2csr_block_per_row_8_32_kernelILj1024ELj16EdiiEEv20rocsparse_direction_T3_S2_21rocsparse_index_base_PKT1_PKT2_PKS2_S2_S3_PS4_PS7_PS2_.num_vgpr, 15
	.set _ZN9rocsparseL33bsr2csr_block_per_row_8_32_kernelILj1024ELj16EdiiEEv20rocsparse_direction_T3_S2_21rocsparse_index_base_PKT1_PKT2_PKS2_S2_S3_PS4_PS7_PS2_.num_agpr, 0
	.set _ZN9rocsparseL33bsr2csr_block_per_row_8_32_kernelILj1024ELj16EdiiEEv20rocsparse_direction_T3_S2_21rocsparse_index_base_PKT1_PKT2_PKS2_S2_S3_PS4_PS7_PS2_.numbered_sgpr, 17
	.set _ZN9rocsparseL33bsr2csr_block_per_row_8_32_kernelILj1024ELj16EdiiEEv20rocsparse_direction_T3_S2_21rocsparse_index_base_PKT1_PKT2_PKS2_S2_S3_PS4_PS7_PS2_.num_named_barrier, 0
	.set _ZN9rocsparseL33bsr2csr_block_per_row_8_32_kernelILj1024ELj16EdiiEEv20rocsparse_direction_T3_S2_21rocsparse_index_base_PKT1_PKT2_PKS2_S2_S3_PS4_PS7_PS2_.private_seg_size, 0
	.set _ZN9rocsparseL33bsr2csr_block_per_row_8_32_kernelILj1024ELj16EdiiEEv20rocsparse_direction_T3_S2_21rocsparse_index_base_PKT1_PKT2_PKS2_S2_S3_PS4_PS7_PS2_.uses_vcc, 1
	.set _ZN9rocsparseL33bsr2csr_block_per_row_8_32_kernelILj1024ELj16EdiiEEv20rocsparse_direction_T3_S2_21rocsparse_index_base_PKT1_PKT2_PKS2_S2_S3_PS4_PS7_PS2_.uses_flat_scratch, 0
	.set _ZN9rocsparseL33bsr2csr_block_per_row_8_32_kernelILj1024ELj16EdiiEEv20rocsparse_direction_T3_S2_21rocsparse_index_base_PKT1_PKT2_PKS2_S2_S3_PS4_PS7_PS2_.has_dyn_sized_stack, 0
	.set _ZN9rocsparseL33bsr2csr_block_per_row_8_32_kernelILj1024ELj16EdiiEEv20rocsparse_direction_T3_S2_21rocsparse_index_base_PKT1_PKT2_PKS2_S2_S3_PS4_PS7_PS2_.has_recursion, 0
	.set _ZN9rocsparseL33bsr2csr_block_per_row_8_32_kernelILj1024ELj16EdiiEEv20rocsparse_direction_T3_S2_21rocsparse_index_base_PKT1_PKT2_PKS2_S2_S3_PS4_PS7_PS2_.has_indirect_call, 0
	.section	.AMDGPU.csdata,"",@progbits
; Kernel info:
; codeLenInByte = 580
; TotalNumSgprs: 19
; NumVgprs: 15
; ScratchSize: 0
; MemoryBound: 0
; FloatMode: 240
; IeeeMode: 1
; LDSByteSize: 0 bytes/workgroup (compile time only)
; SGPRBlocks: 0
; VGPRBlocks: 1
; NumSGPRsForWavesPerEU: 19
; NumVGPRsForWavesPerEU: 15
; Occupancy: 16
; WaveLimiterHint : 0
; COMPUTE_PGM_RSRC2:SCRATCH_EN: 0
; COMPUTE_PGM_RSRC2:USER_SGPR: 6
; COMPUTE_PGM_RSRC2:TRAP_HANDLER: 0
; COMPUTE_PGM_RSRC2:TGID_X_EN: 1
; COMPUTE_PGM_RSRC2:TGID_Y_EN: 0
; COMPUTE_PGM_RSRC2:TGID_Z_EN: 0
; COMPUTE_PGM_RSRC2:TIDIG_COMP_CNT: 0
	.section	.text._ZN9rocsparseL33bsr2csr_block_per_row_8_32_kernelILj1024ELj32EdiiEEv20rocsparse_direction_T3_S2_21rocsparse_index_base_PKT1_PKT2_PKS2_S2_S3_PS4_PS7_PS2_,"axG",@progbits,_ZN9rocsparseL33bsr2csr_block_per_row_8_32_kernelILj1024ELj32EdiiEEv20rocsparse_direction_T3_S2_21rocsparse_index_base_PKT1_PKT2_PKS2_S2_S3_PS4_PS7_PS2_,comdat
	.globl	_ZN9rocsparseL33bsr2csr_block_per_row_8_32_kernelILj1024ELj32EdiiEEv20rocsparse_direction_T3_S2_21rocsparse_index_base_PKT1_PKT2_PKS2_S2_S3_PS4_PS7_PS2_ ; -- Begin function _ZN9rocsparseL33bsr2csr_block_per_row_8_32_kernelILj1024ELj32EdiiEEv20rocsparse_direction_T3_S2_21rocsparse_index_base_PKT1_PKT2_PKS2_S2_S3_PS4_PS7_PS2_
	.p2align	8
	.type	_ZN9rocsparseL33bsr2csr_block_per_row_8_32_kernelILj1024ELj32EdiiEEv20rocsparse_direction_T3_S2_21rocsparse_index_base_PKT1_PKT2_PKS2_S2_S3_PS4_PS7_PS2_,@function
_ZN9rocsparseL33bsr2csr_block_per_row_8_32_kernelILj1024ELj32EdiiEEv20rocsparse_direction_T3_S2_21rocsparse_index_base_PKT1_PKT2_PKS2_S2_S3_PS4_PS7_PS2_: ; @_ZN9rocsparseL33bsr2csr_block_per_row_8_32_kernelILj1024ELj32EdiiEEv20rocsparse_direction_T3_S2_21rocsparse_index_base_PKT1_PKT2_PKS2_S2_S3_PS4_PS7_PS2_
; %bb.0:
	s_clause 0x2
	s_load_dwordx2 s[2:3], s[4:5], 0x18
	s_load_dwordx2 s[0:1], s[4:5], 0x28
	s_load_dwordx2 s[8:9], s[4:5], 0x38
	s_ashr_i32 s7, s6, 31
	v_or_b32_e32 v1, s6, v0
	s_lshl_b64 s[10:11], s[6:7], 2
	s_mov_b32 s7, exec_lo
	s_waitcnt lgkmcnt(0)
	s_add_u32 s2, s2, s10
	s_addc_u32 s3, s3, s11
	v_cmpx_eq_u32_e32 0, v1
	s_cbranch_execz .LBB217_2
; %bb.1:
	v_mov_b32_e32 v1, 0
	v_mov_b32_e32 v2, s1
	global_store_dword v1, v2, s[8:9]
.LBB217_2:
	s_or_b32 exec_lo, exec_lo, s7
	v_and_b32_e32 v1, 31, v0
	v_lshrrev_b32_e32 v0, 5, v0
	s_mov_b32 s7, exec_lo
	v_max_i32_e32 v2, v0, v1
	v_cmpx_gt_i32_e64 s0, v2
	s_cbranch_execz .LBB217_6
; %bb.3:
	s_load_dwordx2 s[16:17], s[2:3], 0x0
	s_load_dword s12, s[4:5], 0xc
	v_mad_u64_u32 v[2:3], null, s0, s6, v[0:1]
	s_mul_i32 s14, s0, s0
	v_ashrrev_i32_e32 v3, 31, v2
	v_lshlrev_b64 v[2:3], 2, v[2:3]
	v_add_co_u32 v2, vcc_lo, s8, v2
	s_waitcnt lgkmcnt(0)
	s_sub_i32 s2, s16, s12
	s_sub_i32 s13, s17, s12
	s_mul_i32 s10, s2, s14
	s_sub_i32 s3, s13, s2
	v_add_co_ci_u32_e64 v3, null, s9, v3, vcc_lo
	s_mul_i32 s6, s3, s0
	v_mul_lo_u32 v4, s6, v0
	s_add_i32 s6, s6, s1
	s_cmp_ge_i32 s16, s17
	v_add3_u32 v4, s6, s10, v4
	global_store_dword v[2:3], v4, off offset:4
	s_cbranch_scc1 .LBB217_6
; %bb.4:
	s_clause 0x3
	s_load_dwordx2 s[16:17], s[4:5], 0x20
	s_load_dwordx2 s[6:7], s[4:5], 0x30
	s_load_dword s11, s[4:5], 0x0
	s_load_dwordx2 s[8:9], s[4:5], 0x10
	v_mul_lo_u32 v2, v0, s3
	v_mad_u64_u32 v[3:4], null, s0, v1, v[0:1]
	s_load_dwordx2 s[4:5], s[4:5], 0x40
	v_mad_u64_u32 v[4:5], null, s0, v0, v[1:2]
	v_mad_u64_u32 v[5:6], null, s0, s2, v[2:3]
	v_add_nc_u32_e32 v0, s1, v1
	v_mad_u64_u32 v[1:2], null, s0, v5, v[1:2]
	s_waitcnt lgkmcnt(0)
	s_cmp_eq_u32 s11, 0
	s_cselect_b32 vcc_lo, -1, 0
	s_ashr_i32 s3, s2, 31
	v_cndmask_b32_e32 v3, v3, v4, vcc_lo
	v_add_nc_u32_e32 v3, s10, v3
	s_lshl_b64 s[10:11], s[2:3], 2
	s_add_u32 s10, s16, s10
	s_addc_u32 s11, s17, s11
	s_inst_prefetch 0x1
	.p2align	6
.LBB217_5:                              ; =>This Inner Loop Header: Depth=1
	v_ashrrev_i32_e32 v4, 31, v3
	s_load_dword s1, s[10:11], 0x0
	v_ashrrev_i32_e32 v2, 31, v1
	s_add_i32 s2, s2, 1
	v_lshlrev_b64 v[4:5], 3, v[3:4]
	v_add_nc_u32_e32 v3, s14, v3
	v_lshlrev_b64 v[6:7], 2, v[1:2]
	v_lshlrev_b64 v[8:9], 3, v[1:2]
	v_add_nc_u32_e32 v1, s0, v1
	v_add_co_u32 v4, vcc_lo, s8, v4
	v_add_co_ci_u32_e64 v5, null, s9, v5, vcc_lo
	v_add_co_u32 v6, vcc_lo, s4, v6
	v_add_co_ci_u32_e64 v7, null, s5, v7, vcc_lo
	global_load_dwordx2 v[4:5], v[4:5], off
	v_add_co_u32 v8, vcc_lo, s6, v8
	s_waitcnt lgkmcnt(0)
	s_sub_i32 s1, s1, s12
	v_add_co_ci_u32_e64 v9, null, s7, v9, vcc_lo
	v_mad_u64_u32 v[10:11], null, s1, s0, v[0:1]
	s_add_u32 s10, s10, 4
	s_addc_u32 s11, s11, 0
	s_cmp_lt_i32 s2, s13
	global_store_dword v[6:7], v10, off
	s_waitcnt vmcnt(0)
	global_store_dwordx2 v[8:9], v[4:5], off
	s_cbranch_scc1 .LBB217_5
.LBB217_6:
	s_inst_prefetch 0x2
	s_endpgm
	.section	.rodata,"a",@progbits
	.p2align	6, 0x0
	.amdhsa_kernel _ZN9rocsparseL33bsr2csr_block_per_row_8_32_kernelILj1024ELj32EdiiEEv20rocsparse_direction_T3_S2_21rocsparse_index_base_PKT1_PKT2_PKS2_S2_S3_PS4_PS7_PS2_
		.amdhsa_group_segment_fixed_size 0
		.amdhsa_private_segment_fixed_size 0
		.amdhsa_kernarg_size 72
		.amdhsa_user_sgpr_count 6
		.amdhsa_user_sgpr_private_segment_buffer 1
		.amdhsa_user_sgpr_dispatch_ptr 0
		.amdhsa_user_sgpr_queue_ptr 0
		.amdhsa_user_sgpr_kernarg_segment_ptr 1
		.amdhsa_user_sgpr_dispatch_id 0
		.amdhsa_user_sgpr_flat_scratch_init 0
		.amdhsa_user_sgpr_private_segment_size 0
		.amdhsa_wavefront_size32 1
		.amdhsa_uses_dynamic_stack 0
		.amdhsa_system_sgpr_private_segment_wavefront_offset 0
		.amdhsa_system_sgpr_workgroup_id_x 1
		.amdhsa_system_sgpr_workgroup_id_y 0
		.amdhsa_system_sgpr_workgroup_id_z 0
		.amdhsa_system_sgpr_workgroup_info 0
		.amdhsa_system_vgpr_workitem_id 0
		.amdhsa_next_free_vgpr 12
		.amdhsa_next_free_sgpr 18
		.amdhsa_reserve_vcc 1
		.amdhsa_reserve_flat_scratch 0
		.amdhsa_float_round_mode_32 0
		.amdhsa_float_round_mode_16_64 0
		.amdhsa_float_denorm_mode_32 3
		.amdhsa_float_denorm_mode_16_64 3
		.amdhsa_dx10_clamp 1
		.amdhsa_ieee_mode 1
		.amdhsa_fp16_overflow 0
		.amdhsa_workgroup_processor_mode 1
		.amdhsa_memory_ordered 1
		.amdhsa_forward_progress 1
		.amdhsa_shared_vgpr_count 0
		.amdhsa_exception_fp_ieee_invalid_op 0
		.amdhsa_exception_fp_denorm_src 0
		.amdhsa_exception_fp_ieee_div_zero 0
		.amdhsa_exception_fp_ieee_overflow 0
		.amdhsa_exception_fp_ieee_underflow 0
		.amdhsa_exception_fp_ieee_inexact 0
		.amdhsa_exception_int_div_zero 0
	.end_amdhsa_kernel
	.section	.text._ZN9rocsparseL33bsr2csr_block_per_row_8_32_kernelILj1024ELj32EdiiEEv20rocsparse_direction_T3_S2_21rocsparse_index_base_PKT1_PKT2_PKS2_S2_S3_PS4_PS7_PS2_,"axG",@progbits,_ZN9rocsparseL33bsr2csr_block_per_row_8_32_kernelILj1024ELj32EdiiEEv20rocsparse_direction_T3_S2_21rocsparse_index_base_PKT1_PKT2_PKS2_S2_S3_PS4_PS7_PS2_,comdat
.Lfunc_end217:
	.size	_ZN9rocsparseL33bsr2csr_block_per_row_8_32_kernelILj1024ELj32EdiiEEv20rocsparse_direction_T3_S2_21rocsparse_index_base_PKT1_PKT2_PKS2_S2_S3_PS4_PS7_PS2_, .Lfunc_end217-_ZN9rocsparseL33bsr2csr_block_per_row_8_32_kernelILj1024ELj32EdiiEEv20rocsparse_direction_T3_S2_21rocsparse_index_base_PKT1_PKT2_PKS2_S2_S3_PS4_PS7_PS2_
                                        ; -- End function
	.set _ZN9rocsparseL33bsr2csr_block_per_row_8_32_kernelILj1024ELj32EdiiEEv20rocsparse_direction_T3_S2_21rocsparse_index_base_PKT1_PKT2_PKS2_S2_S3_PS4_PS7_PS2_.num_vgpr, 12
	.set _ZN9rocsparseL33bsr2csr_block_per_row_8_32_kernelILj1024ELj32EdiiEEv20rocsparse_direction_T3_S2_21rocsparse_index_base_PKT1_PKT2_PKS2_S2_S3_PS4_PS7_PS2_.num_agpr, 0
	.set _ZN9rocsparseL33bsr2csr_block_per_row_8_32_kernelILj1024ELj32EdiiEEv20rocsparse_direction_T3_S2_21rocsparse_index_base_PKT1_PKT2_PKS2_S2_S3_PS4_PS7_PS2_.numbered_sgpr, 18
	.set _ZN9rocsparseL33bsr2csr_block_per_row_8_32_kernelILj1024ELj32EdiiEEv20rocsparse_direction_T3_S2_21rocsparse_index_base_PKT1_PKT2_PKS2_S2_S3_PS4_PS7_PS2_.num_named_barrier, 0
	.set _ZN9rocsparseL33bsr2csr_block_per_row_8_32_kernelILj1024ELj32EdiiEEv20rocsparse_direction_T3_S2_21rocsparse_index_base_PKT1_PKT2_PKS2_S2_S3_PS4_PS7_PS2_.private_seg_size, 0
	.set _ZN9rocsparseL33bsr2csr_block_per_row_8_32_kernelILj1024ELj32EdiiEEv20rocsparse_direction_T3_S2_21rocsparse_index_base_PKT1_PKT2_PKS2_S2_S3_PS4_PS7_PS2_.uses_vcc, 1
	.set _ZN9rocsparseL33bsr2csr_block_per_row_8_32_kernelILj1024ELj32EdiiEEv20rocsparse_direction_T3_S2_21rocsparse_index_base_PKT1_PKT2_PKS2_S2_S3_PS4_PS7_PS2_.uses_flat_scratch, 0
	.set _ZN9rocsparseL33bsr2csr_block_per_row_8_32_kernelILj1024ELj32EdiiEEv20rocsparse_direction_T3_S2_21rocsparse_index_base_PKT1_PKT2_PKS2_S2_S3_PS4_PS7_PS2_.has_dyn_sized_stack, 0
	.set _ZN9rocsparseL33bsr2csr_block_per_row_8_32_kernelILj1024ELj32EdiiEEv20rocsparse_direction_T3_S2_21rocsparse_index_base_PKT1_PKT2_PKS2_S2_S3_PS4_PS7_PS2_.has_recursion, 0
	.set _ZN9rocsparseL33bsr2csr_block_per_row_8_32_kernelILj1024ELj32EdiiEEv20rocsparse_direction_T3_S2_21rocsparse_index_base_PKT1_PKT2_PKS2_S2_S3_PS4_PS7_PS2_.has_indirect_call, 0
	.section	.AMDGPU.csdata,"",@progbits
; Kernel info:
; codeLenInByte = 552
; TotalNumSgprs: 20
; NumVgprs: 12
; ScratchSize: 0
; MemoryBound: 0
; FloatMode: 240
; IeeeMode: 1
; LDSByteSize: 0 bytes/workgroup (compile time only)
; SGPRBlocks: 0
; VGPRBlocks: 1
; NumSGPRsForWavesPerEU: 20
; NumVGPRsForWavesPerEU: 12
; Occupancy: 16
; WaveLimiterHint : 0
; COMPUTE_PGM_RSRC2:SCRATCH_EN: 0
; COMPUTE_PGM_RSRC2:USER_SGPR: 6
; COMPUTE_PGM_RSRC2:TRAP_HANDLER: 0
; COMPUTE_PGM_RSRC2:TGID_X_EN: 1
; COMPUTE_PGM_RSRC2:TGID_Y_EN: 0
; COMPUTE_PGM_RSRC2:TGID_Z_EN: 0
; COMPUTE_PGM_RSRC2:TIDIG_COMP_CNT: 0
	.section	.text._ZN9rocsparseL35bsr2csr_block_per_row_33_256_kernelILj1024ELj64ELj32EdiiEEv20rocsparse_direction_T4_S2_21rocsparse_index_base_PKT2_PKT3_PKS2_S2_S3_PS4_PS7_PS2_,"axG",@progbits,_ZN9rocsparseL35bsr2csr_block_per_row_33_256_kernelILj1024ELj64ELj32EdiiEEv20rocsparse_direction_T4_S2_21rocsparse_index_base_PKT2_PKT3_PKS2_S2_S3_PS4_PS7_PS2_,comdat
	.globl	_ZN9rocsparseL35bsr2csr_block_per_row_33_256_kernelILj1024ELj64ELj32EdiiEEv20rocsparse_direction_T4_S2_21rocsparse_index_base_PKT2_PKT3_PKS2_S2_S3_PS4_PS7_PS2_ ; -- Begin function _ZN9rocsparseL35bsr2csr_block_per_row_33_256_kernelILj1024ELj64ELj32EdiiEEv20rocsparse_direction_T4_S2_21rocsparse_index_base_PKT2_PKT3_PKS2_S2_S3_PS4_PS7_PS2_
	.p2align	8
	.type	_ZN9rocsparseL35bsr2csr_block_per_row_33_256_kernelILj1024ELj64ELj32EdiiEEv20rocsparse_direction_T4_S2_21rocsparse_index_base_PKT2_PKT3_PKS2_S2_S3_PS4_PS7_PS2_,@function
_ZN9rocsparseL35bsr2csr_block_per_row_33_256_kernelILj1024ELj64ELj32EdiiEEv20rocsparse_direction_T4_S2_21rocsparse_index_base_PKT2_PKT3_PKS2_S2_S3_PS4_PS7_PS2_: ; @_ZN9rocsparseL35bsr2csr_block_per_row_33_256_kernelILj1024ELj64ELj32EdiiEEv20rocsparse_direction_T4_S2_21rocsparse_index_base_PKT2_PKT3_PKS2_S2_S3_PS4_PS7_PS2_
; %bb.0:
	s_load_dwordx2 s[0:1], s[4:5], 0x18
	s_ashr_i32 s7, s6, 31
	s_clause 0x1
	s_load_dwordx2 s[8:9], s[4:5], 0x28
	s_load_dwordx2 s[2:3], s[4:5], 0x38
	s_lshl_b64 s[10:11], s[6:7], 2
	v_or_b32_e32 v1, s6, v0
	s_waitcnt lgkmcnt(0)
	s_add_u32 s0, s0, s10
	s_addc_u32 s1, s1, s11
	s_load_dwordx2 s[14:15], s[0:1], 0x0
	s_mov_b32 s0, exec_lo
	v_cmpx_eq_u32_e32 0, v1
	s_cbranch_execz .LBB218_2
; %bb.1:
	v_mov_b32_e32 v1, 0
	v_mov_b32_e32 v2, s9
	global_store_dword v1, v2, s[2:3]
.LBB218_2:
	s_or_b32 exec_lo, exec_lo, s0
	s_load_dword s17, s[4:5], 0xc
	v_lshrrev_b32_e32 v1, 5, v0
	s_mul_i32 s6, s8, s6
	v_cmp_gt_i32_e64 s0, s8, v1
	s_waitcnt lgkmcnt(0)
	s_sub_i32 s10, s14, s17
	s_sub_i32 s18, s15, s17
	s_mul_i32 s16, s8, s10
	s_sub_i32 s11, s18, s10
	s_mul_i32 s1, s16, s8
	s_mul_i32 s7, s11, s8
	s_add_i32 s1, s1, s9
	s_add_i32 s12, s1, s7
	s_and_saveexec_b32 s1, s0
	s_cbranch_execz .LBB218_4
; %bb.3:
	v_add_nc_u32_e32 v2, s6, v1
	v_mad_u64_u32 v[4:5], null, v1, s7, s[12:13]
	v_ashrrev_i32_e32 v3, 31, v2
	v_lshlrev_b64 v[2:3], 2, v[2:3]
	v_add_co_u32 v2, vcc_lo, s2, v2
	v_add_co_ci_u32_e64 v3, null, s3, v3, vcc_lo
	global_store_dword v[2:3], v4, off offset:4
.LBB218_4:
	s_or_b32 exec_lo, exec_lo, s1
	v_or_b32_e32 v2, 32, v1
	v_cmp_gt_i32_e64 s1, s8, v2
	s_and_saveexec_b32 s13, s1
	s_cbranch_execz .LBB218_6
; %bb.5:
	s_ashr_i32 s19, s6, 31
	v_add_co_u32 v3, s6, v1, s6
	v_add_co_ci_u32_e64 v4, null, 0, s19, s6
	v_mad_u64_u32 v[5:6], null, v2, s7, s[12:13]
	v_lshlrev_b64 v[3:4], 2, v[3:4]
	v_add_co_u32 v2, vcc_lo, s2, v3
	v_add_co_ci_u32_e64 v3, null, s3, v4, vcc_lo
	global_store_dword v[2:3], v5, off offset:132
.LBB218_6:
	s_or_b32 exec_lo, exec_lo, s13
	s_cmp_lt_i32 s14, s15
	s_cbranch_scc0 .LBB218_17
; %bb.7:
	s_clause 0x3
	s_load_dwordx2 s[20:21], s[4:5], 0x20
	s_load_dwordx2 s[6:7], s[4:5], 0x30
	s_load_dword s22, s[4:5], 0x0
	s_load_dwordx2 s[12:13], s[4:5], 0x10
	v_mad_u64_u32 v[8:9], null, v1, s11, s[16:17]
	v_and_b32_e32 v0, 31, v0
	s_load_dwordx2 s[4:5], s[4:5], 0x40
	v_add_nc_u32_e32 v3, s16, v1
	s_mul_i32 s19, s8, s8
	v_add_nc_u32_e32 v5, s16, v0
	v_lshl_add_u32 v6, s15, 5, v8
	v_or_b32_e32 v2, 32, v0
	v_add_nc_u32_e32 v4, 32, v3
	v_cmp_gt_i32_e64 s2, s8, v0
	v_add_nc_u32_e32 v7, 32, v5
	v_mul_lo_u32 v3, s8, v3
	v_cmp_gt_i32_e64 s3, s8, v2
	v_mul_lo_u32 v4, s8, v4
	v_mul_lo_u32 v5, s8, v5
	;; [unrolled: 1-line block ×3, first 2 shown]
	s_waitcnt lgkmcnt(0)
	s_cmp_eq_u32 s22, 0
	s_cselect_b32 vcc_lo, -1, 0
	s_lshl_b32 s11, s14, 5
	s_and_b32 s14, s0, s2
	v_subrev_nc_u32_e32 v9, s11, v6
	v_mul_lo_u32 v6, s8, v7
	s_ashr_i32 s11, s10, 31
	s_and_b32 s15, s0, s3
	s_lshl_b64 s[22:23], s[10:11], 2
	v_mul_lo_u32 v7, s8, v9
	s_and_b32 s16, s1, s2
	s_and_b32 s1, s1, s3
	s_add_u32 s2, s20, s22
	s_addc_u32 s3, s21, s23
	s_branch .LBB218_9
.LBB218_8:                              ;   in Loop: Header=BB218_9 Depth=1
	s_or_b32 exec_lo, exec_lo, s11
	s_add_i32 s10, s10, 1
	v_add_nc_u32_e32 v4, s19, v4
	v_add_nc_u32_e32 v3, s19, v3
	;; [unrolled: 1-line block ×5, first 2 shown]
	s_add_u32 s2, s2, 4
	s_addc_u32 s3, s3, 0
	s_cmp_ge_i32 s10, s18
	s_cbranch_scc1 .LBB218_17
.LBB218_9:                              ; =>This Inner Loop Header: Depth=1
	s_load_dword s0, s[2:3], 0x0
	s_waitcnt lgkmcnt(0)
	s_sub_i32 s0, s0, s17
	s_mul_i32 s11, s0, s8
	s_add_i32 s11, s11, s9
	v_add_nc_u32_e32 v9, s11, v0
	s_and_saveexec_b32 s20, s14
	s_cbranch_execz .LBB218_11
; %bb.10:                               ;   in Loop: Header=BB218_9 Depth=1
	v_add_nc_u32_e32 v10, v0, v3
	v_add_nc_u32_e32 v11, v5, v1
	;; [unrolled: 1-line block ×3, first 2 shown]
	v_cndmask_b32_e32 v10, v11, v10, vcc_lo
	v_ashrrev_i32_e32 v13, 31, v12
	v_ashrrev_i32_e32 v11, 31, v10
	v_lshlrev_b64 v[14:15], 2, v[12:13]
	v_lshlrev_b64 v[12:13], 3, v[12:13]
	;; [unrolled: 1-line block ×3, first 2 shown]
	v_add_co_u32 v10, s0, s12, v10
	v_add_co_ci_u32_e64 v11, null, s13, v11, s0
	v_add_co_u32 v14, s0, s4, v14
	v_add_co_ci_u32_e64 v15, null, s5, v15, s0
	global_load_dwordx2 v[10:11], v[10:11], off
	v_add_co_u32 v12, s0, s6, v12
	v_add_co_ci_u32_e64 v13, null, s7, v13, s0
	global_store_dword v[14:15], v9, off
	s_waitcnt vmcnt(0)
	global_store_dwordx2 v[12:13], v[10:11], off
.LBB218_11:                             ;   in Loop: Header=BB218_9 Depth=1
	s_or_b32 exec_lo, exec_lo, s20
	v_add_nc_u32_e32 v10, s11, v2
	v_add_nc_u32_e32 v11, v6, v1
	s_and_saveexec_b32 s11, s15
	s_cbranch_execnz .LBB218_14
; %bb.12:                               ;   in Loop: Header=BB218_9 Depth=1
	s_or_b32 exec_lo, exec_lo, s11
	v_add_nc_u32_e32 v12, v0, v4
	s_and_saveexec_b32 s11, s16
	s_cbranch_execnz .LBB218_15
.LBB218_13:                             ;   in Loop: Header=BB218_9 Depth=1
	s_or_b32 exec_lo, exec_lo, s11
	s_and_saveexec_b32 s11, s1
	s_cbranch_execz .LBB218_8
	s_branch .LBB218_16
.LBB218_14:                             ;   in Loop: Header=BB218_9 Depth=1
	v_add3_u32 v12, v0, v3, 32
	v_add3_u32 v14, v0, v8, 32
	v_cndmask_b32_e32 v12, v11, v12, vcc_lo
	v_ashrrev_i32_e32 v15, 31, v14
	v_ashrrev_i32_e32 v13, 31, v12
	v_lshlrev_b64 v[16:17], 2, v[14:15]
	v_lshlrev_b64 v[14:15], 3, v[14:15]
	;; [unrolled: 1-line block ×3, first 2 shown]
	v_add_co_u32 v12, s0, s12, v12
	v_add_co_ci_u32_e64 v13, null, s13, v13, s0
	v_add_co_u32 v16, s0, s4, v16
	v_add_co_ci_u32_e64 v17, null, s5, v17, s0
	global_load_dwordx2 v[12:13], v[12:13], off
	v_add_co_u32 v14, s0, s6, v14
	v_add_co_ci_u32_e64 v15, null, s7, v15, s0
	global_store_dword v[16:17], v10, off
	s_waitcnt vmcnt(0)
	global_store_dwordx2 v[14:15], v[12:13], off
	s_or_b32 exec_lo, exec_lo, s11
	v_add_nc_u32_e32 v12, v0, v4
	s_and_saveexec_b32 s11, s16
	s_cbranch_execz .LBB218_13
.LBB218_15:                             ;   in Loop: Header=BB218_9 Depth=1
	v_add3_u32 v13, v5, v1, 32
	v_add_nc_u32_e32 v15, v0, v7
	v_cndmask_b32_e32 v13, v13, v12, vcc_lo
	v_ashrrev_i32_e32 v16, 31, v15
	v_ashrrev_i32_e32 v14, 31, v13
	v_lshlrev_b64 v[17:18], 2, v[15:16]
	v_lshlrev_b64 v[15:16], 3, v[15:16]
	;; [unrolled: 1-line block ×3, first 2 shown]
	v_add_co_u32 v13, s0, s12, v13
	v_add_co_ci_u32_e64 v14, null, s13, v14, s0
	v_add_co_u32 v17, s0, s4, v17
	v_add_co_ci_u32_e64 v18, null, s5, v18, s0
	global_load_dwordx2 v[13:14], v[13:14], off
	v_add_co_u32 v15, s0, s6, v15
	v_add_co_ci_u32_e64 v16, null, s7, v16, s0
	global_store_dword v[17:18], v9, off
	s_waitcnt vmcnt(0)
	global_store_dwordx2 v[15:16], v[13:14], off
	s_or_b32 exec_lo, exec_lo, s11
	s_and_saveexec_b32 s11, s1
	s_cbranch_execz .LBB218_8
.LBB218_16:                             ;   in Loop: Header=BB218_9 Depth=1
	v_cndmask_b32_e32 v9, v11, v12, vcc_lo
	v_add3_u32 v13, v0, v7, 32
	v_add_nc_u32_e32 v11, 32, v9
	v_ashrrev_i32_e32 v14, 31, v13
	v_ashrrev_i32_e32 v12, 31, v11
	v_lshlrev_b64 v[15:16], 2, v[13:14]
	v_lshlrev_b64 v[13:14], 3, v[13:14]
	v_lshlrev_b64 v[11:12], 3, v[11:12]
	v_add_co_u32 v11, s0, s12, v11
	v_add_co_ci_u32_e64 v12, null, s13, v12, s0
	v_add_co_u32 v15, s0, s4, v15
	v_add_co_ci_u32_e64 v16, null, s5, v16, s0
	global_load_dwordx2 v[11:12], v[11:12], off
	v_add_co_u32 v13, s0, s6, v13
	v_add_co_ci_u32_e64 v14, null, s7, v14, s0
	global_store_dword v[15:16], v10, off
	s_waitcnt vmcnt(0)
	global_store_dwordx2 v[13:14], v[11:12], off
	s_branch .LBB218_8
.LBB218_17:
	s_endpgm
	.section	.rodata,"a",@progbits
	.p2align	6, 0x0
	.amdhsa_kernel _ZN9rocsparseL35bsr2csr_block_per_row_33_256_kernelILj1024ELj64ELj32EdiiEEv20rocsparse_direction_T4_S2_21rocsparse_index_base_PKT2_PKT3_PKS2_S2_S3_PS4_PS7_PS2_
		.amdhsa_group_segment_fixed_size 0
		.amdhsa_private_segment_fixed_size 0
		.amdhsa_kernarg_size 72
		.amdhsa_user_sgpr_count 6
		.amdhsa_user_sgpr_private_segment_buffer 1
		.amdhsa_user_sgpr_dispatch_ptr 0
		.amdhsa_user_sgpr_queue_ptr 0
		.amdhsa_user_sgpr_kernarg_segment_ptr 1
		.amdhsa_user_sgpr_dispatch_id 0
		.amdhsa_user_sgpr_flat_scratch_init 0
		.amdhsa_user_sgpr_private_segment_size 0
		.amdhsa_wavefront_size32 1
		.amdhsa_uses_dynamic_stack 0
		.amdhsa_system_sgpr_private_segment_wavefront_offset 0
		.amdhsa_system_sgpr_workgroup_id_x 1
		.amdhsa_system_sgpr_workgroup_id_y 0
		.amdhsa_system_sgpr_workgroup_id_z 0
		.amdhsa_system_sgpr_workgroup_info 0
		.amdhsa_system_vgpr_workitem_id 0
		.amdhsa_next_free_vgpr 19
		.amdhsa_next_free_sgpr 24
		.amdhsa_reserve_vcc 1
		.amdhsa_reserve_flat_scratch 0
		.amdhsa_float_round_mode_32 0
		.amdhsa_float_round_mode_16_64 0
		.amdhsa_float_denorm_mode_32 3
		.amdhsa_float_denorm_mode_16_64 3
		.amdhsa_dx10_clamp 1
		.amdhsa_ieee_mode 1
		.amdhsa_fp16_overflow 0
		.amdhsa_workgroup_processor_mode 1
		.amdhsa_memory_ordered 1
		.amdhsa_forward_progress 1
		.amdhsa_shared_vgpr_count 0
		.amdhsa_exception_fp_ieee_invalid_op 0
		.amdhsa_exception_fp_denorm_src 0
		.amdhsa_exception_fp_ieee_div_zero 0
		.amdhsa_exception_fp_ieee_overflow 0
		.amdhsa_exception_fp_ieee_underflow 0
		.amdhsa_exception_fp_ieee_inexact 0
		.amdhsa_exception_int_div_zero 0
	.end_amdhsa_kernel
	.section	.text._ZN9rocsparseL35bsr2csr_block_per_row_33_256_kernelILj1024ELj64ELj32EdiiEEv20rocsparse_direction_T4_S2_21rocsparse_index_base_PKT2_PKT3_PKS2_S2_S3_PS4_PS7_PS2_,"axG",@progbits,_ZN9rocsparseL35bsr2csr_block_per_row_33_256_kernelILj1024ELj64ELj32EdiiEEv20rocsparse_direction_T4_S2_21rocsparse_index_base_PKT2_PKT3_PKS2_S2_S3_PS4_PS7_PS2_,comdat
.Lfunc_end218:
	.size	_ZN9rocsparseL35bsr2csr_block_per_row_33_256_kernelILj1024ELj64ELj32EdiiEEv20rocsparse_direction_T4_S2_21rocsparse_index_base_PKT2_PKT3_PKS2_S2_S3_PS4_PS7_PS2_, .Lfunc_end218-_ZN9rocsparseL35bsr2csr_block_per_row_33_256_kernelILj1024ELj64ELj32EdiiEEv20rocsparse_direction_T4_S2_21rocsparse_index_base_PKT2_PKT3_PKS2_S2_S3_PS4_PS7_PS2_
                                        ; -- End function
	.set _ZN9rocsparseL35bsr2csr_block_per_row_33_256_kernelILj1024ELj64ELj32EdiiEEv20rocsparse_direction_T4_S2_21rocsparse_index_base_PKT2_PKT3_PKS2_S2_S3_PS4_PS7_PS2_.num_vgpr, 19
	.set _ZN9rocsparseL35bsr2csr_block_per_row_33_256_kernelILj1024ELj64ELj32EdiiEEv20rocsparse_direction_T4_S2_21rocsparse_index_base_PKT2_PKT3_PKS2_S2_S3_PS4_PS7_PS2_.num_agpr, 0
	.set _ZN9rocsparseL35bsr2csr_block_per_row_33_256_kernelILj1024ELj64ELj32EdiiEEv20rocsparse_direction_T4_S2_21rocsparse_index_base_PKT2_PKT3_PKS2_S2_S3_PS4_PS7_PS2_.numbered_sgpr, 24
	.set _ZN9rocsparseL35bsr2csr_block_per_row_33_256_kernelILj1024ELj64ELj32EdiiEEv20rocsparse_direction_T4_S2_21rocsparse_index_base_PKT2_PKT3_PKS2_S2_S3_PS4_PS7_PS2_.num_named_barrier, 0
	.set _ZN9rocsparseL35bsr2csr_block_per_row_33_256_kernelILj1024ELj64ELj32EdiiEEv20rocsparse_direction_T4_S2_21rocsparse_index_base_PKT2_PKT3_PKS2_S2_S3_PS4_PS7_PS2_.private_seg_size, 0
	.set _ZN9rocsparseL35bsr2csr_block_per_row_33_256_kernelILj1024ELj64ELj32EdiiEEv20rocsparse_direction_T4_S2_21rocsparse_index_base_PKT2_PKT3_PKS2_S2_S3_PS4_PS7_PS2_.uses_vcc, 1
	.set _ZN9rocsparseL35bsr2csr_block_per_row_33_256_kernelILj1024ELj64ELj32EdiiEEv20rocsparse_direction_T4_S2_21rocsparse_index_base_PKT2_PKT3_PKS2_S2_S3_PS4_PS7_PS2_.uses_flat_scratch, 0
	.set _ZN9rocsparseL35bsr2csr_block_per_row_33_256_kernelILj1024ELj64ELj32EdiiEEv20rocsparse_direction_T4_S2_21rocsparse_index_base_PKT2_PKT3_PKS2_S2_S3_PS4_PS7_PS2_.has_dyn_sized_stack, 0
	.set _ZN9rocsparseL35bsr2csr_block_per_row_33_256_kernelILj1024ELj64ELj32EdiiEEv20rocsparse_direction_T4_S2_21rocsparse_index_base_PKT2_PKT3_PKS2_S2_S3_PS4_PS7_PS2_.has_recursion, 0
	.set _ZN9rocsparseL35bsr2csr_block_per_row_33_256_kernelILj1024ELj64ELj32EdiiEEv20rocsparse_direction_T4_S2_21rocsparse_index_base_PKT2_PKT3_PKS2_S2_S3_PS4_PS7_PS2_.has_indirect_call, 0
	.section	.AMDGPU.csdata,"",@progbits
; Kernel info:
; codeLenInByte = 1180
; TotalNumSgprs: 26
; NumVgprs: 19
; ScratchSize: 0
; MemoryBound: 0
; FloatMode: 240
; IeeeMode: 1
; LDSByteSize: 0 bytes/workgroup (compile time only)
; SGPRBlocks: 0
; VGPRBlocks: 2
; NumSGPRsForWavesPerEU: 26
; NumVGPRsForWavesPerEU: 19
; Occupancy: 16
; WaveLimiterHint : 1
; COMPUTE_PGM_RSRC2:SCRATCH_EN: 0
; COMPUTE_PGM_RSRC2:USER_SGPR: 6
; COMPUTE_PGM_RSRC2:TRAP_HANDLER: 0
; COMPUTE_PGM_RSRC2:TGID_X_EN: 1
; COMPUTE_PGM_RSRC2:TGID_Y_EN: 0
; COMPUTE_PGM_RSRC2:TGID_Z_EN: 0
; COMPUTE_PGM_RSRC2:TIDIG_COMP_CNT: 0
	.section	.text._ZN9rocsparseL35bsr2csr_block_per_row_33_256_kernelILj1024ELj128ELj32EdiiEEv20rocsparse_direction_T4_S2_21rocsparse_index_base_PKT2_PKT3_PKS2_S2_S3_PS4_PS7_PS2_,"axG",@progbits,_ZN9rocsparseL35bsr2csr_block_per_row_33_256_kernelILj1024ELj128ELj32EdiiEEv20rocsparse_direction_T4_S2_21rocsparse_index_base_PKT2_PKT3_PKS2_S2_S3_PS4_PS7_PS2_,comdat
	.globl	_ZN9rocsparseL35bsr2csr_block_per_row_33_256_kernelILj1024ELj128ELj32EdiiEEv20rocsparse_direction_T4_S2_21rocsparse_index_base_PKT2_PKT3_PKS2_S2_S3_PS4_PS7_PS2_ ; -- Begin function _ZN9rocsparseL35bsr2csr_block_per_row_33_256_kernelILj1024ELj128ELj32EdiiEEv20rocsparse_direction_T4_S2_21rocsparse_index_base_PKT2_PKT3_PKS2_S2_S3_PS4_PS7_PS2_
	.p2align	8
	.type	_ZN9rocsparseL35bsr2csr_block_per_row_33_256_kernelILj1024ELj128ELj32EdiiEEv20rocsparse_direction_T4_S2_21rocsparse_index_base_PKT2_PKT3_PKS2_S2_S3_PS4_PS7_PS2_,@function
_ZN9rocsparseL35bsr2csr_block_per_row_33_256_kernelILj1024ELj128ELj32EdiiEEv20rocsparse_direction_T4_S2_21rocsparse_index_base_PKT2_PKT3_PKS2_S2_S3_PS4_PS7_PS2_: ; @_ZN9rocsparseL35bsr2csr_block_per_row_33_256_kernelILj1024ELj128ELj32EdiiEEv20rocsparse_direction_T4_S2_21rocsparse_index_base_PKT2_PKT3_PKS2_S2_S3_PS4_PS7_PS2_
; %bb.0:
	s_load_dwordx2 s[0:1], s[4:5], 0x18
	s_ashr_i32 s7, s6, 31
	s_clause 0x1
	s_load_dwordx2 s[8:9], s[4:5], 0x28
	s_load_dwordx2 s[12:13], s[4:5], 0x38
	s_lshl_b64 s[2:3], s[6:7], 2
	v_or_b32_e32 v1, s6, v0
	s_waitcnt lgkmcnt(0)
	s_add_u32 s0, s0, s2
	s_addc_u32 s1, s1, s3
	s_load_dwordx2 s[18:19], s[0:1], 0x0
	s_mov_b32 s0, exec_lo
	v_cmpx_eq_u32_e32 0, v1
	s_cbranch_execz .LBB219_2
; %bb.1:
	v_mov_b32_e32 v1, 0
	v_mov_b32_e32 v2, s9
	global_store_dword v1, v2, s[12:13]
.LBB219_2:
	s_or_b32 exec_lo, exec_lo, s0
	s_load_dword s21, s[4:5], 0xc
	v_lshrrev_b32_e32 v4, 5, v0
	s_mul_i32 s6, s8, s6
	v_cmp_gt_i32_e64 s0, s8, v4
	s_waitcnt lgkmcnt(0)
	s_sub_i32 s10, s18, s21
	s_sub_i32 s24, s19, s21
	s_mul_i32 s20, s8, s10
	s_sub_i32 s11, s24, s10
	s_mul_i32 s1, s20, s8
	s_mul_i32 s7, s11, s8
	s_add_i32 s1, s1, s9
	s_add_i32 s14, s1, s7
	s_and_saveexec_b32 s1, s0
	s_cbranch_execz .LBB219_4
; %bb.3:
	v_add_nc_u32_e32 v1, s6, v4
	v_mad_u64_u32 v[5:6], null, v4, s7, s[14:15]
	v_ashrrev_i32_e32 v2, 31, v1
	v_lshlrev_b64 v[1:2], 2, v[1:2]
	v_add_co_u32 v1, vcc_lo, s12, v1
	v_add_co_ci_u32_e64 v2, null, s13, v2, vcc_lo
	global_store_dword v[1:2], v5, off offset:4
.LBB219_4:
	s_or_b32 exec_lo, exec_lo, s1
	v_or_b32_e32 v1, 32, v4
	v_cmp_gt_i32_e64 s2, s8, v1
	s_and_saveexec_b32 s1, s2
	s_cbranch_execz .LBB219_6
; %bb.5:
	s_ashr_i32 s3, s6, 31
	v_add_co_u32 v2, s15, v4, s6
	v_add_co_ci_u32_e64 v3, null, 0, s3, s15
	v_mad_u64_u32 v[5:6], null, v1, s7, s[14:15]
	v_lshlrev_b64 v[2:3], 2, v[2:3]
	v_add_co_u32 v1, vcc_lo, s12, v2
	v_add_co_ci_u32_e64 v2, null, s13, v3, vcc_lo
	global_store_dword v[1:2], v5, off offset:132
.LBB219_6:
	s_or_b32 exec_lo, exec_lo, s1
	v_or_b32_e32 v1, 64, v4
	v_cmp_gt_i32_e64 s3, s8, v1
	s_and_saveexec_b32 s1, s3
	s_cbranch_execz .LBB219_8
; %bb.7:
	s_ashr_i32 s15, s6, 31
	v_add_co_u32 v2, s16, v4, s6
	v_add_co_ci_u32_e64 v3, null, 0, s15, s16
	v_mad_u64_u32 v[5:6], null, v1, s7, s[14:15]
	v_lshlrev_b64 v[2:3], 2, v[2:3]
	v_add_co_u32 v1, vcc_lo, s12, v2
	v_add_co_ci_u32_e64 v2, null, s13, v3, vcc_lo
	global_store_dword v[1:2], v5, off offset:260
.LBB219_8:
	;; [unrolled: 15-line block ×3, first 2 shown]
	s_or_b32 exec_lo, exec_lo, s15
	s_cmp_lt_i32 s18, s19
	s_cbranch_scc0 .LBB219_45
; %bb.11:
	s_clause 0x2
	s_load_dwordx2 s[22:23], s[4:5], 0x20
	s_load_dwordx2 s[12:13], s[4:5], 0x30
	s_load_dword s7, s[4:5], 0x0
	v_mad_u64_u32 v[15:16], null, v4, s11, s[20:21]
	v_and_b32_e32 v5, 31, v0
	v_add_nc_u32_e32 v0, s20, v4
	s_clause 0x1
	s_load_dwordx2 s[14:15], s[4:5], 0x10
	s_load_dwordx2 s[16:17], s[4:5], 0x40
	s_mul_i32 s25, s8, s8
	s_mov_b32 s26, 0
	v_or_b32_e32 v6, 32, v5
	v_or_b32_e32 v7, 64, v5
	;; [unrolled: 1-line block ×3, first 2 shown]
	v_add_nc_u32_e32 v1, 32, v0
	v_add_nc_u32_e32 v17, s20, v5
	;; [unrolled: 1-line block ×3, first 2 shown]
	v_lshl_add_u32 v16, s19, 5, v15
	v_cmp_gt_i32_e64 s4, s8, v5
	v_cmp_gt_i32_e64 s5, s8, v6
	;; [unrolled: 1-line block ×3, first 2 shown]
	v_mul_lo_u32 v9, s8, v1
	v_add_nc_u32_e32 v1, 0x60, v17
	s_waitcnt lgkmcnt(0)
	s_cmp_eq_u32 s7, 0
	v_cmp_gt_i32_e64 s7, s8, v8
	v_mul_lo_u32 v10, s8, v2
	v_add_nc_u32_e32 v2, 64, v17
	v_mad_u64_u32 v[13:14], null, 0x60, s19, v[15:16]
	v_lshl_add_u32 v14, s19, 6, v15
	s_cselect_b32 vcc_lo, -1, 0
	s_and_b32 s27, s0, s4
	s_and_b32 s28, s0, s5
	;; [unrolled: 1-line block ×4, first 2 shown]
	v_add_nc_u32_e32 v3, 0x60, v0
	v_mul_lo_u32 v12, s8, v0
	v_mad_u64_u32 v[0:1], null, s8, v1, v[4:5]
	s_lshl_b32 s0, s18, 5
	v_mad_u64_u32 v[1:2], null, s8, v2, v[4:5]
	s_and_b32 s31, s2, s4
	s_and_b32 s33, s2, s5
	;; [unrolled: 1-line block ×4, first 2 shown]
	v_add_nc_u32_e32 v2, 32, v17
	v_subrev_nc_u32_e32 v16, s0, v16
	s_lshl_b32 s0, s18, 6
	s_mul_i32 s2, s18, 0x60
	v_subrev_nc_u32_e32 v14, s0, v14
	v_subrev_nc_u32_e32 v18, s2, v13
	v_mul_lo_u32 v11, s8, v3
	v_mad_u64_u32 v[2:3], null, s8, v2, v[4:5]
	v_mad_u64_u32 v[3:4], null, s8, v17, v[4:5]
	v_mul_lo_u32 v4, s8, v16
	v_mul_lo_u32 v13, s8, v14
	;; [unrolled: 1-line block ×4, first 2 shown]
	s_ashr_i32 s11, s10, 31
	s_and_b32 s36, s3, s4
	s_and_b32 s37, s3, s5
	;; [unrolled: 1-line block ×4, first 2 shown]
	s_lshl_b64 s[2:3], s[10:11], 2
	s_and_b32 s4, s1, s4
	s_and_b32 s5, s1, s5
	s_and_b32 s6, s1, s6
	s_and_b32 s1, s1, s7
	s_add_u32 s2, s22, s2
	s_addc_u32 s3, s23, s3
	s_branch .LBB219_13
.LBB219_12:                             ;   in Loop: Header=BB219_13 Depth=1
	s_or_b32 exec_lo, exec_lo, s7
	s_add_i32 s10, s10, 1
	v_add_nc_u32_e32 v9, s25, v9
	v_add_nc_u32_e32 v10, s25, v10
	;; [unrolled: 1-line block ×4, first 2 shown]
	s_add_i32 s26, s26, s25
	v_add_nc_u32_e32 v4, s8, v4
	v_add_nc_u32_e32 v13, s8, v13
	;; [unrolled: 1-line block ×4, first 2 shown]
	s_add_u32 s2, s2, 4
	s_addc_u32 s3, s3, 0
	s_cmp_ge_i32 s10, s24
	s_cbranch_scc1 .LBB219_45
.LBB219_13:                             ; =>This Inner Loop Header: Depth=1
	s_load_dword s0, s[2:3], 0x0
	s_waitcnt lgkmcnt(0)
	s_sub_i32 s0, s0, s21
	s_mul_i32 s7, s0, s8
	s_add_i32 s7, s7, s9
	v_add_nc_u32_e32 v16, s7, v5
	s_and_saveexec_b32 s11, s27
	s_cbranch_execz .LBB219_15
; %bb.14:                               ;   in Loop: Header=BB219_13 Depth=1
	v_add_nc_u32_e32 v17, v5, v12
	v_add_nc_u32_e32 v18, s26, v3
	v_add_nc_u32_e32 v19, v5, v15
	v_cndmask_b32_e32 v17, v18, v17, vcc_lo
	v_ashrrev_i32_e32 v20, 31, v19
	v_ashrrev_i32_e32 v18, 31, v17
	v_lshlrev_b64 v[21:22], 2, v[19:20]
	v_lshlrev_b64 v[19:20], 3, v[19:20]
	;; [unrolled: 1-line block ×3, first 2 shown]
	v_add_co_u32 v17, s0, s14, v17
	v_add_co_ci_u32_e64 v18, null, s15, v18, s0
	v_add_co_u32 v21, s0, s16, v21
	v_add_co_ci_u32_e64 v22, null, s17, v22, s0
	global_load_dwordx2 v[17:18], v[17:18], off
	v_add_co_u32 v19, s0, s12, v19
	v_add_co_ci_u32_e64 v20, null, s13, v20, s0
	global_store_dword v[21:22], v16, off
	s_waitcnt vmcnt(0)
	global_store_dwordx2 v[19:20], v[17:18], off
.LBB219_15:                             ;   in Loop: Header=BB219_13 Depth=1
	s_or_b32 exec_lo, exec_lo, s11
	v_add_nc_u32_e32 v17, s7, v6
	v_add_nc_u32_e32 v22, s26, v2
	s_and_saveexec_b32 s11, s28
	s_cbranch_execz .LBB219_17
; %bb.16:                               ;   in Loop: Header=BB219_13 Depth=1
	v_add3_u32 v18, v5, v12, 32
	v_add3_u32 v20, v5, v15, 32
	v_cndmask_b32_e32 v18, v22, v18, vcc_lo
	v_ashrrev_i32_e32 v21, 31, v20
	v_ashrrev_i32_e32 v19, 31, v18
	v_lshlrev_b64 v[23:24], 2, v[20:21]
	v_lshlrev_b64 v[20:21], 3, v[20:21]
	;; [unrolled: 1-line block ×3, first 2 shown]
	v_add_co_u32 v18, s0, s14, v18
	v_add_co_ci_u32_e64 v19, null, s15, v19, s0
	v_add_co_u32 v23, s0, s16, v23
	v_add_co_ci_u32_e64 v24, null, s17, v24, s0
	global_load_dwordx2 v[18:19], v[18:19], off
	v_add_co_u32 v20, s0, s12, v20
	v_add_co_ci_u32_e64 v21, null, s13, v21, s0
	global_store_dword v[23:24], v17, off
	s_waitcnt vmcnt(0)
	global_store_dwordx2 v[20:21], v[18:19], off
.LBB219_17:                             ;   in Loop: Header=BB219_13 Depth=1
	s_or_b32 exec_lo, exec_lo, s11
	v_add_nc_u32_e32 v18, s7, v7
	v_add_nc_u32_e32 v21, s26, v1
	s_and_saveexec_b32 s11, s29
	s_cbranch_execz .LBB219_19
; %bb.18:                               ;   in Loop: Header=BB219_13 Depth=1
	v_add3_u32 v19, v5, v12, 64
	v_add3_u32 v23, v5, v15, 64
	v_cndmask_b32_e32 v19, v21, v19, vcc_lo
	v_ashrrev_i32_e32 v24, 31, v23
	v_ashrrev_i32_e32 v20, 31, v19
	v_lshlrev_b64 v[25:26], 2, v[23:24]
	v_lshlrev_b64 v[23:24], 3, v[23:24]
	;; [unrolled: 1-line block ×3, first 2 shown]
	v_add_co_u32 v19, s0, s14, v19
	v_add_co_ci_u32_e64 v20, null, s15, v20, s0
	v_add_co_u32 v25, s0, s16, v25
	v_add_co_ci_u32_e64 v26, null, s17, v26, s0
	global_load_dwordx2 v[19:20], v[19:20], off
	v_add_co_u32 v23, s0, s12, v23
	v_add_co_ci_u32_e64 v24, null, s13, v24, s0
	global_store_dword v[25:26], v18, off
	s_waitcnt vmcnt(0)
	global_store_dwordx2 v[23:24], v[19:20], off
.LBB219_19:                             ;   in Loop: Header=BB219_13 Depth=1
	s_or_b32 exec_lo, exec_lo, s11
	v_add_nc_u32_e32 v19, s7, v8
	v_add_nc_u32_e32 v20, s26, v0
	s_and_saveexec_b32 s7, s30
	s_cbranch_execnz .LBB219_32
; %bb.20:                               ;   in Loop: Header=BB219_13 Depth=1
	s_or_b32 exec_lo, exec_lo, s7
	v_add_nc_u32_e32 v23, v5, v9
	s_and_saveexec_b32 s7, s31
	s_cbranch_execnz .LBB219_33
.LBB219_21:                             ;   in Loop: Header=BB219_13 Depth=1
	s_or_b32 exec_lo, exec_lo, s7
	s_and_saveexec_b32 s7, s33
	s_cbranch_execnz .LBB219_34
.LBB219_22:                             ;   in Loop: Header=BB219_13 Depth=1
	s_or_b32 exec_lo, exec_lo, s7
	s_and_saveexec_b32 s7, s34
	s_cbranch_execnz .LBB219_35
.LBB219_23:                             ;   in Loop: Header=BB219_13 Depth=1
	s_or_b32 exec_lo, exec_lo, s7
	s_and_saveexec_b32 s7, s35
	s_cbranch_execnz .LBB219_36
.LBB219_24:                             ;   in Loop: Header=BB219_13 Depth=1
	s_or_b32 exec_lo, exec_lo, s7
	v_add_nc_u32_e32 v22, v5, v10
	s_and_saveexec_b32 s7, s36
	s_cbranch_execnz .LBB219_37
.LBB219_25:                             ;   in Loop: Header=BB219_13 Depth=1
	s_or_b32 exec_lo, exec_lo, s7
	s_and_saveexec_b32 s7, s37
	s_cbranch_execnz .LBB219_38
.LBB219_26:                             ;   in Loop: Header=BB219_13 Depth=1
	s_or_b32 exec_lo, exec_lo, s7
	s_and_saveexec_b32 s7, s38
	s_cbranch_execnz .LBB219_39
.LBB219_27:                             ;   in Loop: Header=BB219_13 Depth=1
	s_or_b32 exec_lo, exec_lo, s7
	s_and_saveexec_b32 s7, s39
	s_cbranch_execnz .LBB219_40
.LBB219_28:                             ;   in Loop: Header=BB219_13 Depth=1
	s_or_b32 exec_lo, exec_lo, s7
	v_add_nc_u32_e32 v21, v5, v11
	s_and_saveexec_b32 s7, s4
	s_cbranch_execnz .LBB219_41
.LBB219_29:                             ;   in Loop: Header=BB219_13 Depth=1
	s_or_b32 exec_lo, exec_lo, s7
	s_and_saveexec_b32 s7, s5
	s_cbranch_execnz .LBB219_42
.LBB219_30:                             ;   in Loop: Header=BB219_13 Depth=1
	s_or_b32 exec_lo, exec_lo, s7
	s_and_saveexec_b32 s7, s6
	s_cbranch_execnz .LBB219_43
.LBB219_31:                             ;   in Loop: Header=BB219_13 Depth=1
	s_or_b32 exec_lo, exec_lo, s7
	s_and_saveexec_b32 s7, s1
	s_cbranch_execz .LBB219_12
	s_branch .LBB219_44
.LBB219_32:                             ;   in Loop: Header=BB219_13 Depth=1
	v_add3_u32 v23, v5, v12, 0x60
	v_add3_u32 v25, v5, v15, 0x60
	v_cndmask_b32_e32 v23, v20, v23, vcc_lo
	v_ashrrev_i32_e32 v26, 31, v25
	v_ashrrev_i32_e32 v24, 31, v23
	v_lshlrev_b64 v[27:28], 2, v[25:26]
	v_lshlrev_b64 v[25:26], 3, v[25:26]
	;; [unrolled: 1-line block ×3, first 2 shown]
	v_add_co_u32 v23, s0, s14, v23
	v_add_co_ci_u32_e64 v24, null, s15, v24, s0
	v_add_co_u32 v27, s0, s16, v27
	v_add_co_ci_u32_e64 v28, null, s17, v28, s0
	global_load_dwordx2 v[23:24], v[23:24], off
	v_add_co_u32 v25, s0, s12, v25
	v_add_co_ci_u32_e64 v26, null, s13, v26, s0
	global_store_dword v[27:28], v19, off
	s_waitcnt vmcnt(0)
	global_store_dwordx2 v[25:26], v[23:24], off
	s_or_b32 exec_lo, exec_lo, s7
	v_add_nc_u32_e32 v23, v5, v9
	s_and_saveexec_b32 s7, s31
	s_cbranch_execz .LBB219_21
.LBB219_33:                             ;   in Loop: Header=BB219_13 Depth=1
	v_add3_u32 v24, v3, s26, 32
	v_add_nc_u32_e32 v26, v5, v4
	v_cndmask_b32_e32 v24, v24, v23, vcc_lo
	v_ashrrev_i32_e32 v27, 31, v26
	v_ashrrev_i32_e32 v25, 31, v24
	v_lshlrev_b64 v[28:29], 2, v[26:27]
	v_lshlrev_b64 v[26:27], 3, v[26:27]
	v_lshlrev_b64 v[24:25], 3, v[24:25]
	v_add_co_u32 v24, s0, s14, v24
	v_add_co_ci_u32_e64 v25, null, s15, v25, s0
	v_add_co_u32 v28, s0, s16, v28
	v_add_co_ci_u32_e64 v29, null, s17, v29, s0
	global_load_dwordx2 v[24:25], v[24:25], off
	v_add_co_u32 v26, s0, s12, v26
	v_add_co_ci_u32_e64 v27, null, s13, v27, s0
	global_store_dword v[28:29], v16, off
	s_waitcnt vmcnt(0)
	global_store_dwordx2 v[26:27], v[24:25], off
	s_or_b32 exec_lo, exec_lo, s7
	s_and_saveexec_b32 s7, s33
	s_cbranch_execz .LBB219_22
.LBB219_34:                             ;   in Loop: Header=BB219_13 Depth=1
	v_cndmask_b32_e32 v22, v22, v23, vcc_lo
	v_add3_u32 v24, v5, v4, 32
	v_add_nc_u32_e32 v22, 32, v22
	v_ashrrev_i32_e32 v25, 31, v24
	v_ashrrev_i32_e32 v23, 31, v22
	v_lshlrev_b64 v[26:27], 2, v[24:25]
	v_lshlrev_b64 v[24:25], 3, v[24:25]
	;; [unrolled: 1-line block ×3, first 2 shown]
	v_add_co_u32 v22, s0, s14, v22
	v_add_co_ci_u32_e64 v23, null, s15, v23, s0
	v_add_co_u32 v26, s0, s16, v26
	v_add_co_ci_u32_e64 v27, null, s17, v27, s0
	global_load_dwordx2 v[22:23], v[22:23], off
	v_add_co_u32 v24, s0, s12, v24
	v_add_co_ci_u32_e64 v25, null, s13, v25, s0
	global_store_dword v[26:27], v17, off
	s_waitcnt vmcnt(0)
	global_store_dwordx2 v[24:25], v[22:23], off
	s_or_b32 exec_lo, exec_lo, s7
	s_and_saveexec_b32 s7, s34
	s_cbranch_execz .LBB219_23
.LBB219_35:                             ;   in Loop: Header=BB219_13 Depth=1
	v_add3_u32 v22, v5, v9, 64
	v_add3_u32 v23, v1, s26, 32
	;; [unrolled: 1-line block ×3, first 2 shown]
	v_cndmask_b32_e32 v22, v23, v22, vcc_lo
	v_ashrrev_i32_e32 v25, 31, v24
	v_ashrrev_i32_e32 v23, 31, v22
	v_lshlrev_b64 v[26:27], 2, v[24:25]
	v_lshlrev_b64 v[24:25], 3, v[24:25]
	;; [unrolled: 1-line block ×3, first 2 shown]
	v_add_co_u32 v22, s0, s14, v22
	v_add_co_ci_u32_e64 v23, null, s15, v23, s0
	v_add_co_u32 v26, s0, s16, v26
	v_add_co_ci_u32_e64 v27, null, s17, v27, s0
	global_load_dwordx2 v[22:23], v[22:23], off
	v_add_co_u32 v24, s0, s12, v24
	v_add_co_ci_u32_e64 v25, null, s13, v25, s0
	global_store_dword v[26:27], v18, off
	s_waitcnt vmcnt(0)
	global_store_dwordx2 v[24:25], v[22:23], off
	s_or_b32 exec_lo, exec_lo, s7
	s_and_saveexec_b32 s7, s35
	s_cbranch_execz .LBB219_24
.LBB219_36:                             ;   in Loop: Header=BB219_13 Depth=1
	v_add3_u32 v22, v5, v9, 0x60
	v_add3_u32 v23, v0, s26, 32
	;; [unrolled: 1-line block ×3, first 2 shown]
	v_cndmask_b32_e32 v22, v23, v22, vcc_lo
	v_ashrrev_i32_e32 v25, 31, v24
	v_ashrrev_i32_e32 v23, 31, v22
	v_lshlrev_b64 v[26:27], 2, v[24:25]
	v_lshlrev_b64 v[24:25], 3, v[24:25]
	;; [unrolled: 1-line block ×3, first 2 shown]
	v_add_co_u32 v22, s0, s14, v22
	v_add_co_ci_u32_e64 v23, null, s15, v23, s0
	v_add_co_u32 v26, s0, s16, v26
	v_add_co_ci_u32_e64 v27, null, s17, v27, s0
	global_load_dwordx2 v[22:23], v[22:23], off
	v_add_co_u32 v24, s0, s12, v24
	v_add_co_ci_u32_e64 v25, null, s13, v25, s0
	global_store_dword v[26:27], v19, off
	s_waitcnt vmcnt(0)
	global_store_dwordx2 v[24:25], v[22:23], off
	s_or_b32 exec_lo, exec_lo, s7
	v_add_nc_u32_e32 v22, v5, v10
	s_and_saveexec_b32 s7, s36
	s_cbranch_execz .LBB219_25
.LBB219_37:                             ;   in Loop: Header=BB219_13 Depth=1
	v_add3_u32 v23, v3, s26, 64
	v_add_nc_u32_e32 v25, v5, v13
	v_cndmask_b32_e32 v23, v23, v22, vcc_lo
	v_ashrrev_i32_e32 v26, 31, v25
	v_ashrrev_i32_e32 v24, 31, v23
	v_lshlrev_b64 v[27:28], 2, v[25:26]
	v_lshlrev_b64 v[25:26], 3, v[25:26]
	;; [unrolled: 1-line block ×3, first 2 shown]
	v_add_co_u32 v23, s0, s14, v23
	v_add_co_ci_u32_e64 v24, null, s15, v24, s0
	v_add_co_u32 v27, s0, s16, v27
	v_add_co_ci_u32_e64 v28, null, s17, v28, s0
	global_load_dwordx2 v[23:24], v[23:24], off
	v_add_co_u32 v25, s0, s12, v25
	v_add_co_ci_u32_e64 v26, null, s13, v26, s0
	global_store_dword v[27:28], v16, off
	s_waitcnt vmcnt(0)
	global_store_dwordx2 v[25:26], v[23:24], off
	s_or_b32 exec_lo, exec_lo, s7
	s_and_saveexec_b32 s7, s37
	s_cbranch_execz .LBB219_26
.LBB219_38:                             ;   in Loop: Header=BB219_13 Depth=1
	v_add3_u32 v23, v5, v10, 32
	v_add3_u32 v24, v2, s26, 64
	;; [unrolled: 1-line block ×3, first 2 shown]
	v_cndmask_b32_e32 v23, v24, v23, vcc_lo
	v_ashrrev_i32_e32 v26, 31, v25
	v_ashrrev_i32_e32 v24, 31, v23
	v_lshlrev_b64 v[27:28], 2, v[25:26]
	v_lshlrev_b64 v[25:26], 3, v[25:26]
	;; [unrolled: 1-line block ×3, first 2 shown]
	v_add_co_u32 v23, s0, s14, v23
	v_add_co_ci_u32_e64 v24, null, s15, v24, s0
	v_add_co_u32 v27, s0, s16, v27
	v_add_co_ci_u32_e64 v28, null, s17, v28, s0
	global_load_dwordx2 v[23:24], v[23:24], off
	v_add_co_u32 v25, s0, s12, v25
	v_add_co_ci_u32_e64 v26, null, s13, v26, s0
	global_store_dword v[27:28], v17, off
	s_waitcnt vmcnt(0)
	global_store_dwordx2 v[25:26], v[23:24], off
	s_or_b32 exec_lo, exec_lo, s7
	s_and_saveexec_b32 s7, s38
	s_cbranch_execz .LBB219_27
.LBB219_39:                             ;   in Loop: Header=BB219_13 Depth=1
	v_cndmask_b32_e32 v21, v21, v22, vcc_lo
	v_add3_u32 v23, v5, v13, 64
	v_add_nc_u32_e32 v21, 64, v21
	v_ashrrev_i32_e32 v24, 31, v23
	v_ashrrev_i32_e32 v22, 31, v21
	v_lshlrev_b64 v[25:26], 2, v[23:24]
	v_lshlrev_b64 v[23:24], 3, v[23:24]
	;; [unrolled: 1-line block ×3, first 2 shown]
	v_add_co_u32 v21, s0, s14, v21
	v_add_co_ci_u32_e64 v22, null, s15, v22, s0
	v_add_co_u32 v25, s0, s16, v25
	v_add_co_ci_u32_e64 v26, null, s17, v26, s0
	global_load_dwordx2 v[21:22], v[21:22], off
	v_add_co_u32 v23, s0, s12, v23
	v_add_co_ci_u32_e64 v24, null, s13, v24, s0
	global_store_dword v[25:26], v18, off
	s_waitcnt vmcnt(0)
	global_store_dwordx2 v[23:24], v[21:22], off
	s_or_b32 exec_lo, exec_lo, s7
	s_and_saveexec_b32 s7, s39
	s_cbranch_execz .LBB219_28
.LBB219_40:                             ;   in Loop: Header=BB219_13 Depth=1
	v_add3_u32 v21, v5, v10, 0x60
	v_add3_u32 v22, v0, s26, 64
	;; [unrolled: 1-line block ×3, first 2 shown]
	v_cndmask_b32_e32 v21, v22, v21, vcc_lo
	v_ashrrev_i32_e32 v24, 31, v23
	v_ashrrev_i32_e32 v22, 31, v21
	v_lshlrev_b64 v[25:26], 2, v[23:24]
	v_lshlrev_b64 v[23:24], 3, v[23:24]
	;; [unrolled: 1-line block ×3, first 2 shown]
	v_add_co_u32 v21, s0, s14, v21
	v_add_co_ci_u32_e64 v22, null, s15, v22, s0
	v_add_co_u32 v25, s0, s16, v25
	v_add_co_ci_u32_e64 v26, null, s17, v26, s0
	global_load_dwordx2 v[21:22], v[21:22], off
	v_add_co_u32 v23, s0, s12, v23
	v_add_co_ci_u32_e64 v24, null, s13, v24, s0
	global_store_dword v[25:26], v19, off
	s_waitcnt vmcnt(0)
	global_store_dwordx2 v[23:24], v[21:22], off
	s_or_b32 exec_lo, exec_lo, s7
	v_add_nc_u32_e32 v21, v5, v11
	s_and_saveexec_b32 s7, s4
	s_cbranch_execz .LBB219_29
.LBB219_41:                             ;   in Loop: Header=BB219_13 Depth=1
	v_add3_u32 v22, v3, s26, 0x60
	v_add_nc_u32_e32 v24, v5, v14
	v_cndmask_b32_e32 v22, v22, v21, vcc_lo
	v_ashrrev_i32_e32 v25, 31, v24
	v_ashrrev_i32_e32 v23, 31, v22
	v_lshlrev_b64 v[26:27], 2, v[24:25]
	v_lshlrev_b64 v[24:25], 3, v[24:25]
	;; [unrolled: 1-line block ×3, first 2 shown]
	v_add_co_u32 v22, s0, s14, v22
	v_add_co_ci_u32_e64 v23, null, s15, v23, s0
	v_add_co_u32 v26, s0, s16, v26
	v_add_co_ci_u32_e64 v27, null, s17, v27, s0
	global_load_dwordx2 v[22:23], v[22:23], off
	v_add_co_u32 v24, s0, s12, v24
	v_add_co_ci_u32_e64 v25, null, s13, v25, s0
	global_store_dword v[26:27], v16, off
	s_waitcnt vmcnt(0)
	global_store_dwordx2 v[24:25], v[22:23], off
	s_or_b32 exec_lo, exec_lo, s7
	s_and_saveexec_b32 s7, s5
	s_cbranch_execz .LBB219_30
.LBB219_42:                             ;   in Loop: Header=BB219_13 Depth=1
	v_add3_u32 v16, v5, v11, 32
	v_add3_u32 v22, v2, s26, 0x60
	;; [unrolled: 1-line block ×3, first 2 shown]
	v_cndmask_b32_e32 v22, v22, v16, vcc_lo
	v_ashrrev_i32_e32 v25, 31, v24
	v_ashrrev_i32_e32 v23, 31, v22
	v_lshlrev_b64 v[26:27], 2, v[24:25]
	v_lshlrev_b64 v[24:25], 3, v[24:25]
	;; [unrolled: 1-line block ×3, first 2 shown]
	v_add_co_u32 v22, s0, s14, v22
	v_add_co_ci_u32_e64 v23, null, s15, v23, s0
	v_add_co_u32 v26, s0, s16, v26
	v_add_co_ci_u32_e64 v27, null, s17, v27, s0
	global_load_dwordx2 v[22:23], v[22:23], off
	v_add_co_u32 v24, s0, s12, v24
	v_add_co_ci_u32_e64 v25, null, s13, v25, s0
	global_store_dword v[26:27], v17, off
	s_waitcnt vmcnt(0)
	global_store_dwordx2 v[24:25], v[22:23], off
	s_or_b32 exec_lo, exec_lo, s7
	s_and_saveexec_b32 s7, s6
	s_cbranch_execz .LBB219_31
.LBB219_43:                             ;   in Loop: Header=BB219_13 Depth=1
	v_add3_u32 v16, v5, v11, 64
	v_add3_u32 v17, v1, s26, 0x60
	;; [unrolled: 1-line block ×3, first 2 shown]
	v_cndmask_b32_e32 v16, v17, v16, vcc_lo
	v_ashrrev_i32_e32 v23, 31, v22
	v_ashrrev_i32_e32 v17, 31, v16
	v_lshlrev_b64 v[24:25], 2, v[22:23]
	v_lshlrev_b64 v[22:23], 3, v[22:23]
	;; [unrolled: 1-line block ×3, first 2 shown]
	v_add_co_u32 v16, s0, s14, v16
	v_add_co_ci_u32_e64 v17, null, s15, v17, s0
	v_add_co_u32 v24, s0, s16, v24
	v_add_co_ci_u32_e64 v25, null, s17, v25, s0
	global_load_dwordx2 v[16:17], v[16:17], off
	v_add_co_u32 v22, s0, s12, v22
	v_add_co_ci_u32_e64 v23, null, s13, v23, s0
	global_store_dword v[24:25], v18, off
	s_waitcnt vmcnt(0)
	global_store_dwordx2 v[22:23], v[16:17], off
	s_or_b32 exec_lo, exec_lo, s7
	s_and_saveexec_b32 s7, s1
	s_cbranch_execz .LBB219_12
.LBB219_44:                             ;   in Loop: Header=BB219_13 Depth=1
	v_cndmask_b32_e32 v16, v20, v21, vcc_lo
	v_add3_u32 v20, v5, v14, 0x60
	v_add_nc_u32_e32 v16, 0x60, v16
	v_ashrrev_i32_e32 v21, 31, v20
	v_ashrrev_i32_e32 v17, 31, v16
	v_lshlrev_b64 v[22:23], 2, v[20:21]
	v_lshlrev_b64 v[20:21], 3, v[20:21]
	;; [unrolled: 1-line block ×3, first 2 shown]
	v_add_co_u32 v16, s0, s14, v16
	v_add_co_ci_u32_e64 v17, null, s15, v17, s0
	v_add_co_u32 v22, s0, s16, v22
	v_add_co_ci_u32_e64 v23, null, s17, v23, s0
	global_load_dwordx2 v[16:17], v[16:17], off
	v_add_co_u32 v20, s0, s12, v20
	v_add_co_ci_u32_e64 v21, null, s13, v21, s0
	global_store_dword v[22:23], v19, off
	s_waitcnt vmcnt(0)
	global_store_dwordx2 v[20:21], v[16:17], off
	s_branch .LBB219_12
.LBB219_45:
	s_endpgm
	.section	.rodata,"a",@progbits
	.p2align	6, 0x0
	.amdhsa_kernel _ZN9rocsparseL35bsr2csr_block_per_row_33_256_kernelILj1024ELj128ELj32EdiiEEv20rocsparse_direction_T4_S2_21rocsparse_index_base_PKT2_PKT3_PKS2_S2_S3_PS4_PS7_PS2_
		.amdhsa_group_segment_fixed_size 0
		.amdhsa_private_segment_fixed_size 0
		.amdhsa_kernarg_size 72
		.amdhsa_user_sgpr_count 6
		.amdhsa_user_sgpr_private_segment_buffer 1
		.amdhsa_user_sgpr_dispatch_ptr 0
		.amdhsa_user_sgpr_queue_ptr 0
		.amdhsa_user_sgpr_kernarg_segment_ptr 1
		.amdhsa_user_sgpr_dispatch_id 0
		.amdhsa_user_sgpr_flat_scratch_init 0
		.amdhsa_user_sgpr_private_segment_size 0
		.amdhsa_wavefront_size32 1
		.amdhsa_uses_dynamic_stack 0
		.amdhsa_system_sgpr_private_segment_wavefront_offset 0
		.amdhsa_system_sgpr_workgroup_id_x 1
		.amdhsa_system_sgpr_workgroup_id_y 0
		.amdhsa_system_sgpr_workgroup_id_z 0
		.amdhsa_system_sgpr_workgroup_info 0
		.amdhsa_system_vgpr_workitem_id 0
		.amdhsa_next_free_vgpr 30
		.amdhsa_next_free_sgpr 40
		.amdhsa_reserve_vcc 1
		.amdhsa_reserve_flat_scratch 0
		.amdhsa_float_round_mode_32 0
		.amdhsa_float_round_mode_16_64 0
		.amdhsa_float_denorm_mode_32 3
		.amdhsa_float_denorm_mode_16_64 3
		.amdhsa_dx10_clamp 1
		.amdhsa_ieee_mode 1
		.amdhsa_fp16_overflow 0
		.amdhsa_workgroup_processor_mode 1
		.amdhsa_memory_ordered 1
		.amdhsa_forward_progress 1
		.amdhsa_shared_vgpr_count 0
		.amdhsa_exception_fp_ieee_invalid_op 0
		.amdhsa_exception_fp_denorm_src 0
		.amdhsa_exception_fp_ieee_div_zero 0
		.amdhsa_exception_fp_ieee_overflow 0
		.amdhsa_exception_fp_ieee_underflow 0
		.amdhsa_exception_fp_ieee_inexact 0
		.amdhsa_exception_int_div_zero 0
	.end_amdhsa_kernel
	.section	.text._ZN9rocsparseL35bsr2csr_block_per_row_33_256_kernelILj1024ELj128ELj32EdiiEEv20rocsparse_direction_T4_S2_21rocsparse_index_base_PKT2_PKT3_PKS2_S2_S3_PS4_PS7_PS2_,"axG",@progbits,_ZN9rocsparseL35bsr2csr_block_per_row_33_256_kernelILj1024ELj128ELj32EdiiEEv20rocsparse_direction_T4_S2_21rocsparse_index_base_PKT2_PKT3_PKS2_S2_S3_PS4_PS7_PS2_,comdat
.Lfunc_end219:
	.size	_ZN9rocsparseL35bsr2csr_block_per_row_33_256_kernelILj1024ELj128ELj32EdiiEEv20rocsparse_direction_T4_S2_21rocsparse_index_base_PKT2_PKT3_PKS2_S2_S3_PS4_PS7_PS2_, .Lfunc_end219-_ZN9rocsparseL35bsr2csr_block_per_row_33_256_kernelILj1024ELj128ELj32EdiiEEv20rocsparse_direction_T4_S2_21rocsparse_index_base_PKT2_PKT3_PKS2_S2_S3_PS4_PS7_PS2_
                                        ; -- End function
	.set _ZN9rocsparseL35bsr2csr_block_per_row_33_256_kernelILj1024ELj128ELj32EdiiEEv20rocsparse_direction_T4_S2_21rocsparse_index_base_PKT2_PKT3_PKS2_S2_S3_PS4_PS7_PS2_.num_vgpr, 30
	.set _ZN9rocsparseL35bsr2csr_block_per_row_33_256_kernelILj1024ELj128ELj32EdiiEEv20rocsparse_direction_T4_S2_21rocsparse_index_base_PKT2_PKT3_PKS2_S2_S3_PS4_PS7_PS2_.num_agpr, 0
	.set _ZN9rocsparseL35bsr2csr_block_per_row_33_256_kernelILj1024ELj128ELj32EdiiEEv20rocsparse_direction_T4_S2_21rocsparse_index_base_PKT2_PKT3_PKS2_S2_S3_PS4_PS7_PS2_.numbered_sgpr, 40
	.set _ZN9rocsparseL35bsr2csr_block_per_row_33_256_kernelILj1024ELj128ELj32EdiiEEv20rocsparse_direction_T4_S2_21rocsparse_index_base_PKT2_PKT3_PKS2_S2_S3_PS4_PS7_PS2_.num_named_barrier, 0
	.set _ZN9rocsparseL35bsr2csr_block_per_row_33_256_kernelILj1024ELj128ELj32EdiiEEv20rocsparse_direction_T4_S2_21rocsparse_index_base_PKT2_PKT3_PKS2_S2_S3_PS4_PS7_PS2_.private_seg_size, 0
	.set _ZN9rocsparseL35bsr2csr_block_per_row_33_256_kernelILj1024ELj128ELj32EdiiEEv20rocsparse_direction_T4_S2_21rocsparse_index_base_PKT2_PKT3_PKS2_S2_S3_PS4_PS7_PS2_.uses_vcc, 1
	.set _ZN9rocsparseL35bsr2csr_block_per_row_33_256_kernelILj1024ELj128ELj32EdiiEEv20rocsparse_direction_T4_S2_21rocsparse_index_base_PKT2_PKT3_PKS2_S2_S3_PS4_PS7_PS2_.uses_flat_scratch, 0
	.set _ZN9rocsparseL35bsr2csr_block_per_row_33_256_kernelILj1024ELj128ELj32EdiiEEv20rocsparse_direction_T4_S2_21rocsparse_index_base_PKT2_PKT3_PKS2_S2_S3_PS4_PS7_PS2_.has_dyn_sized_stack, 0
	.set _ZN9rocsparseL35bsr2csr_block_per_row_33_256_kernelILj1024ELj128ELj32EdiiEEv20rocsparse_direction_T4_S2_21rocsparse_index_base_PKT2_PKT3_PKS2_S2_S3_PS4_PS7_PS2_.has_recursion, 0
	.set _ZN9rocsparseL35bsr2csr_block_per_row_33_256_kernelILj1024ELj128ELj32EdiiEEv20rocsparse_direction_T4_S2_21rocsparse_index_base_PKT2_PKT3_PKS2_S2_S3_PS4_PS7_PS2_.has_indirect_call, 0
	.section	.AMDGPU.csdata,"",@progbits
; Kernel info:
; codeLenInByte = 3472
; TotalNumSgprs: 42
; NumVgprs: 30
; ScratchSize: 0
; MemoryBound: 0
; FloatMode: 240
; IeeeMode: 1
; LDSByteSize: 0 bytes/workgroup (compile time only)
; SGPRBlocks: 0
; VGPRBlocks: 3
; NumSGPRsForWavesPerEU: 42
; NumVGPRsForWavesPerEU: 30
; Occupancy: 16
; WaveLimiterHint : 1
; COMPUTE_PGM_RSRC2:SCRATCH_EN: 0
; COMPUTE_PGM_RSRC2:USER_SGPR: 6
; COMPUTE_PGM_RSRC2:TRAP_HANDLER: 0
; COMPUTE_PGM_RSRC2:TGID_X_EN: 1
; COMPUTE_PGM_RSRC2:TGID_Y_EN: 0
; COMPUTE_PGM_RSRC2:TGID_Z_EN: 0
; COMPUTE_PGM_RSRC2:TIDIG_COMP_CNT: 0
	.section	.text._ZN9rocsparseL35bsr2csr_block_per_row_33_256_kernelILj1024ELj256ELj32EdiiEEv20rocsparse_direction_T4_S2_21rocsparse_index_base_PKT2_PKT3_PKS2_S2_S3_PS4_PS7_PS2_,"axG",@progbits,_ZN9rocsparseL35bsr2csr_block_per_row_33_256_kernelILj1024ELj256ELj32EdiiEEv20rocsparse_direction_T4_S2_21rocsparse_index_base_PKT2_PKT3_PKS2_S2_S3_PS4_PS7_PS2_,comdat
	.globl	_ZN9rocsparseL35bsr2csr_block_per_row_33_256_kernelILj1024ELj256ELj32EdiiEEv20rocsparse_direction_T4_S2_21rocsparse_index_base_PKT2_PKT3_PKS2_S2_S3_PS4_PS7_PS2_ ; -- Begin function _ZN9rocsparseL35bsr2csr_block_per_row_33_256_kernelILj1024ELj256ELj32EdiiEEv20rocsparse_direction_T4_S2_21rocsparse_index_base_PKT2_PKT3_PKS2_S2_S3_PS4_PS7_PS2_
	.p2align	8
	.type	_ZN9rocsparseL35bsr2csr_block_per_row_33_256_kernelILj1024ELj256ELj32EdiiEEv20rocsparse_direction_T4_S2_21rocsparse_index_base_PKT2_PKT3_PKS2_S2_S3_PS4_PS7_PS2_,@function
_ZN9rocsparseL35bsr2csr_block_per_row_33_256_kernelILj1024ELj256ELj32EdiiEEv20rocsparse_direction_T4_S2_21rocsparse_index_base_PKT2_PKT3_PKS2_S2_S3_PS4_PS7_PS2_: ; @_ZN9rocsparseL35bsr2csr_block_per_row_33_256_kernelILj1024ELj256ELj32EdiiEEv20rocsparse_direction_T4_S2_21rocsparse_index_base_PKT2_PKT3_PKS2_S2_S3_PS4_PS7_PS2_
; %bb.0:
	s_load_dwordx2 s[0:1], s[4:5], 0x18
	s_ashr_i32 s7, s6, 31
	s_clause 0x1
	s_load_dwordx2 s[16:17], s[4:5], 0x28
	s_load_dwordx2 s[10:11], s[4:5], 0x38
	s_lshl_b64 s[2:3], s[6:7], 2
	v_or_b32_e32 v1, s6, v0
	s_waitcnt lgkmcnt(0)
	s_add_u32 s0, s0, s2
	s_addc_u32 s1, s1, s3
	s_load_dwordx2 s[26:27], s[0:1], 0x0
	s_mov_b32 s0, exec_lo
	v_cmpx_eq_u32_e32 0, v1
	s_cbranch_execz .LBB220_2
; %bb.1:
	v_mov_b32_e32 v1, 0
	v_mov_b32_e32 v2, s17
	global_store_dword v1, v2, s[10:11]
.LBB220_2:
	s_or_b32 exec_lo, exec_lo, s0
	s_load_dword s29, s[4:5], 0xc
	v_lshrrev_b32_e32 v13, 5, v0
	s_mul_i32 s14, s16, s6
	v_cmp_gt_i32_e64 s0, s16, v13
	s_waitcnt lgkmcnt(0)
	s_sub_i32 s18, s26, s29
	s_sub_i32 s33, s27, s29
	s_mul_i32 s28, s16, s18
	s_sub_i32 s19, s33, s18
	s_mul_i32 s1, s28, s16
	s_mul_i32 s13, s19, s16
	s_add_i32 s1, s1, s17
	s_add_i32 s12, s1, s13
	s_and_saveexec_b32 s1, s0
	s_cbranch_execz .LBB220_4
; %bb.3:
	v_add_nc_u32_e32 v1, s14, v13
	v_mad_u64_u32 v[3:4], null, v13, s13, s[12:13]
	v_ashrrev_i32_e32 v2, 31, v1
	v_lshlrev_b64 v[1:2], 2, v[1:2]
	v_add_co_u32 v1, vcc_lo, s10, v1
	v_add_co_ci_u32_e64 v2, null, s11, v2, vcc_lo
	global_store_dword v[1:2], v3, off offset:4
.LBB220_4:
	s_or_b32 exec_lo, exec_lo, s1
	v_or_b32_e32 v1, 32, v13
	v_cmp_gt_i32_e64 s1, s16, v1
	s_and_saveexec_b32 s2, s1
	s_cbranch_execz .LBB220_6
; %bb.5:
	s_ashr_i32 s3, s14, 31
	v_add_co_u32 v2, s6, v13, s14
	v_add_co_ci_u32_e64 v3, null, 0, s3, s6
	v_mad_u64_u32 v[4:5], null, v1, s13, s[12:13]
	v_lshlrev_b64 v[2:3], 2, v[2:3]
	v_add_co_u32 v1, vcc_lo, s10, v2
	v_add_co_ci_u32_e64 v2, null, s11, v3, vcc_lo
	global_store_dword v[1:2], v4, off offset:132
.LBB220_6:
	s_or_b32 exec_lo, exec_lo, s2
	v_or_b32_e32 v1, 64, v13
	v_cmp_gt_i32_e64 s3, s16, v1
	s_and_saveexec_b32 s2, s3
	s_cbranch_execz .LBB220_8
; %bb.7:
	s_ashr_i32 s6, s14, 31
	v_add_co_u32 v2, s7, v13, s14
	v_add_co_ci_u32_e64 v3, null, 0, s6, s7
	v_mad_u64_u32 v[4:5], null, v1, s13, s[12:13]
	v_lshlrev_b64 v[2:3], 2, v[2:3]
	v_add_co_u32 v1, vcc_lo, s10, v2
	v_add_co_ci_u32_e64 v2, null, s11, v3, vcc_lo
	global_store_dword v[1:2], v4, off offset:260
.LBB220_8:
	;; [unrolled: 15-line block ×7, first 2 shown]
	s_or_b32 exec_lo, exec_lo, s15
	s_cmp_lt_i32 s26, s27
	s_cbranch_scc0 .LBB220_149
; %bb.19:
	v_and_b32_e32 v0, 31, v0
	v_add_nc_u32_e32 v17, s28, v13
	s_clause 0x3
	s_load_dwordx2 s[30:31], s[4:5], 0x20
	s_load_dwordx2 s[20:21], s[4:5], 0x30
	s_load_dword s11, s[4:5], 0x0
	s_load_dwordx2 s[22:23], s[4:5], 0x10
	v_mad_u64_u32 v[31:32], null, v13, s19, s[28:29]
	v_add_nc_u32_e32 v9, s28, v0
	v_mad_u64_u32 v[1:2], null, s16, v17, v[0:1]
	v_add_nc_u32_e32 v12, 32, v17
	v_or_b32_e32 v18, 32, v0
	v_mad_u64_u32 v[2:3], null, s16, v9, v[13:14]
	v_add_nc_u32_e32 v3, 0xe0, v9
	v_add_nc_u32_e32 v5, 0xc0, v9
	;; [unrolled: 1-line block ×5, first 2 shown]
	v_mad_u64_u32 v[3:4], null, s16, v3, v[13:14]
	v_add_nc_u32_e32 v10, 64, v9
	v_mad_u64_u32 v[4:5], null, s16, v5, v[13:14]
	v_mad_u64_u32 v[5:6], null, s16, v6, v[13:14]
	;; [unrolled: 1-line block ×4, first 2 shown]
	v_add_nc_u32_e32 v11, 32, v9
	v_mad_u64_u32 v[8:9], null, s16, v10, v[13:14]
	v_add_nc_u32_e32 v14, 64, v17
	v_or_b32_e32 v19, 64, v0
	v_or_b32_e32 v20, 0x60, v0
	;; [unrolled: 1-line block ×4, first 2 shown]
	v_mad_u64_u32 v[9:10], null, s16, v11, v[13:14]
	v_mad_u64_u32 v[10:11], null, s16, v12, v[0:1]
	;; [unrolled: 1-line block ×3, first 2 shown]
	v_add_nc_u32_e32 v12, 0x60, v17
	v_add_nc_u32_e32 v14, 0x80, v17
	v_or_b32_e32 v23, 0xc0, v0
	v_or_b32_e32 v24, 0xe0, v0
	v_mad_u64_u32 v[25:26], null, 0xe0, s27, v[31:32]
	v_mad_u64_u32 v[12:13], null, s16, v12, v[0:1]
	;; [unrolled: 1-line block ×3, first 2 shown]
	v_add_nc_u32_e32 v14, 0xa0, v17
	v_mad_u64_u32 v[26:27], null, 0xc0, s27, v[31:32]
	s_load_dwordx2 s[24:25], s[4:5], 0x40
	v_cmp_gt_i32_e64 s4, s16, v0
	v_cmp_gt_i32_e64 s5, s16, v18
	;; [unrolled: 1-line block ×3, first 2 shown]
	s_waitcnt lgkmcnt(0)
	s_cmp_eq_u32 s11, 0
	v_cmp_gt_i32_e64 s11, s16, v20
	v_cmp_gt_i32_e64 s12, s16, v21
	;; [unrolled: 1-line block ×5, first 2 shown]
	v_add_nc_u32_e32 v16, 0xc0, v17
	v_mad_u64_u32 v[14:15], null, s16, v14, v[0:1]
	s_cselect_b32 vcc_lo, -1, 0
	s_and_b32 s36, s0, s4
	s_and_b32 s37, s0, s5
	;; [unrolled: 1-line block ×16, first 2 shown]
	v_mad_u64_u32 v[15:16], null, s16, v16, v[0:1]
	s_mul_i32 s0, s26, 0xe0
	s_mul_i32 s3, s26, 0xc0
	v_add_nc_u32_e32 v16, 0xe0, v17
	v_subrev_nc_u32_e32 v25, s0, v25
	v_subrev_nc_u32_e32 v28, s3, v26
	v_mad_u64_u32 v[26:27], null, 0xa0, s27, v[31:32]
	v_mad_u64_u32 v[16:17], null, s16, v16, v[0:1]
	v_mul_lo_u32 v17, s16, v25
	v_mul_lo_u32 v25, s16, v28
	v_lshl_add_u32 v29, s27, 7, v31
	v_mad_u64_u32 v[27:28], null, 0x60, s27, v[31:32]
	s_lshl_b32 s3, s26, 7
	s_mul_i32 s0, s26, 0xa0
	v_subrev_nc_u32_e32 v28, s3, v29
	v_lshl_add_u32 v29, s27, 6, v31
	v_lshl_add_u32 v30, s27, 5, v31
	v_subrev_nc_u32_e32 v26, s0, v26
	s_mul_i32 s0, s26, 0x60
	s_lshl_b32 s3, s26, 5
	v_subrev_nc_u32_e32 v32, s0, v27
	s_lshl_b32 s0, s26, 6
	v_subrev_nc_u32_e32 v30, s3, v30
	v_subrev_nc_u32_e32 v29, s0, v29
	v_mul_lo_u32 v26, s16, v26
	v_mul_lo_u32 v27, s16, v28
	;; [unrolled: 1-line block ×6, first 2 shown]
	s_ashr_i32 s19, s18, 31
	v_cndmask_b32_e32 v32, v2, v1, vcc_lo
	s_lshl_b64 s[26:27], s[18:19], 2
	s_and_b32 s44, s1, s4
	s_and_b32 s45, s1, s5
	;; [unrolled: 1-line block ×48, first 2 shown]
	s_add_u32 s2, s30, s26
	s_mul_i32 s34, s16, s16
	s_mov_b32 s35, 0
	s_addc_u32 s3, s31, s27
	s_branch .LBB220_21
.LBB220_20:                             ;   in Loop: Header=BB220_21 Depth=1
	s_or_b32 exec_lo, exec_lo, s19
	s_add_i32 s18, s18, 1
	s_add_i32 s35, s35, s34
	v_add_nc_u32_e32 v17, s16, v17
	v_add_nc_u32_e32 v25, s16, v25
	;; [unrolled: 1-line block ×8, first 2 shown]
	s_add_u32 s2, s2, 4
	s_addc_u32 s3, s3, 0
	s_cmp_ge_i32 s18, s33
	s_cbranch_scc1 .LBB220_149
.LBB220_21:                             ; =>This Inner Loop Header: Depth=1
	s_load_dword s0, s[2:3], 0x0
	s_waitcnt lgkmcnt(0)
	s_sub_i32 s0, s0, s29
	s_mul_i32 s19, s0, s16
	s_add_i32 s19, s19, s17
	v_add_nc_u32_e32 v34, s19, v0
	s_and_saveexec_b32 s26, s36
	s_cbranch_execnz .LBB220_85
; %bb.22:                               ;   in Loop: Header=BB220_21 Depth=1
	s_or_b32 exec_lo, exec_lo, s26
	v_add_nc_u32_e32 v33, s19, v18
	s_and_saveexec_b32 s26, s37
	s_cbranch_execnz .LBB220_86
.LBB220_23:                             ;   in Loop: Header=BB220_21 Depth=1
	s_or_b32 exec_lo, exec_lo, s26
	v_add_nc_u32_e32 v35, s19, v19
	s_and_saveexec_b32 s26, s38
	s_cbranch_execnz .LBB220_87
.LBB220_24:                             ;   in Loop: Header=BB220_21 Depth=1
	s_or_b32 exec_lo, exec_lo, s26
	v_add_nc_u32_e32 v36, s19, v20
	s_and_saveexec_b32 s26, s39
	s_cbranch_execnz .LBB220_88
.LBB220_25:                             ;   in Loop: Header=BB220_21 Depth=1
	s_or_b32 exec_lo, exec_lo, s26
	v_add_nc_u32_e32 v37, s19, v21
	s_and_saveexec_b32 s26, s40
	s_cbranch_execnz .LBB220_89
.LBB220_26:                             ;   in Loop: Header=BB220_21 Depth=1
	s_or_b32 exec_lo, exec_lo, s26
	v_add_nc_u32_e32 v38, s19, v22
	s_and_saveexec_b32 s26, s41
	s_cbranch_execnz .LBB220_90
.LBB220_27:                             ;   in Loop: Header=BB220_21 Depth=1
	s_or_b32 exec_lo, exec_lo, s26
	v_add_nc_u32_e32 v39, s19, v23
	s_and_saveexec_b32 s26, s42
	s_cbranch_execnz .LBB220_91
.LBB220_28:                             ;   in Loop: Header=BB220_21 Depth=1
	s_or_b32 exec_lo, exec_lo, s26
	v_add_nc_u32_e32 v40, s19, v24
	s_and_saveexec_b32 s19, s43
	s_cbranch_execnz .LBB220_92
.LBB220_29:                             ;   in Loop: Header=BB220_21 Depth=1
	s_or_b32 exec_lo, exec_lo, s19
	s_and_saveexec_b32 s19, s44
	s_cbranch_execnz .LBB220_93
.LBB220_30:                             ;   in Loop: Header=BB220_21 Depth=1
	s_or_b32 exec_lo, exec_lo, s19
	s_and_saveexec_b32 s19, s45
	s_cbranch_execnz .LBB220_94
.LBB220_31:                             ;   in Loop: Header=BB220_21 Depth=1
	s_or_b32 exec_lo, exec_lo, s19
	s_and_saveexec_b32 s19, s46
	s_cbranch_execnz .LBB220_95
.LBB220_32:                             ;   in Loop: Header=BB220_21 Depth=1
	s_or_b32 exec_lo, exec_lo, s19
	s_and_saveexec_b32 s19, s47
	s_cbranch_execnz .LBB220_96
.LBB220_33:                             ;   in Loop: Header=BB220_21 Depth=1
	s_or_b32 exec_lo, exec_lo, s19
	s_and_saveexec_b32 s19, s48
	s_cbranch_execnz .LBB220_97
.LBB220_34:                             ;   in Loop: Header=BB220_21 Depth=1
	s_or_b32 exec_lo, exec_lo, s19
	s_and_saveexec_b32 s19, s49
	s_cbranch_execnz .LBB220_98
.LBB220_35:                             ;   in Loop: Header=BB220_21 Depth=1
	s_or_b32 exec_lo, exec_lo, s19
	s_and_saveexec_b32 s19, s50
	s_cbranch_execnz .LBB220_99
.LBB220_36:                             ;   in Loop: Header=BB220_21 Depth=1
	s_or_b32 exec_lo, exec_lo, s19
	s_and_saveexec_b32 s19, s1
	s_cbranch_execnz .LBB220_100
.LBB220_37:                             ;   in Loop: Header=BB220_21 Depth=1
	s_or_b32 exec_lo, exec_lo, s19
	s_and_saveexec_b32 s19, s51
	s_cbranch_execnz .LBB220_101
.LBB220_38:                             ;   in Loop: Header=BB220_21 Depth=1
	s_or_b32 exec_lo, exec_lo, s19
	s_and_saveexec_b32 s19, s52
	s_cbranch_execnz .LBB220_102
.LBB220_39:                             ;   in Loop: Header=BB220_21 Depth=1
	s_or_b32 exec_lo, exec_lo, s19
	s_and_saveexec_b32 s19, s53
	s_cbranch_execnz .LBB220_103
.LBB220_40:                             ;   in Loop: Header=BB220_21 Depth=1
	s_or_b32 exec_lo, exec_lo, s19
	s_and_saveexec_b32 s19, s54
	s_cbranch_execnz .LBB220_104
.LBB220_41:                             ;   in Loop: Header=BB220_21 Depth=1
	s_or_b32 exec_lo, exec_lo, s19
	s_and_saveexec_b32 s19, s55
	s_cbranch_execnz .LBB220_105
.LBB220_42:                             ;   in Loop: Header=BB220_21 Depth=1
	s_or_b32 exec_lo, exec_lo, s19
	s_and_saveexec_b32 s19, s56
	s_cbranch_execnz .LBB220_106
.LBB220_43:                             ;   in Loop: Header=BB220_21 Depth=1
	s_or_b32 exec_lo, exec_lo, s19
	s_and_saveexec_b32 s19, s57
	s_cbranch_execnz .LBB220_107
.LBB220_44:                             ;   in Loop: Header=BB220_21 Depth=1
	s_or_b32 exec_lo, exec_lo, s19
	s_and_saveexec_b32 s19, s58
	s_cbranch_execnz .LBB220_108
.LBB220_45:                             ;   in Loop: Header=BB220_21 Depth=1
	s_or_b32 exec_lo, exec_lo, s19
	s_and_saveexec_b32 s19, s59
	s_cbranch_execnz .LBB220_109
.LBB220_46:                             ;   in Loop: Header=BB220_21 Depth=1
	s_or_b32 exec_lo, exec_lo, s19
	s_and_saveexec_b32 s19, s60
	s_cbranch_execnz .LBB220_110
.LBB220_47:                             ;   in Loop: Header=BB220_21 Depth=1
	s_or_b32 exec_lo, exec_lo, s19
	s_and_saveexec_b32 s19, s61
	s_cbranch_execnz .LBB220_111
.LBB220_48:                             ;   in Loop: Header=BB220_21 Depth=1
	s_or_b32 exec_lo, exec_lo, s19
	s_and_saveexec_b32 s19, s62
	s_cbranch_execnz .LBB220_112
.LBB220_49:                             ;   in Loop: Header=BB220_21 Depth=1
	s_or_b32 exec_lo, exec_lo, s19
	s_and_saveexec_b32 s19, s63
	s_cbranch_execnz .LBB220_113
.LBB220_50:                             ;   in Loop: Header=BB220_21 Depth=1
	s_or_b32 exec_lo, exec_lo, s19
	s_and_saveexec_b32 s19, s64
	s_cbranch_execnz .LBB220_114
.LBB220_51:                             ;   in Loop: Header=BB220_21 Depth=1
	s_or_b32 exec_lo, exec_lo, s19
	s_and_saveexec_b32 s19, s65
	s_cbranch_execnz .LBB220_115
.LBB220_52:                             ;   in Loop: Header=BB220_21 Depth=1
	s_or_b32 exec_lo, exec_lo, s19
	s_and_saveexec_b32 s19, s6
	s_cbranch_execnz .LBB220_116
.LBB220_53:                             ;   in Loop: Header=BB220_21 Depth=1
	s_or_b32 exec_lo, exec_lo, s19
	s_and_saveexec_b32 s19, s66
	s_cbranch_execnz .LBB220_117
.LBB220_54:                             ;   in Loop: Header=BB220_21 Depth=1
	s_or_b32 exec_lo, exec_lo, s19
	s_and_saveexec_b32 s19, s67
	s_cbranch_execnz .LBB220_118
.LBB220_55:                             ;   in Loop: Header=BB220_21 Depth=1
	s_or_b32 exec_lo, exec_lo, s19
	s_and_saveexec_b32 s19, s68
	s_cbranch_execnz .LBB220_119
.LBB220_56:                             ;   in Loop: Header=BB220_21 Depth=1
	s_or_b32 exec_lo, exec_lo, s19
	s_and_saveexec_b32 s19, s69
	s_cbranch_execnz .LBB220_120
.LBB220_57:                             ;   in Loop: Header=BB220_21 Depth=1
	s_or_b32 exec_lo, exec_lo, s19
	s_and_saveexec_b32 s19, s70
	s_cbranch_execnz .LBB220_121
.LBB220_58:                             ;   in Loop: Header=BB220_21 Depth=1
	s_or_b32 exec_lo, exec_lo, s19
	s_and_saveexec_b32 s19, s71
	s_cbranch_execnz .LBB220_122
.LBB220_59:                             ;   in Loop: Header=BB220_21 Depth=1
	s_or_b32 exec_lo, exec_lo, s19
	s_and_saveexec_b32 s19, s72
	s_cbranch_execnz .LBB220_123
.LBB220_60:                             ;   in Loop: Header=BB220_21 Depth=1
	s_or_b32 exec_lo, exec_lo, s19
	s_and_saveexec_b32 s19, s7
	s_cbranch_execnz .LBB220_124
.LBB220_61:                             ;   in Loop: Header=BB220_21 Depth=1
	s_or_b32 exec_lo, exec_lo, s19
	s_and_saveexec_b32 s19, s73
	s_cbranch_execnz .LBB220_125
.LBB220_62:                             ;   in Loop: Header=BB220_21 Depth=1
	s_or_b32 exec_lo, exec_lo, s19
	s_and_saveexec_b32 s19, s74
	s_cbranch_execnz .LBB220_126
.LBB220_63:                             ;   in Loop: Header=BB220_21 Depth=1
	s_or_b32 exec_lo, exec_lo, s19
	s_and_saveexec_b32 s19, s75
	s_cbranch_execnz .LBB220_127
.LBB220_64:                             ;   in Loop: Header=BB220_21 Depth=1
	s_or_b32 exec_lo, exec_lo, s19
	s_and_saveexec_b32 s19, s76
	s_cbranch_execnz .LBB220_128
.LBB220_65:                             ;   in Loop: Header=BB220_21 Depth=1
	s_or_b32 exec_lo, exec_lo, s19
	s_and_saveexec_b32 s19, s77
	s_cbranch_execnz .LBB220_129
.LBB220_66:                             ;   in Loop: Header=BB220_21 Depth=1
	s_or_b32 exec_lo, exec_lo, s19
	s_and_saveexec_b32 s19, s78
	s_cbranch_execnz .LBB220_130
.LBB220_67:                             ;   in Loop: Header=BB220_21 Depth=1
	s_or_b32 exec_lo, exec_lo, s19
	s_and_saveexec_b32 s19, s79
	s_cbranch_execnz .LBB220_131
.LBB220_68:                             ;   in Loop: Header=BB220_21 Depth=1
	s_or_b32 exec_lo, exec_lo, s19
	s_and_saveexec_b32 s19, s8
	s_cbranch_execnz .LBB220_132
.LBB220_69:                             ;   in Loop: Header=BB220_21 Depth=1
	s_or_b32 exec_lo, exec_lo, s19
	s_and_saveexec_b32 s19, s80
	s_cbranch_execnz .LBB220_133
.LBB220_70:                             ;   in Loop: Header=BB220_21 Depth=1
	s_or_b32 exec_lo, exec_lo, s19
	s_and_saveexec_b32 s19, s81
	s_cbranch_execnz .LBB220_134
.LBB220_71:                             ;   in Loop: Header=BB220_21 Depth=1
	s_or_b32 exec_lo, exec_lo, s19
	s_and_saveexec_b32 s19, s82
	s_cbranch_execnz .LBB220_135
.LBB220_72:                             ;   in Loop: Header=BB220_21 Depth=1
	s_or_b32 exec_lo, exec_lo, s19
	s_and_saveexec_b32 s19, s83
	s_cbranch_execnz .LBB220_136
.LBB220_73:                             ;   in Loop: Header=BB220_21 Depth=1
	s_or_b32 exec_lo, exec_lo, s19
	s_and_saveexec_b32 s19, s84
	s_cbranch_execnz .LBB220_137
.LBB220_74:                             ;   in Loop: Header=BB220_21 Depth=1
	s_or_b32 exec_lo, exec_lo, s19
	s_and_saveexec_b32 s19, s85
	s_cbranch_execnz .LBB220_138
.LBB220_75:                             ;   in Loop: Header=BB220_21 Depth=1
	s_or_b32 exec_lo, exec_lo, s19
	s_and_saveexec_b32 s19, s86
	s_cbranch_execnz .LBB220_139
.LBB220_76:                             ;   in Loop: Header=BB220_21 Depth=1
	s_or_b32 exec_lo, exec_lo, s19
	s_and_saveexec_b32 s19, s9
	s_cbranch_execnz .LBB220_140
.LBB220_77:                             ;   in Loop: Header=BB220_21 Depth=1
	s_or_b32 exec_lo, exec_lo, s19
	s_and_saveexec_b32 s19, s4
	s_cbranch_execnz .LBB220_141
.LBB220_78:                             ;   in Loop: Header=BB220_21 Depth=1
	s_or_b32 exec_lo, exec_lo, s19
	s_and_saveexec_b32 s19, s5
	s_cbranch_execnz .LBB220_142
.LBB220_79:                             ;   in Loop: Header=BB220_21 Depth=1
	s_or_b32 exec_lo, exec_lo, s19
	s_and_saveexec_b32 s19, s10
	s_cbranch_execnz .LBB220_143
.LBB220_80:                             ;   in Loop: Header=BB220_21 Depth=1
	s_or_b32 exec_lo, exec_lo, s19
	s_and_saveexec_b32 s19, s11
	s_cbranch_execnz .LBB220_144
.LBB220_81:                             ;   in Loop: Header=BB220_21 Depth=1
	s_or_b32 exec_lo, exec_lo, s19
	s_and_saveexec_b32 s19, s12
	s_cbranch_execnz .LBB220_145
.LBB220_82:                             ;   in Loop: Header=BB220_21 Depth=1
	s_or_b32 exec_lo, exec_lo, s19
	s_and_saveexec_b32 s19, s13
	s_cbranch_execnz .LBB220_146
.LBB220_83:                             ;   in Loop: Header=BB220_21 Depth=1
	s_or_b32 exec_lo, exec_lo, s19
	s_and_saveexec_b32 s19, s14
	s_cbranch_execnz .LBB220_147
.LBB220_84:                             ;   in Loop: Header=BB220_21 Depth=1
	s_or_b32 exec_lo, exec_lo, s19
	s_and_saveexec_b32 s19, s15
	s_cbranch_execz .LBB220_20
	s_branch .LBB220_148
.LBB220_85:                             ;   in Loop: Header=BB220_21 Depth=1
	v_add_nc_u32_e32 v35, s35, v32
	v_add_nc_u32_e32 v37, v0, v31
	v_ashrrev_i32_e32 v36, 31, v35
	v_ashrrev_i32_e32 v38, 31, v37
	v_lshlrev_b64 v[35:36], 3, v[35:36]
	v_lshlrev_b64 v[39:40], 2, v[37:38]
	;; [unrolled: 1-line block ×3, first 2 shown]
	v_add_co_u32 v35, s0, s22, v35
	v_add_co_ci_u32_e64 v36, null, s23, v36, s0
	v_add_co_u32 v39, s0, s24, v39
	v_add_co_ci_u32_e64 v40, null, s25, v40, s0
	global_load_dwordx2 v[35:36], v[35:36], off
	v_add_co_u32 v37, s0, s20, v37
	v_add_co_ci_u32_e64 v38, null, s21, v38, s0
	global_store_dword v[39:40], v34, off
	s_waitcnt vmcnt(0)
	global_store_dwordx2 v[37:38], v[35:36], off
	s_or_b32 exec_lo, exec_lo, s26
	v_add_nc_u32_e32 v33, s19, v18
	s_and_saveexec_b32 s26, s37
	s_cbranch_execz .LBB220_23
.LBB220_86:                             ;   in Loop: Header=BB220_21 Depth=1
	v_add3_u32 v35, v1, s35, 32
	v_add_nc_u32_e32 v36, s35, v9
	v_add3_u32 v37, v0, v31, 32
	v_cndmask_b32_e32 v35, v36, v35, vcc_lo
	v_ashrrev_i32_e32 v38, 31, v37
	v_ashrrev_i32_e32 v36, 31, v35
	v_lshlrev_b64 v[39:40], 2, v[37:38]
	v_lshlrev_b64 v[37:38], 3, v[37:38]
	;; [unrolled: 1-line block ×3, first 2 shown]
	v_add_co_u32 v35, s0, s22, v35
	v_add_co_ci_u32_e64 v36, null, s23, v36, s0
	v_add_co_u32 v39, s0, s24, v39
	v_add_co_ci_u32_e64 v40, null, s25, v40, s0
	global_load_dwordx2 v[35:36], v[35:36], off
	v_add_co_u32 v37, s0, s20, v37
	v_add_co_ci_u32_e64 v38, null, s21, v38, s0
	global_store_dword v[39:40], v33, off
	s_waitcnt vmcnt(0)
	global_store_dwordx2 v[37:38], v[35:36], off
	s_or_b32 exec_lo, exec_lo, s26
	v_add_nc_u32_e32 v35, s19, v19
	s_and_saveexec_b32 s26, s38
	s_cbranch_execz .LBB220_24
.LBB220_87:                             ;   in Loop: Header=BB220_21 Depth=1
	v_add3_u32 v36, v1, s35, 64
	v_add_nc_u32_e32 v37, s35, v8
	v_add3_u32 v38, v0, v31, 64
	v_cndmask_b32_e32 v36, v37, v36, vcc_lo
	v_ashrrev_i32_e32 v39, 31, v38
	v_ashrrev_i32_e32 v37, 31, v36
	v_lshlrev_b64 v[40:41], 2, v[38:39]
	v_lshlrev_b64 v[38:39], 3, v[38:39]
	;; [unrolled: 1-line block ×3, first 2 shown]
	v_add_co_u32 v36, s0, s22, v36
	v_add_co_ci_u32_e64 v37, null, s23, v37, s0
	v_add_co_u32 v40, s0, s24, v40
	v_add_co_ci_u32_e64 v41, null, s25, v41, s0
	global_load_dwordx2 v[36:37], v[36:37], off
	v_add_co_u32 v38, s0, s20, v38
	v_add_co_ci_u32_e64 v39, null, s21, v39, s0
	global_store_dword v[40:41], v35, off
	s_waitcnt vmcnt(0)
	global_store_dwordx2 v[38:39], v[36:37], off
	s_or_b32 exec_lo, exec_lo, s26
	v_add_nc_u32_e32 v36, s19, v20
	s_and_saveexec_b32 s26, s39
	s_cbranch_execz .LBB220_25
.LBB220_88:                             ;   in Loop: Header=BB220_21 Depth=1
	v_add3_u32 v37, v1, s35, 0x60
	v_add_nc_u32_e32 v38, s35, v7
	v_add3_u32 v39, v0, v31, 0x60
	v_cndmask_b32_e32 v37, v38, v37, vcc_lo
	v_ashrrev_i32_e32 v40, 31, v39
	v_ashrrev_i32_e32 v38, 31, v37
	v_lshlrev_b64 v[41:42], 2, v[39:40]
	v_lshlrev_b64 v[39:40], 3, v[39:40]
	;; [unrolled: 1-line block ×3, first 2 shown]
	v_add_co_u32 v37, s0, s22, v37
	v_add_co_ci_u32_e64 v38, null, s23, v38, s0
	v_add_co_u32 v41, s0, s24, v41
	v_add_co_ci_u32_e64 v42, null, s25, v42, s0
	global_load_dwordx2 v[37:38], v[37:38], off
	v_add_co_u32 v39, s0, s20, v39
	v_add_co_ci_u32_e64 v40, null, s21, v40, s0
	global_store_dword v[41:42], v36, off
	s_waitcnt vmcnt(0)
	global_store_dwordx2 v[39:40], v[37:38], off
	s_or_b32 exec_lo, exec_lo, s26
	v_add_nc_u32_e32 v37, s19, v21
	s_and_saveexec_b32 s26, s40
	s_cbranch_execz .LBB220_26
.LBB220_89:                             ;   in Loop: Header=BB220_21 Depth=1
	v_add3_u32 v38, v1, s35, 0x80
	v_add_nc_u32_e32 v39, s35, v6
	v_add3_u32 v40, v0, v31, 0x80
	v_cndmask_b32_e32 v38, v39, v38, vcc_lo
	v_ashrrev_i32_e32 v41, 31, v40
	v_ashrrev_i32_e32 v39, 31, v38
	v_lshlrev_b64 v[42:43], 2, v[40:41]
	v_lshlrev_b64 v[40:41], 3, v[40:41]
	v_lshlrev_b64 v[38:39], 3, v[38:39]
	v_add_co_u32 v38, s0, s22, v38
	v_add_co_ci_u32_e64 v39, null, s23, v39, s0
	v_add_co_u32 v42, s0, s24, v42
	v_add_co_ci_u32_e64 v43, null, s25, v43, s0
	global_load_dwordx2 v[38:39], v[38:39], off
	v_add_co_u32 v40, s0, s20, v40
	v_add_co_ci_u32_e64 v41, null, s21, v41, s0
	global_store_dword v[42:43], v37, off
	s_waitcnt vmcnt(0)
	global_store_dwordx2 v[40:41], v[38:39], off
	s_or_b32 exec_lo, exec_lo, s26
	v_add_nc_u32_e32 v38, s19, v22
	s_and_saveexec_b32 s26, s41
	s_cbranch_execz .LBB220_27
.LBB220_90:                             ;   in Loop: Header=BB220_21 Depth=1
	v_add3_u32 v39, v1, s35, 0xa0
	v_add_nc_u32_e32 v40, s35, v5
	v_add3_u32 v41, v0, v31, 0xa0
	v_cndmask_b32_e32 v39, v40, v39, vcc_lo
	v_ashrrev_i32_e32 v42, 31, v41
	v_ashrrev_i32_e32 v40, 31, v39
	v_lshlrev_b64 v[43:44], 2, v[41:42]
	v_lshlrev_b64 v[41:42], 3, v[41:42]
	;; [unrolled: 1-line block ×3, first 2 shown]
	v_add_co_u32 v39, s0, s22, v39
	v_add_co_ci_u32_e64 v40, null, s23, v40, s0
	v_add_co_u32 v43, s0, s24, v43
	v_add_co_ci_u32_e64 v44, null, s25, v44, s0
	global_load_dwordx2 v[39:40], v[39:40], off
	v_add_co_u32 v41, s0, s20, v41
	v_add_co_ci_u32_e64 v42, null, s21, v42, s0
	global_store_dword v[43:44], v38, off
	s_waitcnt vmcnt(0)
	global_store_dwordx2 v[41:42], v[39:40], off
	s_or_b32 exec_lo, exec_lo, s26
	v_add_nc_u32_e32 v39, s19, v23
	s_and_saveexec_b32 s26, s42
	s_cbranch_execz .LBB220_28
.LBB220_91:                             ;   in Loop: Header=BB220_21 Depth=1
	v_add3_u32 v40, v1, s35, 0xc0
	v_add_nc_u32_e32 v41, s35, v4
	v_add3_u32 v42, v0, v31, 0xc0
	v_cndmask_b32_e32 v40, v41, v40, vcc_lo
	v_ashrrev_i32_e32 v43, 31, v42
	v_ashrrev_i32_e32 v41, 31, v40
	v_lshlrev_b64 v[44:45], 2, v[42:43]
	v_lshlrev_b64 v[42:43], 3, v[42:43]
	;; [unrolled: 1-line block ×3, first 2 shown]
	v_add_co_u32 v40, s0, s22, v40
	v_add_co_ci_u32_e64 v41, null, s23, v41, s0
	v_add_co_u32 v44, s0, s24, v44
	v_add_co_ci_u32_e64 v45, null, s25, v45, s0
	global_load_dwordx2 v[40:41], v[40:41], off
	v_add_co_u32 v42, s0, s20, v42
	v_add_co_ci_u32_e64 v43, null, s21, v43, s0
	global_store_dword v[44:45], v39, off
	s_waitcnt vmcnt(0)
	global_store_dwordx2 v[42:43], v[40:41], off
	s_or_b32 exec_lo, exec_lo, s26
	v_add_nc_u32_e32 v40, s19, v24
	s_and_saveexec_b32 s19, s43
	s_cbranch_execz .LBB220_29
.LBB220_92:                             ;   in Loop: Header=BB220_21 Depth=1
	v_add3_u32 v41, v1, s35, 0xe0
	v_add_nc_u32_e32 v42, s35, v3
	v_add3_u32 v43, v0, v31, 0xe0
	v_cndmask_b32_e32 v41, v42, v41, vcc_lo
	v_ashrrev_i32_e32 v44, 31, v43
	v_ashrrev_i32_e32 v42, 31, v41
	v_lshlrev_b64 v[45:46], 2, v[43:44]
	v_lshlrev_b64 v[43:44], 3, v[43:44]
	v_lshlrev_b64 v[41:42], 3, v[41:42]
	v_add_co_u32 v41, s0, s22, v41
	v_add_co_ci_u32_e64 v42, null, s23, v42, s0
	v_add_co_u32 v45, s0, s24, v45
	v_add_co_ci_u32_e64 v46, null, s25, v46, s0
	global_load_dwordx2 v[41:42], v[41:42], off
	v_add_co_u32 v43, s0, s20, v43
	v_add_co_ci_u32_e64 v44, null, s21, v44, s0
	global_store_dword v[45:46], v40, off
	s_waitcnt vmcnt(0)
	global_store_dwordx2 v[43:44], v[41:42], off
	s_or_b32 exec_lo, exec_lo, s19
	s_and_saveexec_b32 s19, s44
	s_cbranch_execz .LBB220_30
.LBB220_93:                             ;   in Loop: Header=BB220_21 Depth=1
	v_add_nc_u32_e32 v41, s35, v10
	v_add3_u32 v42, v2, s35, 32
	v_add_nc_u32_e32 v43, v0, v30
	v_cndmask_b32_e32 v41, v42, v41, vcc_lo
	v_ashrrev_i32_e32 v44, 31, v43
	v_ashrrev_i32_e32 v42, 31, v41
	v_lshlrev_b64 v[45:46], 2, v[43:44]
	v_lshlrev_b64 v[43:44], 3, v[43:44]
	;; [unrolled: 1-line block ×3, first 2 shown]
	v_add_co_u32 v41, s0, s22, v41
	v_add_co_ci_u32_e64 v42, null, s23, v42, s0
	v_add_co_u32 v45, s0, s24, v45
	v_add_co_ci_u32_e64 v46, null, s25, v46, s0
	global_load_dwordx2 v[41:42], v[41:42], off
	v_add_co_u32 v43, s0, s20, v43
	v_add_co_ci_u32_e64 v44, null, s21, v44, s0
	global_store_dword v[45:46], v34, off
	s_waitcnt vmcnt(0)
	global_store_dwordx2 v[43:44], v[41:42], off
	s_or_b32 exec_lo, exec_lo, s19
	s_and_saveexec_b32 s19, s45
	s_cbranch_execz .LBB220_31
.LBB220_94:                             ;   in Loop: Header=BB220_21 Depth=1
	v_cndmask_b32_e32 v41, v9, v10, vcc_lo
	v_add3_u32 v43, v0, v30, 32
	v_add3_u32 v41, v41, s35, 32
	v_ashrrev_i32_e32 v44, 31, v43
	v_ashrrev_i32_e32 v42, 31, v41
	v_lshlrev_b64 v[45:46], 2, v[43:44]
	v_lshlrev_b64 v[43:44], 3, v[43:44]
	;; [unrolled: 1-line block ×3, first 2 shown]
	v_add_co_u32 v41, s0, s22, v41
	v_add_co_ci_u32_e64 v42, null, s23, v42, s0
	v_add_co_u32 v45, s0, s24, v45
	v_add_co_ci_u32_e64 v46, null, s25, v46, s0
	global_load_dwordx2 v[41:42], v[41:42], off
	v_add_co_u32 v43, s0, s20, v43
	v_add_co_ci_u32_e64 v44, null, s21, v44, s0
	global_store_dword v[45:46], v33, off
	s_waitcnt vmcnt(0)
	global_store_dwordx2 v[43:44], v[41:42], off
	s_or_b32 exec_lo, exec_lo, s19
	s_and_saveexec_b32 s19, s46
	s_cbranch_execz .LBB220_32
.LBB220_95:                             ;   in Loop: Header=BB220_21 Depth=1
	v_add3_u32 v41, v10, s35, 64
	v_add3_u32 v42, v8, s35, 32
	;; [unrolled: 1-line block ×3, first 2 shown]
	v_cndmask_b32_e32 v41, v42, v41, vcc_lo
	v_ashrrev_i32_e32 v44, 31, v43
	v_ashrrev_i32_e32 v42, 31, v41
	v_lshlrev_b64 v[45:46], 2, v[43:44]
	v_lshlrev_b64 v[43:44], 3, v[43:44]
	;; [unrolled: 1-line block ×3, first 2 shown]
	v_add_co_u32 v41, s0, s22, v41
	v_add_co_ci_u32_e64 v42, null, s23, v42, s0
	v_add_co_u32 v45, s0, s24, v45
	v_add_co_ci_u32_e64 v46, null, s25, v46, s0
	global_load_dwordx2 v[41:42], v[41:42], off
	v_add_co_u32 v43, s0, s20, v43
	v_add_co_ci_u32_e64 v44, null, s21, v44, s0
	global_store_dword v[45:46], v35, off
	s_waitcnt vmcnt(0)
	global_store_dwordx2 v[43:44], v[41:42], off
	s_or_b32 exec_lo, exec_lo, s19
	s_and_saveexec_b32 s19, s47
	s_cbranch_execz .LBB220_33
.LBB220_96:                             ;   in Loop: Header=BB220_21 Depth=1
	v_add3_u32 v41, v10, s35, 0x60
	v_add3_u32 v42, v7, s35, 32
	;; [unrolled: 1-line block ×3, first 2 shown]
	v_cndmask_b32_e32 v41, v42, v41, vcc_lo
	v_ashrrev_i32_e32 v44, 31, v43
	v_ashrrev_i32_e32 v42, 31, v41
	v_lshlrev_b64 v[45:46], 2, v[43:44]
	v_lshlrev_b64 v[43:44], 3, v[43:44]
	;; [unrolled: 1-line block ×3, first 2 shown]
	v_add_co_u32 v41, s0, s22, v41
	v_add_co_ci_u32_e64 v42, null, s23, v42, s0
	v_add_co_u32 v45, s0, s24, v45
	v_add_co_ci_u32_e64 v46, null, s25, v46, s0
	global_load_dwordx2 v[41:42], v[41:42], off
	v_add_co_u32 v43, s0, s20, v43
	v_add_co_ci_u32_e64 v44, null, s21, v44, s0
	global_store_dword v[45:46], v36, off
	s_waitcnt vmcnt(0)
	global_store_dwordx2 v[43:44], v[41:42], off
	s_or_b32 exec_lo, exec_lo, s19
	s_and_saveexec_b32 s19, s48
	s_cbranch_execz .LBB220_34
.LBB220_97:                             ;   in Loop: Header=BB220_21 Depth=1
	v_add3_u32 v41, v10, s35, 0x80
	v_add3_u32 v42, v6, s35, 32
	;; [unrolled: 1-line block ×3, first 2 shown]
	v_cndmask_b32_e32 v41, v42, v41, vcc_lo
	v_ashrrev_i32_e32 v44, 31, v43
	v_ashrrev_i32_e32 v42, 31, v41
	v_lshlrev_b64 v[45:46], 2, v[43:44]
	v_lshlrev_b64 v[43:44], 3, v[43:44]
	;; [unrolled: 1-line block ×3, first 2 shown]
	v_add_co_u32 v41, s0, s22, v41
	v_add_co_ci_u32_e64 v42, null, s23, v42, s0
	v_add_co_u32 v45, s0, s24, v45
	v_add_co_ci_u32_e64 v46, null, s25, v46, s0
	global_load_dwordx2 v[41:42], v[41:42], off
	v_add_co_u32 v43, s0, s20, v43
	v_add_co_ci_u32_e64 v44, null, s21, v44, s0
	global_store_dword v[45:46], v37, off
	s_waitcnt vmcnt(0)
	global_store_dwordx2 v[43:44], v[41:42], off
	s_or_b32 exec_lo, exec_lo, s19
	s_and_saveexec_b32 s19, s49
	s_cbranch_execz .LBB220_35
.LBB220_98:                             ;   in Loop: Header=BB220_21 Depth=1
	v_add3_u32 v41, v10, s35, 0xa0
	v_add3_u32 v42, v5, s35, 32
	;; [unrolled: 1-line block ×3, first 2 shown]
	v_cndmask_b32_e32 v41, v42, v41, vcc_lo
	v_ashrrev_i32_e32 v44, 31, v43
	v_ashrrev_i32_e32 v42, 31, v41
	v_lshlrev_b64 v[45:46], 2, v[43:44]
	v_lshlrev_b64 v[43:44], 3, v[43:44]
	;; [unrolled: 1-line block ×3, first 2 shown]
	v_add_co_u32 v41, s0, s22, v41
	v_add_co_ci_u32_e64 v42, null, s23, v42, s0
	v_add_co_u32 v45, s0, s24, v45
	v_add_co_ci_u32_e64 v46, null, s25, v46, s0
	global_load_dwordx2 v[41:42], v[41:42], off
	v_add_co_u32 v43, s0, s20, v43
	v_add_co_ci_u32_e64 v44, null, s21, v44, s0
	global_store_dword v[45:46], v38, off
	s_waitcnt vmcnt(0)
	global_store_dwordx2 v[43:44], v[41:42], off
	s_or_b32 exec_lo, exec_lo, s19
	s_and_saveexec_b32 s19, s50
	s_cbranch_execz .LBB220_36
.LBB220_99:                             ;   in Loop: Header=BB220_21 Depth=1
	v_add3_u32 v41, v10, s35, 0xc0
	v_add3_u32 v42, v4, s35, 32
	;; [unrolled: 1-line block ×3, first 2 shown]
	v_cndmask_b32_e32 v41, v42, v41, vcc_lo
	v_ashrrev_i32_e32 v44, 31, v43
	v_ashrrev_i32_e32 v42, 31, v41
	v_lshlrev_b64 v[45:46], 2, v[43:44]
	v_lshlrev_b64 v[43:44], 3, v[43:44]
	;; [unrolled: 1-line block ×3, first 2 shown]
	v_add_co_u32 v41, s0, s22, v41
	v_add_co_ci_u32_e64 v42, null, s23, v42, s0
	v_add_co_u32 v45, s0, s24, v45
	v_add_co_ci_u32_e64 v46, null, s25, v46, s0
	global_load_dwordx2 v[41:42], v[41:42], off
	v_add_co_u32 v43, s0, s20, v43
	v_add_co_ci_u32_e64 v44, null, s21, v44, s0
	global_store_dword v[45:46], v39, off
	s_waitcnt vmcnt(0)
	global_store_dwordx2 v[43:44], v[41:42], off
	s_or_b32 exec_lo, exec_lo, s19
	s_and_saveexec_b32 s19, s1
	s_cbranch_execz .LBB220_37
.LBB220_100:                            ;   in Loop: Header=BB220_21 Depth=1
	v_add3_u32 v41, v10, s35, 0xe0
	v_add3_u32 v42, v3, s35, 32
	;; [unrolled: 1-line block ×3, first 2 shown]
	v_cndmask_b32_e32 v41, v42, v41, vcc_lo
	v_ashrrev_i32_e32 v44, 31, v43
	v_ashrrev_i32_e32 v42, 31, v41
	v_lshlrev_b64 v[45:46], 2, v[43:44]
	v_lshlrev_b64 v[43:44], 3, v[43:44]
	;; [unrolled: 1-line block ×3, first 2 shown]
	v_add_co_u32 v41, s0, s22, v41
	v_add_co_ci_u32_e64 v42, null, s23, v42, s0
	v_add_co_u32 v45, s0, s24, v45
	v_add_co_ci_u32_e64 v46, null, s25, v46, s0
	global_load_dwordx2 v[41:42], v[41:42], off
	v_add_co_u32 v43, s0, s20, v43
	v_add_co_ci_u32_e64 v44, null, s21, v44, s0
	global_store_dword v[45:46], v40, off
	s_waitcnt vmcnt(0)
	global_store_dwordx2 v[43:44], v[41:42], off
	s_or_b32 exec_lo, exec_lo, s19
	s_and_saveexec_b32 s19, s51
	s_cbranch_execz .LBB220_38
.LBB220_101:                            ;   in Loop: Header=BB220_21 Depth=1
	v_add_nc_u32_e32 v41, s35, v11
	v_add3_u32 v42, v2, s35, 64
	v_add_nc_u32_e32 v43, v0, v29
	v_cndmask_b32_e32 v41, v42, v41, vcc_lo
	v_ashrrev_i32_e32 v44, 31, v43
	v_ashrrev_i32_e32 v42, 31, v41
	v_lshlrev_b64 v[45:46], 2, v[43:44]
	v_lshlrev_b64 v[43:44], 3, v[43:44]
	;; [unrolled: 1-line block ×3, first 2 shown]
	v_add_co_u32 v41, s0, s22, v41
	v_add_co_ci_u32_e64 v42, null, s23, v42, s0
	v_add_co_u32 v45, s0, s24, v45
	v_add_co_ci_u32_e64 v46, null, s25, v46, s0
	global_load_dwordx2 v[41:42], v[41:42], off
	v_add_co_u32 v43, s0, s20, v43
	v_add_co_ci_u32_e64 v44, null, s21, v44, s0
	global_store_dword v[45:46], v34, off
	s_waitcnt vmcnt(0)
	global_store_dwordx2 v[43:44], v[41:42], off
	s_or_b32 exec_lo, exec_lo, s19
	s_and_saveexec_b32 s19, s52
	s_cbranch_execz .LBB220_39
.LBB220_102:                            ;   in Loop: Header=BB220_21 Depth=1
	v_add3_u32 v41, v11, s35, 32
	v_add3_u32 v42, v9, s35, 64
	v_add3_u32 v43, v0, v29, 32
	v_cndmask_b32_e32 v41, v42, v41, vcc_lo
	v_ashrrev_i32_e32 v44, 31, v43
	v_ashrrev_i32_e32 v42, 31, v41
	v_lshlrev_b64 v[45:46], 2, v[43:44]
	v_lshlrev_b64 v[43:44], 3, v[43:44]
	;; [unrolled: 1-line block ×3, first 2 shown]
	v_add_co_u32 v41, s0, s22, v41
	v_add_co_ci_u32_e64 v42, null, s23, v42, s0
	v_add_co_u32 v45, s0, s24, v45
	v_add_co_ci_u32_e64 v46, null, s25, v46, s0
	global_load_dwordx2 v[41:42], v[41:42], off
	v_add_co_u32 v43, s0, s20, v43
	v_add_co_ci_u32_e64 v44, null, s21, v44, s0
	global_store_dword v[45:46], v33, off
	s_waitcnt vmcnt(0)
	global_store_dwordx2 v[43:44], v[41:42], off
	s_or_b32 exec_lo, exec_lo, s19
	s_and_saveexec_b32 s19, s53
	s_cbranch_execz .LBB220_40
.LBB220_103:                            ;   in Loop: Header=BB220_21 Depth=1
	v_cndmask_b32_e32 v41, v8, v11, vcc_lo
	v_add3_u32 v43, v0, v29, 64
	v_add3_u32 v41, v41, s35, 64
	v_ashrrev_i32_e32 v44, 31, v43
	v_ashrrev_i32_e32 v42, 31, v41
	v_lshlrev_b64 v[45:46], 2, v[43:44]
	v_lshlrev_b64 v[43:44], 3, v[43:44]
	;; [unrolled: 1-line block ×3, first 2 shown]
	v_add_co_u32 v41, s0, s22, v41
	v_add_co_ci_u32_e64 v42, null, s23, v42, s0
	v_add_co_u32 v45, s0, s24, v45
	v_add_co_ci_u32_e64 v46, null, s25, v46, s0
	global_load_dwordx2 v[41:42], v[41:42], off
	v_add_co_u32 v43, s0, s20, v43
	v_add_co_ci_u32_e64 v44, null, s21, v44, s0
	global_store_dword v[45:46], v35, off
	s_waitcnt vmcnt(0)
	global_store_dwordx2 v[43:44], v[41:42], off
	s_or_b32 exec_lo, exec_lo, s19
	s_and_saveexec_b32 s19, s54
	s_cbranch_execz .LBB220_41
.LBB220_104:                            ;   in Loop: Header=BB220_21 Depth=1
	v_add3_u32 v41, v11, s35, 0x60
	v_add3_u32 v42, v7, s35, 64
	;; [unrolled: 1-line block ×3, first 2 shown]
	v_cndmask_b32_e32 v41, v42, v41, vcc_lo
	v_ashrrev_i32_e32 v44, 31, v43
	v_ashrrev_i32_e32 v42, 31, v41
	v_lshlrev_b64 v[45:46], 2, v[43:44]
	v_lshlrev_b64 v[43:44], 3, v[43:44]
	;; [unrolled: 1-line block ×3, first 2 shown]
	v_add_co_u32 v41, s0, s22, v41
	v_add_co_ci_u32_e64 v42, null, s23, v42, s0
	v_add_co_u32 v45, s0, s24, v45
	v_add_co_ci_u32_e64 v46, null, s25, v46, s0
	global_load_dwordx2 v[41:42], v[41:42], off
	v_add_co_u32 v43, s0, s20, v43
	v_add_co_ci_u32_e64 v44, null, s21, v44, s0
	global_store_dword v[45:46], v36, off
	s_waitcnt vmcnt(0)
	global_store_dwordx2 v[43:44], v[41:42], off
	s_or_b32 exec_lo, exec_lo, s19
	s_and_saveexec_b32 s19, s55
	s_cbranch_execz .LBB220_42
.LBB220_105:                            ;   in Loop: Header=BB220_21 Depth=1
	v_add3_u32 v41, v11, s35, 0x80
	v_add3_u32 v42, v6, s35, 64
	;; [unrolled: 1-line block ×3, first 2 shown]
	v_cndmask_b32_e32 v41, v42, v41, vcc_lo
	v_ashrrev_i32_e32 v44, 31, v43
	v_ashrrev_i32_e32 v42, 31, v41
	v_lshlrev_b64 v[45:46], 2, v[43:44]
	v_lshlrev_b64 v[43:44], 3, v[43:44]
	;; [unrolled: 1-line block ×3, first 2 shown]
	v_add_co_u32 v41, s0, s22, v41
	v_add_co_ci_u32_e64 v42, null, s23, v42, s0
	v_add_co_u32 v45, s0, s24, v45
	v_add_co_ci_u32_e64 v46, null, s25, v46, s0
	global_load_dwordx2 v[41:42], v[41:42], off
	v_add_co_u32 v43, s0, s20, v43
	v_add_co_ci_u32_e64 v44, null, s21, v44, s0
	global_store_dword v[45:46], v37, off
	s_waitcnt vmcnt(0)
	global_store_dwordx2 v[43:44], v[41:42], off
	s_or_b32 exec_lo, exec_lo, s19
	s_and_saveexec_b32 s19, s56
	s_cbranch_execz .LBB220_43
.LBB220_106:                            ;   in Loop: Header=BB220_21 Depth=1
	v_add3_u32 v41, v11, s35, 0xa0
	v_add3_u32 v42, v5, s35, 64
	;; [unrolled: 1-line block ×3, first 2 shown]
	v_cndmask_b32_e32 v41, v42, v41, vcc_lo
	v_ashrrev_i32_e32 v44, 31, v43
	v_ashrrev_i32_e32 v42, 31, v41
	v_lshlrev_b64 v[45:46], 2, v[43:44]
	v_lshlrev_b64 v[43:44], 3, v[43:44]
	;; [unrolled: 1-line block ×3, first 2 shown]
	v_add_co_u32 v41, s0, s22, v41
	v_add_co_ci_u32_e64 v42, null, s23, v42, s0
	v_add_co_u32 v45, s0, s24, v45
	v_add_co_ci_u32_e64 v46, null, s25, v46, s0
	global_load_dwordx2 v[41:42], v[41:42], off
	v_add_co_u32 v43, s0, s20, v43
	v_add_co_ci_u32_e64 v44, null, s21, v44, s0
	global_store_dword v[45:46], v38, off
	s_waitcnt vmcnt(0)
	global_store_dwordx2 v[43:44], v[41:42], off
	s_or_b32 exec_lo, exec_lo, s19
	s_and_saveexec_b32 s19, s57
	s_cbranch_execz .LBB220_44
.LBB220_107:                            ;   in Loop: Header=BB220_21 Depth=1
	v_add3_u32 v41, v11, s35, 0xc0
	v_add3_u32 v42, v4, s35, 64
	;; [unrolled: 1-line block ×3, first 2 shown]
	v_cndmask_b32_e32 v41, v42, v41, vcc_lo
	v_ashrrev_i32_e32 v44, 31, v43
	v_ashrrev_i32_e32 v42, 31, v41
	v_lshlrev_b64 v[45:46], 2, v[43:44]
	v_lshlrev_b64 v[43:44], 3, v[43:44]
	;; [unrolled: 1-line block ×3, first 2 shown]
	v_add_co_u32 v41, s0, s22, v41
	v_add_co_ci_u32_e64 v42, null, s23, v42, s0
	v_add_co_u32 v45, s0, s24, v45
	v_add_co_ci_u32_e64 v46, null, s25, v46, s0
	global_load_dwordx2 v[41:42], v[41:42], off
	v_add_co_u32 v43, s0, s20, v43
	v_add_co_ci_u32_e64 v44, null, s21, v44, s0
	global_store_dword v[45:46], v39, off
	s_waitcnt vmcnt(0)
	global_store_dwordx2 v[43:44], v[41:42], off
	s_or_b32 exec_lo, exec_lo, s19
	s_and_saveexec_b32 s19, s58
	s_cbranch_execz .LBB220_45
.LBB220_108:                            ;   in Loop: Header=BB220_21 Depth=1
	v_add3_u32 v41, v11, s35, 0xe0
	v_add3_u32 v42, v3, s35, 64
	;; [unrolled: 1-line block ×3, first 2 shown]
	v_cndmask_b32_e32 v41, v42, v41, vcc_lo
	v_ashrrev_i32_e32 v44, 31, v43
	v_ashrrev_i32_e32 v42, 31, v41
	v_lshlrev_b64 v[45:46], 2, v[43:44]
	v_lshlrev_b64 v[43:44], 3, v[43:44]
	;; [unrolled: 1-line block ×3, first 2 shown]
	v_add_co_u32 v41, s0, s22, v41
	v_add_co_ci_u32_e64 v42, null, s23, v42, s0
	v_add_co_u32 v45, s0, s24, v45
	v_add_co_ci_u32_e64 v46, null, s25, v46, s0
	global_load_dwordx2 v[41:42], v[41:42], off
	v_add_co_u32 v43, s0, s20, v43
	v_add_co_ci_u32_e64 v44, null, s21, v44, s0
	global_store_dword v[45:46], v40, off
	s_waitcnt vmcnt(0)
	global_store_dwordx2 v[43:44], v[41:42], off
	s_or_b32 exec_lo, exec_lo, s19
	s_and_saveexec_b32 s19, s59
	s_cbranch_execz .LBB220_46
.LBB220_109:                            ;   in Loop: Header=BB220_21 Depth=1
	v_add_nc_u32_e32 v41, s35, v12
	v_add3_u32 v42, v2, s35, 0x60
	v_add_nc_u32_e32 v43, v0, v28
	v_cndmask_b32_e32 v41, v42, v41, vcc_lo
	v_ashrrev_i32_e32 v44, 31, v43
	v_ashrrev_i32_e32 v42, 31, v41
	v_lshlrev_b64 v[45:46], 2, v[43:44]
	v_lshlrev_b64 v[43:44], 3, v[43:44]
	;; [unrolled: 1-line block ×3, first 2 shown]
	v_add_co_u32 v41, s0, s22, v41
	v_add_co_ci_u32_e64 v42, null, s23, v42, s0
	v_add_co_u32 v45, s0, s24, v45
	v_add_co_ci_u32_e64 v46, null, s25, v46, s0
	global_load_dwordx2 v[41:42], v[41:42], off
	v_add_co_u32 v43, s0, s20, v43
	v_add_co_ci_u32_e64 v44, null, s21, v44, s0
	global_store_dword v[45:46], v34, off
	s_waitcnt vmcnt(0)
	global_store_dwordx2 v[43:44], v[41:42], off
	s_or_b32 exec_lo, exec_lo, s19
	s_and_saveexec_b32 s19, s60
	s_cbranch_execz .LBB220_47
.LBB220_110:                            ;   in Loop: Header=BB220_21 Depth=1
	v_add3_u32 v41, v12, s35, 32
	v_add3_u32 v42, v9, s35, 0x60
	;; [unrolled: 1-line block ×3, first 2 shown]
	v_cndmask_b32_e32 v41, v42, v41, vcc_lo
	v_ashrrev_i32_e32 v44, 31, v43
	v_ashrrev_i32_e32 v42, 31, v41
	v_lshlrev_b64 v[45:46], 2, v[43:44]
	v_lshlrev_b64 v[43:44], 3, v[43:44]
	;; [unrolled: 1-line block ×3, first 2 shown]
	v_add_co_u32 v41, s0, s22, v41
	v_add_co_ci_u32_e64 v42, null, s23, v42, s0
	v_add_co_u32 v45, s0, s24, v45
	v_add_co_ci_u32_e64 v46, null, s25, v46, s0
	global_load_dwordx2 v[41:42], v[41:42], off
	v_add_co_u32 v43, s0, s20, v43
	v_add_co_ci_u32_e64 v44, null, s21, v44, s0
	global_store_dword v[45:46], v33, off
	s_waitcnt vmcnt(0)
	global_store_dwordx2 v[43:44], v[41:42], off
	s_or_b32 exec_lo, exec_lo, s19
	s_and_saveexec_b32 s19, s61
	s_cbranch_execz .LBB220_48
.LBB220_111:                            ;   in Loop: Header=BB220_21 Depth=1
	v_add3_u32 v41, v12, s35, 64
	v_add3_u32 v42, v8, s35, 0x60
	;; [unrolled: 1-line block ×3, first 2 shown]
	v_cndmask_b32_e32 v41, v42, v41, vcc_lo
	v_ashrrev_i32_e32 v44, 31, v43
	v_ashrrev_i32_e32 v42, 31, v41
	v_lshlrev_b64 v[45:46], 2, v[43:44]
	v_lshlrev_b64 v[43:44], 3, v[43:44]
	;; [unrolled: 1-line block ×3, first 2 shown]
	v_add_co_u32 v41, s0, s22, v41
	v_add_co_ci_u32_e64 v42, null, s23, v42, s0
	v_add_co_u32 v45, s0, s24, v45
	v_add_co_ci_u32_e64 v46, null, s25, v46, s0
	global_load_dwordx2 v[41:42], v[41:42], off
	v_add_co_u32 v43, s0, s20, v43
	v_add_co_ci_u32_e64 v44, null, s21, v44, s0
	global_store_dword v[45:46], v35, off
	s_waitcnt vmcnt(0)
	global_store_dwordx2 v[43:44], v[41:42], off
	s_or_b32 exec_lo, exec_lo, s19
	s_and_saveexec_b32 s19, s62
	s_cbranch_execz .LBB220_49
.LBB220_112:                            ;   in Loop: Header=BB220_21 Depth=1
	v_cndmask_b32_e32 v41, v7, v12, vcc_lo
	v_add3_u32 v43, v0, v28, 0x60
	v_add3_u32 v41, v41, s35, 0x60
	v_ashrrev_i32_e32 v44, 31, v43
	v_ashrrev_i32_e32 v42, 31, v41
	v_lshlrev_b64 v[45:46], 2, v[43:44]
	v_lshlrev_b64 v[43:44], 3, v[43:44]
	;; [unrolled: 1-line block ×3, first 2 shown]
	v_add_co_u32 v41, s0, s22, v41
	v_add_co_ci_u32_e64 v42, null, s23, v42, s0
	v_add_co_u32 v45, s0, s24, v45
	v_add_co_ci_u32_e64 v46, null, s25, v46, s0
	global_load_dwordx2 v[41:42], v[41:42], off
	v_add_co_u32 v43, s0, s20, v43
	v_add_co_ci_u32_e64 v44, null, s21, v44, s0
	global_store_dword v[45:46], v36, off
	s_waitcnt vmcnt(0)
	global_store_dwordx2 v[43:44], v[41:42], off
	s_or_b32 exec_lo, exec_lo, s19
	s_and_saveexec_b32 s19, s63
	s_cbranch_execz .LBB220_50
.LBB220_113:                            ;   in Loop: Header=BB220_21 Depth=1
	v_add3_u32 v41, v12, s35, 0x80
	v_add3_u32 v42, v6, s35, 0x60
	;; [unrolled: 1-line block ×3, first 2 shown]
	v_cndmask_b32_e32 v41, v42, v41, vcc_lo
	v_ashrrev_i32_e32 v44, 31, v43
	v_ashrrev_i32_e32 v42, 31, v41
	v_lshlrev_b64 v[45:46], 2, v[43:44]
	v_lshlrev_b64 v[43:44], 3, v[43:44]
	;; [unrolled: 1-line block ×3, first 2 shown]
	v_add_co_u32 v41, s0, s22, v41
	v_add_co_ci_u32_e64 v42, null, s23, v42, s0
	v_add_co_u32 v45, s0, s24, v45
	v_add_co_ci_u32_e64 v46, null, s25, v46, s0
	global_load_dwordx2 v[41:42], v[41:42], off
	v_add_co_u32 v43, s0, s20, v43
	v_add_co_ci_u32_e64 v44, null, s21, v44, s0
	global_store_dword v[45:46], v37, off
	s_waitcnt vmcnt(0)
	global_store_dwordx2 v[43:44], v[41:42], off
	s_or_b32 exec_lo, exec_lo, s19
	s_and_saveexec_b32 s19, s64
	s_cbranch_execz .LBB220_51
.LBB220_114:                            ;   in Loop: Header=BB220_21 Depth=1
	v_add3_u32 v41, v12, s35, 0xa0
	v_add3_u32 v42, v5, s35, 0x60
	;; [unrolled: 1-line block ×3, first 2 shown]
	v_cndmask_b32_e32 v41, v42, v41, vcc_lo
	v_ashrrev_i32_e32 v44, 31, v43
	v_ashrrev_i32_e32 v42, 31, v41
	v_lshlrev_b64 v[45:46], 2, v[43:44]
	v_lshlrev_b64 v[43:44], 3, v[43:44]
	;; [unrolled: 1-line block ×3, first 2 shown]
	v_add_co_u32 v41, s0, s22, v41
	v_add_co_ci_u32_e64 v42, null, s23, v42, s0
	v_add_co_u32 v45, s0, s24, v45
	v_add_co_ci_u32_e64 v46, null, s25, v46, s0
	global_load_dwordx2 v[41:42], v[41:42], off
	v_add_co_u32 v43, s0, s20, v43
	v_add_co_ci_u32_e64 v44, null, s21, v44, s0
	global_store_dword v[45:46], v38, off
	s_waitcnt vmcnt(0)
	global_store_dwordx2 v[43:44], v[41:42], off
	s_or_b32 exec_lo, exec_lo, s19
	s_and_saveexec_b32 s19, s65
	s_cbranch_execz .LBB220_52
.LBB220_115:                            ;   in Loop: Header=BB220_21 Depth=1
	v_add3_u32 v41, v12, s35, 0xc0
	v_add3_u32 v42, v4, s35, 0x60
	;; [unrolled: 1-line block ×3, first 2 shown]
	v_cndmask_b32_e32 v41, v42, v41, vcc_lo
	v_ashrrev_i32_e32 v44, 31, v43
	v_ashrrev_i32_e32 v42, 31, v41
	v_lshlrev_b64 v[45:46], 2, v[43:44]
	v_lshlrev_b64 v[43:44], 3, v[43:44]
	v_lshlrev_b64 v[41:42], 3, v[41:42]
	v_add_co_u32 v41, s0, s22, v41
	v_add_co_ci_u32_e64 v42, null, s23, v42, s0
	v_add_co_u32 v45, s0, s24, v45
	v_add_co_ci_u32_e64 v46, null, s25, v46, s0
	global_load_dwordx2 v[41:42], v[41:42], off
	v_add_co_u32 v43, s0, s20, v43
	v_add_co_ci_u32_e64 v44, null, s21, v44, s0
	global_store_dword v[45:46], v39, off
	s_waitcnt vmcnt(0)
	global_store_dwordx2 v[43:44], v[41:42], off
	s_or_b32 exec_lo, exec_lo, s19
	s_and_saveexec_b32 s19, s6
	s_cbranch_execz .LBB220_53
.LBB220_116:                            ;   in Loop: Header=BB220_21 Depth=1
	v_add3_u32 v41, v12, s35, 0xe0
	v_add3_u32 v42, v3, s35, 0x60
	;; [unrolled: 1-line block ×3, first 2 shown]
	v_cndmask_b32_e32 v41, v42, v41, vcc_lo
	v_ashrrev_i32_e32 v44, 31, v43
	v_ashrrev_i32_e32 v42, 31, v41
	v_lshlrev_b64 v[45:46], 2, v[43:44]
	v_lshlrev_b64 v[43:44], 3, v[43:44]
	;; [unrolled: 1-line block ×3, first 2 shown]
	v_add_co_u32 v41, s0, s22, v41
	v_add_co_ci_u32_e64 v42, null, s23, v42, s0
	v_add_co_u32 v45, s0, s24, v45
	v_add_co_ci_u32_e64 v46, null, s25, v46, s0
	global_load_dwordx2 v[41:42], v[41:42], off
	v_add_co_u32 v43, s0, s20, v43
	v_add_co_ci_u32_e64 v44, null, s21, v44, s0
	global_store_dword v[45:46], v40, off
	s_waitcnt vmcnt(0)
	global_store_dwordx2 v[43:44], v[41:42], off
	s_or_b32 exec_lo, exec_lo, s19
	s_and_saveexec_b32 s19, s66
	s_cbranch_execz .LBB220_54
.LBB220_117:                            ;   in Loop: Header=BB220_21 Depth=1
	v_add_nc_u32_e32 v41, s35, v13
	v_add3_u32 v42, v2, s35, 0x80
	v_add_nc_u32_e32 v43, v0, v27
	v_cndmask_b32_e32 v41, v42, v41, vcc_lo
	v_ashrrev_i32_e32 v44, 31, v43
	v_ashrrev_i32_e32 v42, 31, v41
	v_lshlrev_b64 v[45:46], 2, v[43:44]
	v_lshlrev_b64 v[43:44], 3, v[43:44]
	;; [unrolled: 1-line block ×3, first 2 shown]
	v_add_co_u32 v41, s0, s22, v41
	v_add_co_ci_u32_e64 v42, null, s23, v42, s0
	v_add_co_u32 v45, s0, s24, v45
	v_add_co_ci_u32_e64 v46, null, s25, v46, s0
	global_load_dwordx2 v[41:42], v[41:42], off
	v_add_co_u32 v43, s0, s20, v43
	v_add_co_ci_u32_e64 v44, null, s21, v44, s0
	global_store_dword v[45:46], v34, off
	s_waitcnt vmcnt(0)
	global_store_dwordx2 v[43:44], v[41:42], off
	s_or_b32 exec_lo, exec_lo, s19
	s_and_saveexec_b32 s19, s67
	s_cbranch_execz .LBB220_55
.LBB220_118:                            ;   in Loop: Header=BB220_21 Depth=1
	v_add3_u32 v41, v13, s35, 32
	v_add3_u32 v42, v9, s35, 0x80
	;; [unrolled: 1-line block ×3, first 2 shown]
	v_cndmask_b32_e32 v41, v42, v41, vcc_lo
	v_ashrrev_i32_e32 v44, 31, v43
	v_ashrrev_i32_e32 v42, 31, v41
	v_lshlrev_b64 v[45:46], 2, v[43:44]
	v_lshlrev_b64 v[43:44], 3, v[43:44]
	;; [unrolled: 1-line block ×3, first 2 shown]
	v_add_co_u32 v41, s0, s22, v41
	v_add_co_ci_u32_e64 v42, null, s23, v42, s0
	v_add_co_u32 v45, s0, s24, v45
	v_add_co_ci_u32_e64 v46, null, s25, v46, s0
	global_load_dwordx2 v[41:42], v[41:42], off
	v_add_co_u32 v43, s0, s20, v43
	v_add_co_ci_u32_e64 v44, null, s21, v44, s0
	global_store_dword v[45:46], v33, off
	s_waitcnt vmcnt(0)
	global_store_dwordx2 v[43:44], v[41:42], off
	s_or_b32 exec_lo, exec_lo, s19
	s_and_saveexec_b32 s19, s68
	s_cbranch_execz .LBB220_56
.LBB220_119:                            ;   in Loop: Header=BB220_21 Depth=1
	v_add3_u32 v41, v13, s35, 64
	v_add3_u32 v42, v8, s35, 0x80
	;; [unrolled: 1-line block ×3, first 2 shown]
	v_cndmask_b32_e32 v41, v42, v41, vcc_lo
	v_ashrrev_i32_e32 v44, 31, v43
	v_ashrrev_i32_e32 v42, 31, v41
	v_lshlrev_b64 v[45:46], 2, v[43:44]
	v_lshlrev_b64 v[43:44], 3, v[43:44]
	;; [unrolled: 1-line block ×3, first 2 shown]
	v_add_co_u32 v41, s0, s22, v41
	v_add_co_ci_u32_e64 v42, null, s23, v42, s0
	v_add_co_u32 v45, s0, s24, v45
	v_add_co_ci_u32_e64 v46, null, s25, v46, s0
	global_load_dwordx2 v[41:42], v[41:42], off
	v_add_co_u32 v43, s0, s20, v43
	v_add_co_ci_u32_e64 v44, null, s21, v44, s0
	global_store_dword v[45:46], v35, off
	s_waitcnt vmcnt(0)
	global_store_dwordx2 v[43:44], v[41:42], off
	s_or_b32 exec_lo, exec_lo, s19
	s_and_saveexec_b32 s19, s69
	s_cbranch_execz .LBB220_57
.LBB220_120:                            ;   in Loop: Header=BB220_21 Depth=1
	v_add3_u32 v41, v13, s35, 0x60
	v_add3_u32 v42, v7, s35, 0x80
	;; [unrolled: 1-line block ×3, first 2 shown]
	v_cndmask_b32_e32 v41, v42, v41, vcc_lo
	v_ashrrev_i32_e32 v44, 31, v43
	v_ashrrev_i32_e32 v42, 31, v41
	v_lshlrev_b64 v[45:46], 2, v[43:44]
	v_lshlrev_b64 v[43:44], 3, v[43:44]
	v_lshlrev_b64 v[41:42], 3, v[41:42]
	v_add_co_u32 v41, s0, s22, v41
	v_add_co_ci_u32_e64 v42, null, s23, v42, s0
	v_add_co_u32 v45, s0, s24, v45
	v_add_co_ci_u32_e64 v46, null, s25, v46, s0
	global_load_dwordx2 v[41:42], v[41:42], off
	v_add_co_u32 v43, s0, s20, v43
	v_add_co_ci_u32_e64 v44, null, s21, v44, s0
	global_store_dword v[45:46], v36, off
	s_waitcnt vmcnt(0)
	global_store_dwordx2 v[43:44], v[41:42], off
	s_or_b32 exec_lo, exec_lo, s19
	s_and_saveexec_b32 s19, s70
	s_cbranch_execz .LBB220_58
.LBB220_121:                            ;   in Loop: Header=BB220_21 Depth=1
	v_cndmask_b32_e32 v41, v6, v13, vcc_lo
	v_add3_u32 v43, v0, v27, 0x80
	v_add3_u32 v41, v41, s35, 0x80
	v_ashrrev_i32_e32 v44, 31, v43
	v_ashrrev_i32_e32 v42, 31, v41
	v_lshlrev_b64 v[45:46], 2, v[43:44]
	v_lshlrev_b64 v[43:44], 3, v[43:44]
	;; [unrolled: 1-line block ×3, first 2 shown]
	v_add_co_u32 v41, s0, s22, v41
	v_add_co_ci_u32_e64 v42, null, s23, v42, s0
	v_add_co_u32 v45, s0, s24, v45
	v_add_co_ci_u32_e64 v46, null, s25, v46, s0
	global_load_dwordx2 v[41:42], v[41:42], off
	v_add_co_u32 v43, s0, s20, v43
	v_add_co_ci_u32_e64 v44, null, s21, v44, s0
	global_store_dword v[45:46], v37, off
	s_waitcnt vmcnt(0)
	global_store_dwordx2 v[43:44], v[41:42], off
	s_or_b32 exec_lo, exec_lo, s19
	s_and_saveexec_b32 s19, s71
	s_cbranch_execz .LBB220_59
.LBB220_122:                            ;   in Loop: Header=BB220_21 Depth=1
	v_add3_u32 v41, v13, s35, 0xa0
	v_add3_u32 v42, v5, s35, 0x80
	;; [unrolled: 1-line block ×3, first 2 shown]
	v_cndmask_b32_e32 v41, v42, v41, vcc_lo
	v_ashrrev_i32_e32 v44, 31, v43
	v_ashrrev_i32_e32 v42, 31, v41
	v_lshlrev_b64 v[45:46], 2, v[43:44]
	v_lshlrev_b64 v[43:44], 3, v[43:44]
	;; [unrolled: 1-line block ×3, first 2 shown]
	v_add_co_u32 v41, s0, s22, v41
	v_add_co_ci_u32_e64 v42, null, s23, v42, s0
	v_add_co_u32 v45, s0, s24, v45
	v_add_co_ci_u32_e64 v46, null, s25, v46, s0
	global_load_dwordx2 v[41:42], v[41:42], off
	v_add_co_u32 v43, s0, s20, v43
	v_add_co_ci_u32_e64 v44, null, s21, v44, s0
	global_store_dword v[45:46], v38, off
	s_waitcnt vmcnt(0)
	global_store_dwordx2 v[43:44], v[41:42], off
	s_or_b32 exec_lo, exec_lo, s19
	s_and_saveexec_b32 s19, s72
	s_cbranch_execz .LBB220_60
.LBB220_123:                            ;   in Loop: Header=BB220_21 Depth=1
	v_add3_u32 v41, v13, s35, 0xc0
	v_add3_u32 v42, v4, s35, 0x80
	;; [unrolled: 1-line block ×3, first 2 shown]
	v_cndmask_b32_e32 v41, v42, v41, vcc_lo
	v_ashrrev_i32_e32 v44, 31, v43
	v_ashrrev_i32_e32 v42, 31, v41
	v_lshlrev_b64 v[45:46], 2, v[43:44]
	v_lshlrev_b64 v[43:44], 3, v[43:44]
	;; [unrolled: 1-line block ×3, first 2 shown]
	v_add_co_u32 v41, s0, s22, v41
	v_add_co_ci_u32_e64 v42, null, s23, v42, s0
	v_add_co_u32 v45, s0, s24, v45
	v_add_co_ci_u32_e64 v46, null, s25, v46, s0
	global_load_dwordx2 v[41:42], v[41:42], off
	v_add_co_u32 v43, s0, s20, v43
	v_add_co_ci_u32_e64 v44, null, s21, v44, s0
	global_store_dword v[45:46], v39, off
	s_waitcnt vmcnt(0)
	global_store_dwordx2 v[43:44], v[41:42], off
	s_or_b32 exec_lo, exec_lo, s19
	s_and_saveexec_b32 s19, s7
	s_cbranch_execz .LBB220_61
.LBB220_124:                            ;   in Loop: Header=BB220_21 Depth=1
	v_add3_u32 v41, v13, s35, 0xe0
	v_add3_u32 v42, v3, s35, 0x80
	;; [unrolled: 1-line block ×3, first 2 shown]
	v_cndmask_b32_e32 v41, v42, v41, vcc_lo
	v_ashrrev_i32_e32 v44, 31, v43
	v_ashrrev_i32_e32 v42, 31, v41
	v_lshlrev_b64 v[45:46], 2, v[43:44]
	v_lshlrev_b64 v[43:44], 3, v[43:44]
	;; [unrolled: 1-line block ×3, first 2 shown]
	v_add_co_u32 v41, s0, s22, v41
	v_add_co_ci_u32_e64 v42, null, s23, v42, s0
	v_add_co_u32 v45, s0, s24, v45
	v_add_co_ci_u32_e64 v46, null, s25, v46, s0
	global_load_dwordx2 v[41:42], v[41:42], off
	v_add_co_u32 v43, s0, s20, v43
	v_add_co_ci_u32_e64 v44, null, s21, v44, s0
	global_store_dword v[45:46], v40, off
	s_waitcnt vmcnt(0)
	global_store_dwordx2 v[43:44], v[41:42], off
	s_or_b32 exec_lo, exec_lo, s19
	s_and_saveexec_b32 s19, s73
	s_cbranch_execz .LBB220_62
.LBB220_125:                            ;   in Loop: Header=BB220_21 Depth=1
	v_add_nc_u32_e32 v41, s35, v14
	v_add3_u32 v42, v2, s35, 0xa0
	v_add_nc_u32_e32 v43, v0, v26
	v_cndmask_b32_e32 v41, v42, v41, vcc_lo
	v_ashrrev_i32_e32 v44, 31, v43
	v_ashrrev_i32_e32 v42, 31, v41
	v_lshlrev_b64 v[45:46], 2, v[43:44]
	v_lshlrev_b64 v[43:44], 3, v[43:44]
	v_lshlrev_b64 v[41:42], 3, v[41:42]
	v_add_co_u32 v41, s0, s22, v41
	v_add_co_ci_u32_e64 v42, null, s23, v42, s0
	v_add_co_u32 v45, s0, s24, v45
	v_add_co_ci_u32_e64 v46, null, s25, v46, s0
	global_load_dwordx2 v[41:42], v[41:42], off
	v_add_co_u32 v43, s0, s20, v43
	v_add_co_ci_u32_e64 v44, null, s21, v44, s0
	global_store_dword v[45:46], v34, off
	s_waitcnt vmcnt(0)
	global_store_dwordx2 v[43:44], v[41:42], off
	s_or_b32 exec_lo, exec_lo, s19
	s_and_saveexec_b32 s19, s74
	s_cbranch_execz .LBB220_63
.LBB220_126:                            ;   in Loop: Header=BB220_21 Depth=1
	v_add3_u32 v41, v14, s35, 32
	v_add3_u32 v42, v9, s35, 0xa0
	;; [unrolled: 1-line block ×3, first 2 shown]
	v_cndmask_b32_e32 v41, v42, v41, vcc_lo
	v_ashrrev_i32_e32 v44, 31, v43
	v_ashrrev_i32_e32 v42, 31, v41
	v_lshlrev_b64 v[45:46], 2, v[43:44]
	v_lshlrev_b64 v[43:44], 3, v[43:44]
	;; [unrolled: 1-line block ×3, first 2 shown]
	v_add_co_u32 v41, s0, s22, v41
	v_add_co_ci_u32_e64 v42, null, s23, v42, s0
	v_add_co_u32 v45, s0, s24, v45
	v_add_co_ci_u32_e64 v46, null, s25, v46, s0
	global_load_dwordx2 v[41:42], v[41:42], off
	v_add_co_u32 v43, s0, s20, v43
	v_add_co_ci_u32_e64 v44, null, s21, v44, s0
	global_store_dword v[45:46], v33, off
	s_waitcnt vmcnt(0)
	global_store_dwordx2 v[43:44], v[41:42], off
	s_or_b32 exec_lo, exec_lo, s19
	s_and_saveexec_b32 s19, s75
	s_cbranch_execz .LBB220_64
.LBB220_127:                            ;   in Loop: Header=BB220_21 Depth=1
	v_add3_u32 v41, v14, s35, 64
	v_add3_u32 v42, v8, s35, 0xa0
	;; [unrolled: 1-line block ×3, first 2 shown]
	v_cndmask_b32_e32 v41, v42, v41, vcc_lo
	v_ashrrev_i32_e32 v44, 31, v43
	v_ashrrev_i32_e32 v42, 31, v41
	v_lshlrev_b64 v[45:46], 2, v[43:44]
	v_lshlrev_b64 v[43:44], 3, v[43:44]
	;; [unrolled: 1-line block ×3, first 2 shown]
	v_add_co_u32 v41, s0, s22, v41
	v_add_co_ci_u32_e64 v42, null, s23, v42, s0
	v_add_co_u32 v45, s0, s24, v45
	v_add_co_ci_u32_e64 v46, null, s25, v46, s0
	global_load_dwordx2 v[41:42], v[41:42], off
	v_add_co_u32 v43, s0, s20, v43
	v_add_co_ci_u32_e64 v44, null, s21, v44, s0
	global_store_dword v[45:46], v35, off
	s_waitcnt vmcnt(0)
	global_store_dwordx2 v[43:44], v[41:42], off
	s_or_b32 exec_lo, exec_lo, s19
	s_and_saveexec_b32 s19, s76
	s_cbranch_execz .LBB220_65
.LBB220_128:                            ;   in Loop: Header=BB220_21 Depth=1
	v_add3_u32 v41, v14, s35, 0x60
	v_add3_u32 v42, v7, s35, 0xa0
	v_add3_u32 v43, v0, v26, 0x60
	v_cndmask_b32_e32 v41, v42, v41, vcc_lo
	v_ashrrev_i32_e32 v44, 31, v43
	v_ashrrev_i32_e32 v42, 31, v41
	v_lshlrev_b64 v[45:46], 2, v[43:44]
	v_lshlrev_b64 v[43:44], 3, v[43:44]
	;; [unrolled: 1-line block ×3, first 2 shown]
	v_add_co_u32 v41, s0, s22, v41
	v_add_co_ci_u32_e64 v42, null, s23, v42, s0
	v_add_co_u32 v45, s0, s24, v45
	v_add_co_ci_u32_e64 v46, null, s25, v46, s0
	global_load_dwordx2 v[41:42], v[41:42], off
	v_add_co_u32 v43, s0, s20, v43
	v_add_co_ci_u32_e64 v44, null, s21, v44, s0
	global_store_dword v[45:46], v36, off
	s_waitcnt vmcnt(0)
	global_store_dwordx2 v[43:44], v[41:42], off
	s_or_b32 exec_lo, exec_lo, s19
	s_and_saveexec_b32 s19, s77
	s_cbranch_execz .LBB220_66
.LBB220_129:                            ;   in Loop: Header=BB220_21 Depth=1
	v_add3_u32 v41, v14, s35, 0x80
	v_add3_u32 v42, v6, s35, 0xa0
	;; [unrolled: 1-line block ×3, first 2 shown]
	v_cndmask_b32_e32 v41, v42, v41, vcc_lo
	v_ashrrev_i32_e32 v44, 31, v43
	v_ashrrev_i32_e32 v42, 31, v41
	v_lshlrev_b64 v[45:46], 2, v[43:44]
	v_lshlrev_b64 v[43:44], 3, v[43:44]
	;; [unrolled: 1-line block ×3, first 2 shown]
	v_add_co_u32 v41, s0, s22, v41
	v_add_co_ci_u32_e64 v42, null, s23, v42, s0
	v_add_co_u32 v45, s0, s24, v45
	v_add_co_ci_u32_e64 v46, null, s25, v46, s0
	global_load_dwordx2 v[41:42], v[41:42], off
	v_add_co_u32 v43, s0, s20, v43
	v_add_co_ci_u32_e64 v44, null, s21, v44, s0
	global_store_dword v[45:46], v37, off
	s_waitcnt vmcnt(0)
	global_store_dwordx2 v[43:44], v[41:42], off
	s_or_b32 exec_lo, exec_lo, s19
	s_and_saveexec_b32 s19, s78
	s_cbranch_execz .LBB220_67
.LBB220_130:                            ;   in Loop: Header=BB220_21 Depth=1
	v_cndmask_b32_e32 v41, v5, v14, vcc_lo
	v_add3_u32 v43, v0, v26, 0xa0
	v_add3_u32 v41, v41, s35, 0xa0
	v_ashrrev_i32_e32 v44, 31, v43
	v_ashrrev_i32_e32 v42, 31, v41
	v_lshlrev_b64 v[45:46], 2, v[43:44]
	v_lshlrev_b64 v[43:44], 3, v[43:44]
	;; [unrolled: 1-line block ×3, first 2 shown]
	v_add_co_u32 v41, s0, s22, v41
	v_add_co_ci_u32_e64 v42, null, s23, v42, s0
	v_add_co_u32 v45, s0, s24, v45
	v_add_co_ci_u32_e64 v46, null, s25, v46, s0
	global_load_dwordx2 v[41:42], v[41:42], off
	v_add_co_u32 v43, s0, s20, v43
	v_add_co_ci_u32_e64 v44, null, s21, v44, s0
	global_store_dword v[45:46], v38, off
	s_waitcnt vmcnt(0)
	global_store_dwordx2 v[43:44], v[41:42], off
	s_or_b32 exec_lo, exec_lo, s19
	s_and_saveexec_b32 s19, s79
	s_cbranch_execz .LBB220_68
.LBB220_131:                            ;   in Loop: Header=BB220_21 Depth=1
	v_add3_u32 v41, v14, s35, 0xc0
	v_add3_u32 v42, v4, s35, 0xa0
	;; [unrolled: 1-line block ×3, first 2 shown]
	v_cndmask_b32_e32 v41, v42, v41, vcc_lo
	v_ashrrev_i32_e32 v44, 31, v43
	v_ashrrev_i32_e32 v42, 31, v41
	v_lshlrev_b64 v[45:46], 2, v[43:44]
	v_lshlrev_b64 v[43:44], 3, v[43:44]
	;; [unrolled: 1-line block ×3, first 2 shown]
	v_add_co_u32 v41, s0, s22, v41
	v_add_co_ci_u32_e64 v42, null, s23, v42, s0
	v_add_co_u32 v45, s0, s24, v45
	v_add_co_ci_u32_e64 v46, null, s25, v46, s0
	global_load_dwordx2 v[41:42], v[41:42], off
	v_add_co_u32 v43, s0, s20, v43
	v_add_co_ci_u32_e64 v44, null, s21, v44, s0
	global_store_dword v[45:46], v39, off
	s_waitcnt vmcnt(0)
	global_store_dwordx2 v[43:44], v[41:42], off
	s_or_b32 exec_lo, exec_lo, s19
	s_and_saveexec_b32 s19, s8
	s_cbranch_execz .LBB220_69
.LBB220_132:                            ;   in Loop: Header=BB220_21 Depth=1
	v_add3_u32 v41, v14, s35, 0xe0
	v_add3_u32 v42, v3, s35, 0xa0
	;; [unrolled: 1-line block ×3, first 2 shown]
	v_cndmask_b32_e32 v41, v42, v41, vcc_lo
	v_ashrrev_i32_e32 v44, 31, v43
	v_ashrrev_i32_e32 v42, 31, v41
	v_lshlrev_b64 v[45:46], 2, v[43:44]
	v_lshlrev_b64 v[43:44], 3, v[43:44]
	;; [unrolled: 1-line block ×3, first 2 shown]
	v_add_co_u32 v41, s0, s22, v41
	v_add_co_ci_u32_e64 v42, null, s23, v42, s0
	v_add_co_u32 v45, s0, s24, v45
	v_add_co_ci_u32_e64 v46, null, s25, v46, s0
	global_load_dwordx2 v[41:42], v[41:42], off
	v_add_co_u32 v43, s0, s20, v43
	v_add_co_ci_u32_e64 v44, null, s21, v44, s0
	global_store_dword v[45:46], v40, off
	s_waitcnt vmcnt(0)
	global_store_dwordx2 v[43:44], v[41:42], off
	s_or_b32 exec_lo, exec_lo, s19
	s_and_saveexec_b32 s19, s80
	s_cbranch_execz .LBB220_70
.LBB220_133:                            ;   in Loop: Header=BB220_21 Depth=1
	v_add_nc_u32_e32 v41, s35, v15
	v_add3_u32 v42, v2, s35, 0xc0
	v_add_nc_u32_e32 v43, v0, v25
	v_cndmask_b32_e32 v41, v42, v41, vcc_lo
	v_ashrrev_i32_e32 v44, 31, v43
	v_ashrrev_i32_e32 v42, 31, v41
	v_lshlrev_b64 v[45:46], 2, v[43:44]
	v_lshlrev_b64 v[43:44], 3, v[43:44]
	;; [unrolled: 1-line block ×3, first 2 shown]
	v_add_co_u32 v41, s0, s22, v41
	v_add_co_ci_u32_e64 v42, null, s23, v42, s0
	v_add_co_u32 v45, s0, s24, v45
	v_add_co_ci_u32_e64 v46, null, s25, v46, s0
	global_load_dwordx2 v[41:42], v[41:42], off
	v_add_co_u32 v43, s0, s20, v43
	v_add_co_ci_u32_e64 v44, null, s21, v44, s0
	global_store_dword v[45:46], v34, off
	s_waitcnt vmcnt(0)
	global_store_dwordx2 v[43:44], v[41:42], off
	s_or_b32 exec_lo, exec_lo, s19
	s_and_saveexec_b32 s19, s81
	s_cbranch_execz .LBB220_71
.LBB220_134:                            ;   in Loop: Header=BB220_21 Depth=1
	v_add3_u32 v41, v15, s35, 32
	v_add3_u32 v42, v9, s35, 0xc0
	v_add3_u32 v43, v0, v25, 32
	v_cndmask_b32_e32 v41, v42, v41, vcc_lo
	v_ashrrev_i32_e32 v44, 31, v43
	v_ashrrev_i32_e32 v42, 31, v41
	v_lshlrev_b64 v[45:46], 2, v[43:44]
	v_lshlrev_b64 v[43:44], 3, v[43:44]
	;; [unrolled: 1-line block ×3, first 2 shown]
	v_add_co_u32 v41, s0, s22, v41
	v_add_co_ci_u32_e64 v42, null, s23, v42, s0
	v_add_co_u32 v45, s0, s24, v45
	v_add_co_ci_u32_e64 v46, null, s25, v46, s0
	global_load_dwordx2 v[41:42], v[41:42], off
	v_add_co_u32 v43, s0, s20, v43
	v_add_co_ci_u32_e64 v44, null, s21, v44, s0
	global_store_dword v[45:46], v33, off
	s_waitcnt vmcnt(0)
	global_store_dwordx2 v[43:44], v[41:42], off
	s_or_b32 exec_lo, exec_lo, s19
	s_and_saveexec_b32 s19, s82
	s_cbranch_execz .LBB220_72
.LBB220_135:                            ;   in Loop: Header=BB220_21 Depth=1
	v_add3_u32 v41, v15, s35, 64
	v_add3_u32 v42, v8, s35, 0xc0
	;; [unrolled: 1-line block ×3, first 2 shown]
	v_cndmask_b32_e32 v41, v42, v41, vcc_lo
	v_ashrrev_i32_e32 v44, 31, v43
	v_ashrrev_i32_e32 v42, 31, v41
	v_lshlrev_b64 v[45:46], 2, v[43:44]
	v_lshlrev_b64 v[43:44], 3, v[43:44]
	;; [unrolled: 1-line block ×3, first 2 shown]
	v_add_co_u32 v41, s0, s22, v41
	v_add_co_ci_u32_e64 v42, null, s23, v42, s0
	v_add_co_u32 v45, s0, s24, v45
	v_add_co_ci_u32_e64 v46, null, s25, v46, s0
	global_load_dwordx2 v[41:42], v[41:42], off
	v_add_co_u32 v43, s0, s20, v43
	v_add_co_ci_u32_e64 v44, null, s21, v44, s0
	global_store_dword v[45:46], v35, off
	s_waitcnt vmcnt(0)
	global_store_dwordx2 v[43:44], v[41:42], off
	s_or_b32 exec_lo, exec_lo, s19
	s_and_saveexec_b32 s19, s83
	s_cbranch_execz .LBB220_73
.LBB220_136:                            ;   in Loop: Header=BB220_21 Depth=1
	v_add3_u32 v41, v15, s35, 0x60
	v_add3_u32 v42, v7, s35, 0xc0
	;; [unrolled: 1-line block ×3, first 2 shown]
	v_cndmask_b32_e32 v41, v42, v41, vcc_lo
	v_ashrrev_i32_e32 v44, 31, v43
	v_ashrrev_i32_e32 v42, 31, v41
	v_lshlrev_b64 v[45:46], 2, v[43:44]
	v_lshlrev_b64 v[43:44], 3, v[43:44]
	;; [unrolled: 1-line block ×3, first 2 shown]
	v_add_co_u32 v41, s0, s22, v41
	v_add_co_ci_u32_e64 v42, null, s23, v42, s0
	v_add_co_u32 v45, s0, s24, v45
	v_add_co_ci_u32_e64 v46, null, s25, v46, s0
	global_load_dwordx2 v[41:42], v[41:42], off
	v_add_co_u32 v43, s0, s20, v43
	v_add_co_ci_u32_e64 v44, null, s21, v44, s0
	global_store_dword v[45:46], v36, off
	s_waitcnt vmcnt(0)
	global_store_dwordx2 v[43:44], v[41:42], off
	s_or_b32 exec_lo, exec_lo, s19
	s_and_saveexec_b32 s19, s84
	s_cbranch_execz .LBB220_74
.LBB220_137:                            ;   in Loop: Header=BB220_21 Depth=1
	v_add3_u32 v41, v15, s35, 0x80
	v_add3_u32 v42, v6, s35, 0xc0
	;; [unrolled: 1-line block ×3, first 2 shown]
	v_cndmask_b32_e32 v41, v42, v41, vcc_lo
	v_ashrrev_i32_e32 v44, 31, v43
	v_ashrrev_i32_e32 v42, 31, v41
	v_lshlrev_b64 v[45:46], 2, v[43:44]
	v_lshlrev_b64 v[43:44], 3, v[43:44]
	;; [unrolled: 1-line block ×3, first 2 shown]
	v_add_co_u32 v41, s0, s22, v41
	v_add_co_ci_u32_e64 v42, null, s23, v42, s0
	v_add_co_u32 v45, s0, s24, v45
	v_add_co_ci_u32_e64 v46, null, s25, v46, s0
	global_load_dwordx2 v[41:42], v[41:42], off
	v_add_co_u32 v43, s0, s20, v43
	v_add_co_ci_u32_e64 v44, null, s21, v44, s0
	global_store_dword v[45:46], v37, off
	s_waitcnt vmcnt(0)
	global_store_dwordx2 v[43:44], v[41:42], off
	s_or_b32 exec_lo, exec_lo, s19
	s_and_saveexec_b32 s19, s85
	s_cbranch_execz .LBB220_75
.LBB220_138:                            ;   in Loop: Header=BB220_21 Depth=1
	v_add3_u32 v41, v15, s35, 0xa0
	v_add3_u32 v42, v5, s35, 0xc0
	;; [unrolled: 1-line block ×3, first 2 shown]
	v_cndmask_b32_e32 v41, v42, v41, vcc_lo
	v_ashrrev_i32_e32 v44, 31, v43
	v_ashrrev_i32_e32 v42, 31, v41
	v_lshlrev_b64 v[45:46], 2, v[43:44]
	v_lshlrev_b64 v[43:44], 3, v[43:44]
	;; [unrolled: 1-line block ×3, first 2 shown]
	v_add_co_u32 v41, s0, s22, v41
	v_add_co_ci_u32_e64 v42, null, s23, v42, s0
	v_add_co_u32 v45, s0, s24, v45
	v_add_co_ci_u32_e64 v46, null, s25, v46, s0
	global_load_dwordx2 v[41:42], v[41:42], off
	v_add_co_u32 v43, s0, s20, v43
	v_add_co_ci_u32_e64 v44, null, s21, v44, s0
	global_store_dword v[45:46], v38, off
	s_waitcnt vmcnt(0)
	global_store_dwordx2 v[43:44], v[41:42], off
	s_or_b32 exec_lo, exec_lo, s19
	s_and_saveexec_b32 s19, s86
	s_cbranch_execz .LBB220_76
.LBB220_139:                            ;   in Loop: Header=BB220_21 Depth=1
	v_cndmask_b32_e32 v41, v4, v15, vcc_lo
	v_add3_u32 v43, v0, v25, 0xc0
	v_add3_u32 v41, v41, s35, 0xc0
	v_ashrrev_i32_e32 v44, 31, v43
	v_ashrrev_i32_e32 v42, 31, v41
	v_lshlrev_b64 v[45:46], 2, v[43:44]
	v_lshlrev_b64 v[43:44], 3, v[43:44]
	;; [unrolled: 1-line block ×3, first 2 shown]
	v_add_co_u32 v41, s0, s22, v41
	v_add_co_ci_u32_e64 v42, null, s23, v42, s0
	v_add_co_u32 v45, s0, s24, v45
	v_add_co_ci_u32_e64 v46, null, s25, v46, s0
	global_load_dwordx2 v[41:42], v[41:42], off
	v_add_co_u32 v43, s0, s20, v43
	v_add_co_ci_u32_e64 v44, null, s21, v44, s0
	global_store_dword v[45:46], v39, off
	s_waitcnt vmcnt(0)
	global_store_dwordx2 v[43:44], v[41:42], off
	s_or_b32 exec_lo, exec_lo, s19
	s_and_saveexec_b32 s19, s9
	s_cbranch_execz .LBB220_77
.LBB220_140:                            ;   in Loop: Header=BB220_21 Depth=1
	v_add3_u32 v41, v15, s35, 0xe0
	v_add3_u32 v42, v3, s35, 0xc0
	;; [unrolled: 1-line block ×3, first 2 shown]
	v_cndmask_b32_e32 v41, v42, v41, vcc_lo
	v_ashrrev_i32_e32 v44, 31, v43
	v_ashrrev_i32_e32 v42, 31, v41
	v_lshlrev_b64 v[45:46], 2, v[43:44]
	v_lshlrev_b64 v[43:44], 3, v[43:44]
	;; [unrolled: 1-line block ×3, first 2 shown]
	v_add_co_u32 v41, s0, s22, v41
	v_add_co_ci_u32_e64 v42, null, s23, v42, s0
	v_add_co_u32 v45, s0, s24, v45
	v_add_co_ci_u32_e64 v46, null, s25, v46, s0
	global_load_dwordx2 v[41:42], v[41:42], off
	v_add_co_u32 v43, s0, s20, v43
	v_add_co_ci_u32_e64 v44, null, s21, v44, s0
	global_store_dword v[45:46], v40, off
	s_waitcnt vmcnt(0)
	global_store_dwordx2 v[43:44], v[41:42], off
	s_or_b32 exec_lo, exec_lo, s19
	s_and_saveexec_b32 s19, s4
	s_cbranch_execz .LBB220_78
.LBB220_141:                            ;   in Loop: Header=BB220_21 Depth=1
	v_add_nc_u32_e32 v41, s35, v16
	v_add3_u32 v42, v2, s35, 0xe0
	v_add_nc_u32_e32 v43, v0, v17
	v_cndmask_b32_e32 v41, v42, v41, vcc_lo
	v_ashrrev_i32_e32 v44, 31, v43
	v_ashrrev_i32_e32 v42, 31, v41
	v_lshlrev_b64 v[45:46], 2, v[43:44]
	v_lshlrev_b64 v[43:44], 3, v[43:44]
	;; [unrolled: 1-line block ×3, first 2 shown]
	v_add_co_u32 v41, s0, s22, v41
	v_add_co_ci_u32_e64 v42, null, s23, v42, s0
	v_add_co_u32 v45, s0, s24, v45
	v_add_co_ci_u32_e64 v46, null, s25, v46, s0
	global_load_dwordx2 v[41:42], v[41:42], off
	v_add_co_u32 v43, s0, s20, v43
	v_add_co_ci_u32_e64 v44, null, s21, v44, s0
	global_store_dword v[45:46], v34, off
	s_waitcnt vmcnt(0)
	global_store_dwordx2 v[43:44], v[41:42], off
	s_or_b32 exec_lo, exec_lo, s19
	s_and_saveexec_b32 s19, s5
	s_cbranch_execz .LBB220_79
.LBB220_142:                            ;   in Loop: Header=BB220_21 Depth=1
	v_add3_u32 v34, v16, s35, 32
	v_add3_u32 v41, v9, s35, 0xe0
	;; [unrolled: 1-line block ×3, first 2 shown]
	v_cndmask_b32_e32 v41, v41, v34, vcc_lo
	v_ashrrev_i32_e32 v44, 31, v43
	v_ashrrev_i32_e32 v42, 31, v41
	v_lshlrev_b64 v[45:46], 2, v[43:44]
	v_lshlrev_b64 v[43:44], 3, v[43:44]
	v_lshlrev_b64 v[41:42], 3, v[41:42]
	v_add_co_u32 v41, s0, s22, v41
	v_add_co_ci_u32_e64 v42, null, s23, v42, s0
	v_add_co_u32 v45, s0, s24, v45
	v_add_co_ci_u32_e64 v46, null, s25, v46, s0
	global_load_dwordx2 v[41:42], v[41:42], off
	v_add_co_u32 v43, s0, s20, v43
	v_add_co_ci_u32_e64 v44, null, s21, v44, s0
	global_store_dword v[45:46], v33, off
	s_waitcnt vmcnt(0)
	global_store_dwordx2 v[43:44], v[41:42], off
	s_or_b32 exec_lo, exec_lo, s19
	s_and_saveexec_b32 s19, s10
	s_cbranch_execz .LBB220_80
.LBB220_143:                            ;   in Loop: Header=BB220_21 Depth=1
	v_add3_u32 v33, v16, s35, 64
	v_add3_u32 v34, v8, s35, 0xe0
	;; [unrolled: 1-line block ×3, first 2 shown]
	v_cndmask_b32_e32 v33, v34, v33, vcc_lo
	v_ashrrev_i32_e32 v42, 31, v41
	v_ashrrev_i32_e32 v34, 31, v33
	v_lshlrev_b64 v[43:44], 2, v[41:42]
	v_lshlrev_b64 v[41:42], 3, v[41:42]
	;; [unrolled: 1-line block ×3, first 2 shown]
	v_add_co_u32 v33, s0, s22, v33
	v_add_co_ci_u32_e64 v34, null, s23, v34, s0
	v_add_co_u32 v43, s0, s24, v43
	v_add_co_ci_u32_e64 v44, null, s25, v44, s0
	global_load_dwordx2 v[33:34], v[33:34], off
	v_add_co_u32 v41, s0, s20, v41
	v_add_co_ci_u32_e64 v42, null, s21, v42, s0
	global_store_dword v[43:44], v35, off
	s_waitcnt vmcnt(0)
	global_store_dwordx2 v[41:42], v[33:34], off
	s_or_b32 exec_lo, exec_lo, s19
	s_and_saveexec_b32 s19, s11
	s_cbranch_execz .LBB220_81
.LBB220_144:                            ;   in Loop: Header=BB220_21 Depth=1
	v_add3_u32 v33, v16, s35, 0x60
	v_add3_u32 v34, v7, s35, 0xe0
	v_add3_u32 v41, v0, v17, 0x60
	v_cndmask_b32_e32 v33, v34, v33, vcc_lo
	v_ashrrev_i32_e32 v42, 31, v41
	v_ashrrev_i32_e32 v34, 31, v33
	v_lshlrev_b64 v[43:44], 2, v[41:42]
	v_lshlrev_b64 v[41:42], 3, v[41:42]
	;; [unrolled: 1-line block ×3, first 2 shown]
	v_add_co_u32 v33, s0, s22, v33
	v_add_co_ci_u32_e64 v34, null, s23, v34, s0
	v_add_co_u32 v43, s0, s24, v43
	v_add_co_ci_u32_e64 v44, null, s25, v44, s0
	global_load_dwordx2 v[33:34], v[33:34], off
	v_add_co_u32 v41, s0, s20, v41
	v_add_co_ci_u32_e64 v42, null, s21, v42, s0
	global_store_dword v[43:44], v36, off
	s_waitcnt vmcnt(0)
	global_store_dwordx2 v[41:42], v[33:34], off
	s_or_b32 exec_lo, exec_lo, s19
	s_and_saveexec_b32 s19, s12
	s_cbranch_execz .LBB220_82
.LBB220_145:                            ;   in Loop: Header=BB220_21 Depth=1
	v_add3_u32 v33, v16, s35, 0x80
	v_add3_u32 v34, v6, s35, 0xe0
	;; [unrolled: 1-line block ×3, first 2 shown]
	v_cndmask_b32_e32 v33, v34, v33, vcc_lo
	v_ashrrev_i32_e32 v36, 31, v35
	v_ashrrev_i32_e32 v34, 31, v33
	v_lshlrev_b64 v[41:42], 2, v[35:36]
	v_lshlrev_b64 v[35:36], 3, v[35:36]
	;; [unrolled: 1-line block ×3, first 2 shown]
	v_add_co_u32 v33, s0, s22, v33
	v_add_co_ci_u32_e64 v34, null, s23, v34, s0
	v_add_co_u32 v41, s0, s24, v41
	v_add_co_ci_u32_e64 v42, null, s25, v42, s0
	global_load_dwordx2 v[33:34], v[33:34], off
	v_add_co_u32 v35, s0, s20, v35
	v_add_co_ci_u32_e64 v36, null, s21, v36, s0
	global_store_dword v[41:42], v37, off
	s_waitcnt vmcnt(0)
	global_store_dwordx2 v[35:36], v[33:34], off
	s_or_b32 exec_lo, exec_lo, s19
	s_and_saveexec_b32 s19, s13
	s_cbranch_execz .LBB220_83
.LBB220_146:                            ;   in Loop: Header=BB220_21 Depth=1
	v_add3_u32 v33, v16, s35, 0xa0
	v_add3_u32 v34, v5, s35, 0xe0
	;; [unrolled: 1-line block ×3, first 2 shown]
	v_cndmask_b32_e32 v33, v34, v33, vcc_lo
	v_ashrrev_i32_e32 v36, 31, v35
	v_ashrrev_i32_e32 v34, 31, v33
	v_lshlrev_b64 v[41:42], 2, v[35:36]
	v_lshlrev_b64 v[35:36], 3, v[35:36]
	;; [unrolled: 1-line block ×3, first 2 shown]
	v_add_co_u32 v33, s0, s22, v33
	v_add_co_ci_u32_e64 v34, null, s23, v34, s0
	v_add_co_u32 v41, s0, s24, v41
	v_add_co_ci_u32_e64 v42, null, s25, v42, s0
	global_load_dwordx2 v[33:34], v[33:34], off
	v_add_co_u32 v35, s0, s20, v35
	v_add_co_ci_u32_e64 v36, null, s21, v36, s0
	global_store_dword v[41:42], v38, off
	s_waitcnt vmcnt(0)
	global_store_dwordx2 v[35:36], v[33:34], off
	s_or_b32 exec_lo, exec_lo, s19
	s_and_saveexec_b32 s19, s14
	s_cbranch_execz .LBB220_84
.LBB220_147:                            ;   in Loop: Header=BB220_21 Depth=1
	v_add3_u32 v33, v16, s35, 0xc0
	v_add3_u32 v34, v4, s35, 0xe0
	;; [unrolled: 1-line block ×3, first 2 shown]
	v_cndmask_b32_e32 v33, v34, v33, vcc_lo
	v_ashrrev_i32_e32 v36, 31, v35
	v_ashrrev_i32_e32 v34, 31, v33
	v_lshlrev_b64 v[37:38], 2, v[35:36]
	v_lshlrev_b64 v[35:36], 3, v[35:36]
	;; [unrolled: 1-line block ×3, first 2 shown]
	v_add_co_u32 v33, s0, s22, v33
	v_add_co_ci_u32_e64 v34, null, s23, v34, s0
	v_add_co_u32 v37, s0, s24, v37
	v_add_co_ci_u32_e64 v38, null, s25, v38, s0
	global_load_dwordx2 v[33:34], v[33:34], off
	v_add_co_u32 v35, s0, s20, v35
	v_add_co_ci_u32_e64 v36, null, s21, v36, s0
	global_store_dword v[37:38], v39, off
	s_waitcnt vmcnt(0)
	global_store_dwordx2 v[35:36], v[33:34], off
	s_or_b32 exec_lo, exec_lo, s19
	s_and_saveexec_b32 s19, s15
	s_cbranch_execz .LBB220_20
.LBB220_148:                            ;   in Loop: Header=BB220_21 Depth=1
	v_cndmask_b32_e32 v33, v3, v16, vcc_lo
	v_add3_u32 v35, v0, v17, 0xe0
	v_add3_u32 v33, v33, s35, 0xe0
	v_ashrrev_i32_e32 v36, 31, v35
	v_ashrrev_i32_e32 v34, 31, v33
	v_lshlrev_b64 v[37:38], 2, v[35:36]
	v_lshlrev_b64 v[35:36], 3, v[35:36]
	;; [unrolled: 1-line block ×3, first 2 shown]
	v_add_co_u32 v33, s0, s22, v33
	v_add_co_ci_u32_e64 v34, null, s23, v34, s0
	v_add_co_u32 v37, s0, s24, v37
	v_add_co_ci_u32_e64 v38, null, s25, v38, s0
	global_load_dwordx2 v[33:34], v[33:34], off
	v_add_co_u32 v35, s0, s20, v35
	v_add_co_ci_u32_e64 v36, null, s21, v36, s0
	global_store_dword v[37:38], v40, off
	s_waitcnt vmcnt(0)
	global_store_dwordx2 v[35:36], v[33:34], off
	s_branch .LBB220_20
.LBB220_149:
	s_endpgm
	.section	.rodata,"a",@progbits
	.p2align	6, 0x0
	.amdhsa_kernel _ZN9rocsparseL35bsr2csr_block_per_row_33_256_kernelILj1024ELj256ELj32EdiiEEv20rocsparse_direction_T4_S2_21rocsparse_index_base_PKT2_PKT3_PKS2_S2_S3_PS4_PS7_PS2_
		.amdhsa_group_segment_fixed_size 0
		.amdhsa_private_segment_fixed_size 0
		.amdhsa_kernarg_size 72
		.amdhsa_user_sgpr_count 6
		.amdhsa_user_sgpr_private_segment_buffer 1
		.amdhsa_user_sgpr_dispatch_ptr 0
		.amdhsa_user_sgpr_queue_ptr 0
		.amdhsa_user_sgpr_kernarg_segment_ptr 1
		.amdhsa_user_sgpr_dispatch_id 0
		.amdhsa_user_sgpr_flat_scratch_init 0
		.amdhsa_user_sgpr_private_segment_size 0
		.amdhsa_wavefront_size32 1
		.amdhsa_uses_dynamic_stack 0
		.amdhsa_system_sgpr_private_segment_wavefront_offset 0
		.amdhsa_system_sgpr_workgroup_id_x 1
		.amdhsa_system_sgpr_workgroup_id_y 0
		.amdhsa_system_sgpr_workgroup_id_z 0
		.amdhsa_system_sgpr_workgroup_info 0
		.amdhsa_system_vgpr_workitem_id 0
		.amdhsa_next_free_vgpr 47
		.amdhsa_next_free_sgpr 87
		.amdhsa_reserve_vcc 1
		.amdhsa_reserve_flat_scratch 0
		.amdhsa_float_round_mode_32 0
		.amdhsa_float_round_mode_16_64 0
		.amdhsa_float_denorm_mode_32 3
		.amdhsa_float_denorm_mode_16_64 3
		.amdhsa_dx10_clamp 1
		.amdhsa_ieee_mode 1
		.amdhsa_fp16_overflow 0
		.amdhsa_workgroup_processor_mode 1
		.amdhsa_memory_ordered 1
		.amdhsa_forward_progress 1
		.amdhsa_shared_vgpr_count 0
		.amdhsa_exception_fp_ieee_invalid_op 0
		.amdhsa_exception_fp_denorm_src 0
		.amdhsa_exception_fp_ieee_div_zero 0
		.amdhsa_exception_fp_ieee_overflow 0
		.amdhsa_exception_fp_ieee_underflow 0
		.amdhsa_exception_fp_ieee_inexact 0
		.amdhsa_exception_int_div_zero 0
	.end_amdhsa_kernel
	.section	.text._ZN9rocsparseL35bsr2csr_block_per_row_33_256_kernelILj1024ELj256ELj32EdiiEEv20rocsparse_direction_T4_S2_21rocsparse_index_base_PKT2_PKT3_PKS2_S2_S3_PS4_PS7_PS2_,"axG",@progbits,_ZN9rocsparseL35bsr2csr_block_per_row_33_256_kernelILj1024ELj256ELj32EdiiEEv20rocsparse_direction_T4_S2_21rocsparse_index_base_PKT2_PKT3_PKS2_S2_S3_PS4_PS7_PS2_,comdat
.Lfunc_end220:
	.size	_ZN9rocsparseL35bsr2csr_block_per_row_33_256_kernelILj1024ELj256ELj32EdiiEEv20rocsparse_direction_T4_S2_21rocsparse_index_base_PKT2_PKT3_PKS2_S2_S3_PS4_PS7_PS2_, .Lfunc_end220-_ZN9rocsparseL35bsr2csr_block_per_row_33_256_kernelILj1024ELj256ELj32EdiiEEv20rocsparse_direction_T4_S2_21rocsparse_index_base_PKT2_PKT3_PKS2_S2_S3_PS4_PS7_PS2_
                                        ; -- End function
	.set _ZN9rocsparseL35bsr2csr_block_per_row_33_256_kernelILj1024ELj256ELj32EdiiEEv20rocsparse_direction_T4_S2_21rocsparse_index_base_PKT2_PKT3_PKS2_S2_S3_PS4_PS7_PS2_.num_vgpr, 47
	.set _ZN9rocsparseL35bsr2csr_block_per_row_33_256_kernelILj1024ELj256ELj32EdiiEEv20rocsparse_direction_T4_S2_21rocsparse_index_base_PKT2_PKT3_PKS2_S2_S3_PS4_PS7_PS2_.num_agpr, 0
	.set _ZN9rocsparseL35bsr2csr_block_per_row_33_256_kernelILj1024ELj256ELj32EdiiEEv20rocsparse_direction_T4_S2_21rocsparse_index_base_PKT2_PKT3_PKS2_S2_S3_PS4_PS7_PS2_.numbered_sgpr, 87
	.set _ZN9rocsparseL35bsr2csr_block_per_row_33_256_kernelILj1024ELj256ELj32EdiiEEv20rocsparse_direction_T4_S2_21rocsparse_index_base_PKT2_PKT3_PKS2_S2_S3_PS4_PS7_PS2_.num_named_barrier, 0
	.set _ZN9rocsparseL35bsr2csr_block_per_row_33_256_kernelILj1024ELj256ELj32EdiiEEv20rocsparse_direction_T4_S2_21rocsparse_index_base_PKT2_PKT3_PKS2_S2_S3_PS4_PS7_PS2_.private_seg_size, 0
	.set _ZN9rocsparseL35bsr2csr_block_per_row_33_256_kernelILj1024ELj256ELj32EdiiEEv20rocsparse_direction_T4_S2_21rocsparse_index_base_PKT2_PKT3_PKS2_S2_S3_PS4_PS7_PS2_.uses_vcc, 1
	.set _ZN9rocsparseL35bsr2csr_block_per_row_33_256_kernelILj1024ELj256ELj32EdiiEEv20rocsparse_direction_T4_S2_21rocsparse_index_base_PKT2_PKT3_PKS2_S2_S3_PS4_PS7_PS2_.uses_flat_scratch, 0
	.set _ZN9rocsparseL35bsr2csr_block_per_row_33_256_kernelILj1024ELj256ELj32EdiiEEv20rocsparse_direction_T4_S2_21rocsparse_index_base_PKT2_PKT3_PKS2_S2_S3_PS4_PS7_PS2_.has_dyn_sized_stack, 0
	.set _ZN9rocsparseL35bsr2csr_block_per_row_33_256_kernelILj1024ELj256ELj32EdiiEEv20rocsparse_direction_T4_S2_21rocsparse_index_base_PKT2_PKT3_PKS2_S2_S3_PS4_PS7_PS2_.has_recursion, 0
	.set _ZN9rocsparseL35bsr2csr_block_per_row_33_256_kernelILj1024ELj256ELj32EdiiEEv20rocsparse_direction_T4_S2_21rocsparse_index_base_PKT2_PKT3_PKS2_S2_S3_PS4_PS7_PS2_.has_indirect_call, 0
	.section	.AMDGPU.csdata,"",@progbits
; Kernel info:
; codeLenInByte = 12416
; TotalNumSgprs: 89
; NumVgprs: 47
; ScratchSize: 0
; MemoryBound: 0
; FloatMode: 240
; IeeeMode: 1
; LDSByteSize: 0 bytes/workgroup (compile time only)
; SGPRBlocks: 0
; VGPRBlocks: 5
; NumSGPRsForWavesPerEU: 89
; NumVGPRsForWavesPerEU: 47
; Occupancy: 16
; WaveLimiterHint : 1
; COMPUTE_PGM_RSRC2:SCRATCH_EN: 0
; COMPUTE_PGM_RSRC2:USER_SGPR: 6
; COMPUTE_PGM_RSRC2:TRAP_HANDLER: 0
; COMPUTE_PGM_RSRC2:TGID_X_EN: 1
; COMPUTE_PGM_RSRC2:TGID_Y_EN: 0
; COMPUTE_PGM_RSRC2:TGID_Z_EN: 0
; COMPUTE_PGM_RSRC2:TIDIG_COMP_CNT: 0
	.section	.text._ZN9rocsparseL35bsr2csr_block_dim_equals_one_kernelILj1024EdliEEvT2_S1_21rocsparse_index_base_PKT0_PKT1_PKS1_S2_PS3_PS6_PS1_,"axG",@progbits,_ZN9rocsparseL35bsr2csr_block_dim_equals_one_kernelILj1024EdliEEvT2_S1_21rocsparse_index_base_PKT0_PKT1_PKS1_S2_PS3_PS6_PS1_,comdat
	.globl	_ZN9rocsparseL35bsr2csr_block_dim_equals_one_kernelILj1024EdliEEvT2_S1_21rocsparse_index_base_PKT0_PKT1_PKS1_S2_PS3_PS6_PS1_ ; -- Begin function _ZN9rocsparseL35bsr2csr_block_dim_equals_one_kernelILj1024EdliEEvT2_S1_21rocsparse_index_base_PKT0_PKT1_PKS1_S2_PS3_PS6_PS1_
	.p2align	8
	.type	_ZN9rocsparseL35bsr2csr_block_dim_equals_one_kernelILj1024EdliEEvT2_S1_21rocsparse_index_base_PKT0_PKT1_PKS1_S2_PS3_PS6_PS1_,@function
_ZN9rocsparseL35bsr2csr_block_dim_equals_one_kernelILj1024EdliEEvT2_S1_21rocsparse_index_base_PKT0_PKT1_PKS1_S2_PS3_PS6_PS1_: ; @_ZN9rocsparseL35bsr2csr_block_dim_equals_one_kernelILj1024EdliEEvT2_S1_21rocsparse_index_base_PKT0_PKT1_PKS1_S2_PS3_PS6_PS1_
; %bb.0:
	s_clause 0x1
	s_load_dword s12, s[4:5], 0x0
	s_load_dwordx2 s[0:1], s[4:5], 0x18
	s_lshl_b32 s18, s6, 10
	s_mov_b32 s2, exec_lo
	v_or_b32_e32 v1, s18, v0
	v_ashrrev_i32_e32 v2, 31, v1
	s_waitcnt lgkmcnt(0)
	v_cmpx_le_i32_e64 s12, v1
	s_xor_b32 s2, exec_lo, s2
	s_or_saveexec_b32 s13, s2
	s_clause 0x5
	s_load_dwordx2 s[2:3], s[4:5], 0x40
	s_load_dwordx2 s[6:7], s[4:5], 0x30
	;; [unrolled: 1-line block ×4, first 2 shown]
	s_load_dword s19, s[4:5], 0x28
	s_load_dword s20, s[4:5], 0x8
	s_xor_b32 exec_lo, exec_lo, s13
	s_cbranch_execz .LBB221_6
; %bb.1:
	s_load_dwordx2 s[14:15], s[4:5], 0x38
	s_mov_b32 s21, exec_lo
                                        ; implicit-def: $sgpr16_sgpr17
	v_cmpx_ne_u32_e32 0, v1
	s_xor_b32 s21, exec_lo, s21
	s_cbranch_execz .LBB221_3
; %bb.2:
	s_waitcnt lgkmcnt(0)
	s_sub_u32 s16, s19, s20
	s_subb_u32 s17, 0, 0
.LBB221_3:
	s_or_saveexec_b32 s21, s21
	v_mov_b32_e32 v3, s16
	v_mov_b32_e32 v4, s17
	s_xor_b32 exec_lo, exec_lo, s21
	s_cbranch_execz .LBB221_5
; %bb.4:
	s_load_dwordx2 s[16:17], s[0:1], 0x0
	s_waitcnt lgkmcnt(0)
	s_sub_u32 s22, s19, s20
	s_subb_u32 s23, 0, 0
	v_mov_b32_e32 v3, s22
	v_mov_b32_e32 v7, 0
	;; [unrolled: 1-line block ×3, first 2 shown]
	s_add_u32 s16, s22, s16
	s_addc_u32 s17, s23, s17
	v_mov_b32_e32 v5, s16
	v_mov_b32_e32 v6, s17
	global_store_dwordx2 v7, v[5:6], s[14:15]
.LBB221_5:
	s_or_b32 exec_lo, exec_lo, s21
	v_lshlrev_b64 v[5:6], 3, v[1:2]
	v_add_co_u32 v7, vcc_lo, s0, v5
	v_add_co_ci_u32_e64 v8, null, s1, v6, vcc_lo
	global_load_dwordx2 v[7:8], v[7:8], off offset:8
	s_waitcnt vmcnt(0)
	v_add_co_u32 v3, vcc_lo, v3, v7
	v_add_co_ci_u32_e64 v4, null, v4, v8, vcc_lo
	s_waitcnt lgkmcnt(0)
	v_add_co_u32 v5, vcc_lo, s14, v5
	v_add_co_ci_u32_e64 v6, null, s15, v6, vcc_lo
	global_store_dwordx2 v[5:6], v[3:4], off offset:8
.LBB221_6:
	s_or_b32 exec_lo, exec_lo, s13
	s_ashr_i32 s13, s12, 31
	s_lshl_b64 s[12:13], s[12:13], 3
	s_add_u32 s12, s0, s12
	s_addc_u32 s13, s1, s13
	s_clause 0x1
	s_load_dwordx2 s[12:13], s[12:13], 0x0
	s_load_dwordx2 s[0:1], s[0:1], 0x0
	s_waitcnt lgkmcnt(0)
	s_sub_u32 s12, s12, s0
	s_subb_u32 s13, s13, s1
	s_mov_b32 s0, exec_lo
	v_cmpx_gt_i64_e64 s[12:13], v[1:2]
	s_cbranch_execz .LBB221_9
; %bb.7:
	s_load_dword s0, s[4:5], 0x48
	s_sub_i32 s4, s19, s20
	s_mov_b32 s5, 0
	s_waitcnt lgkmcnt(0)
	s_lshl_b32 s1, s0, 10
	v_add3_u32 v3, s1, s18, v0
	s_inst_prefetch 0x1
	.p2align	6
.LBB221_8:                              ; =>This Inner Loop Header: Depth=1
	v_lshlrev_b64 v[5:6], 2, v[1:2]
	v_lshlrev_b64 v[7:8], 3, v[1:2]
	v_ashrrev_i32_e32 v4, 31, v3
	v_add_co_u32 v0, vcc_lo, s10, v5
	v_add_co_ci_u32_e64 v1, null, s11, v6, vcc_lo
	v_add_co_u32 v9, vcc_lo, s8, v7
	v_add_co_ci_u32_e64 v10, null, s9, v8, vcc_lo
	global_load_dword v0, v[0:1], off
	global_load_dwordx2 v[9:10], v[9:10], off
	v_mov_b32_e32 v1, v3
	v_mov_b32_e32 v2, v4
	v_cmp_le_i64_e32 vcc_lo, s[12:13], v[3:4]
	v_add_co_u32 v4, s0, s2, v5
	v_add_co_ci_u32_e64 v5, null, s3, v6, s0
	v_add_co_u32 v6, s0, s6, v7
	v_add_co_ci_u32_e64 v7, null, s7, v8, s0
	v_add_nc_u32_e32 v3, s1, v3
	s_or_b32 s5, vcc_lo, s5
	s_waitcnt vmcnt(1)
	v_add_nc_u32_e32 v0, s4, v0
	s_waitcnt vmcnt(0)
	global_store_dwordx2 v[6:7], v[9:10], off
	global_store_dword v[4:5], v0, off
	s_andn2_b32 exec_lo, exec_lo, s5
	s_cbranch_execnz .LBB221_8
.LBB221_9:
	s_inst_prefetch 0x2
	s_endpgm
	.section	.rodata,"a",@progbits
	.p2align	6, 0x0
	.amdhsa_kernel _ZN9rocsparseL35bsr2csr_block_dim_equals_one_kernelILj1024EdliEEvT2_S1_21rocsparse_index_base_PKT0_PKT1_PKS1_S2_PS3_PS6_PS1_
		.amdhsa_group_segment_fixed_size 0
		.amdhsa_private_segment_fixed_size 0
		.amdhsa_kernarg_size 328
		.amdhsa_user_sgpr_count 6
		.amdhsa_user_sgpr_private_segment_buffer 1
		.amdhsa_user_sgpr_dispatch_ptr 0
		.amdhsa_user_sgpr_queue_ptr 0
		.amdhsa_user_sgpr_kernarg_segment_ptr 1
		.amdhsa_user_sgpr_dispatch_id 0
		.amdhsa_user_sgpr_flat_scratch_init 0
		.amdhsa_user_sgpr_private_segment_size 0
		.amdhsa_wavefront_size32 1
		.amdhsa_uses_dynamic_stack 0
		.amdhsa_system_sgpr_private_segment_wavefront_offset 0
		.amdhsa_system_sgpr_workgroup_id_x 1
		.amdhsa_system_sgpr_workgroup_id_y 0
		.amdhsa_system_sgpr_workgroup_id_z 0
		.amdhsa_system_sgpr_workgroup_info 0
		.amdhsa_system_vgpr_workitem_id 0
		.amdhsa_next_free_vgpr 11
		.amdhsa_next_free_sgpr 24
		.amdhsa_reserve_vcc 1
		.amdhsa_reserve_flat_scratch 0
		.amdhsa_float_round_mode_32 0
		.amdhsa_float_round_mode_16_64 0
		.amdhsa_float_denorm_mode_32 3
		.amdhsa_float_denorm_mode_16_64 3
		.amdhsa_dx10_clamp 1
		.amdhsa_ieee_mode 1
		.amdhsa_fp16_overflow 0
		.amdhsa_workgroup_processor_mode 1
		.amdhsa_memory_ordered 1
		.amdhsa_forward_progress 1
		.amdhsa_shared_vgpr_count 0
		.amdhsa_exception_fp_ieee_invalid_op 0
		.amdhsa_exception_fp_denorm_src 0
		.amdhsa_exception_fp_ieee_div_zero 0
		.amdhsa_exception_fp_ieee_overflow 0
		.amdhsa_exception_fp_ieee_underflow 0
		.amdhsa_exception_fp_ieee_inexact 0
		.amdhsa_exception_int_div_zero 0
	.end_amdhsa_kernel
	.section	.text._ZN9rocsparseL35bsr2csr_block_dim_equals_one_kernelILj1024EdliEEvT2_S1_21rocsparse_index_base_PKT0_PKT1_PKS1_S2_PS3_PS6_PS1_,"axG",@progbits,_ZN9rocsparseL35bsr2csr_block_dim_equals_one_kernelILj1024EdliEEvT2_S1_21rocsparse_index_base_PKT0_PKT1_PKS1_S2_PS3_PS6_PS1_,comdat
.Lfunc_end221:
	.size	_ZN9rocsparseL35bsr2csr_block_dim_equals_one_kernelILj1024EdliEEvT2_S1_21rocsparse_index_base_PKT0_PKT1_PKS1_S2_PS3_PS6_PS1_, .Lfunc_end221-_ZN9rocsparseL35bsr2csr_block_dim_equals_one_kernelILj1024EdliEEvT2_S1_21rocsparse_index_base_PKT0_PKT1_PKS1_S2_PS3_PS6_PS1_
                                        ; -- End function
	.set _ZN9rocsparseL35bsr2csr_block_dim_equals_one_kernelILj1024EdliEEvT2_S1_21rocsparse_index_base_PKT0_PKT1_PKS1_S2_PS3_PS6_PS1_.num_vgpr, 11
	.set _ZN9rocsparseL35bsr2csr_block_dim_equals_one_kernelILj1024EdliEEvT2_S1_21rocsparse_index_base_PKT0_PKT1_PKS1_S2_PS3_PS6_PS1_.num_agpr, 0
	.set _ZN9rocsparseL35bsr2csr_block_dim_equals_one_kernelILj1024EdliEEvT2_S1_21rocsparse_index_base_PKT0_PKT1_PKS1_S2_PS3_PS6_PS1_.numbered_sgpr, 24
	.set _ZN9rocsparseL35bsr2csr_block_dim_equals_one_kernelILj1024EdliEEvT2_S1_21rocsparse_index_base_PKT0_PKT1_PKS1_S2_PS3_PS6_PS1_.num_named_barrier, 0
	.set _ZN9rocsparseL35bsr2csr_block_dim_equals_one_kernelILj1024EdliEEvT2_S1_21rocsparse_index_base_PKT0_PKT1_PKS1_S2_PS3_PS6_PS1_.private_seg_size, 0
	.set _ZN9rocsparseL35bsr2csr_block_dim_equals_one_kernelILj1024EdliEEvT2_S1_21rocsparse_index_base_PKT0_PKT1_PKS1_S2_PS3_PS6_PS1_.uses_vcc, 1
	.set _ZN9rocsparseL35bsr2csr_block_dim_equals_one_kernelILj1024EdliEEvT2_S1_21rocsparse_index_base_PKT0_PKT1_PKS1_S2_PS3_PS6_PS1_.uses_flat_scratch, 0
	.set _ZN9rocsparseL35bsr2csr_block_dim_equals_one_kernelILj1024EdliEEvT2_S1_21rocsparse_index_base_PKT0_PKT1_PKS1_S2_PS3_PS6_PS1_.has_dyn_sized_stack, 0
	.set _ZN9rocsparseL35bsr2csr_block_dim_equals_one_kernelILj1024EdliEEvT2_S1_21rocsparse_index_base_PKT0_PKT1_PKS1_S2_PS3_PS6_PS1_.has_recursion, 0
	.set _ZN9rocsparseL35bsr2csr_block_dim_equals_one_kernelILj1024EdliEEvT2_S1_21rocsparse_index_base_PKT0_PKT1_PKS1_S2_PS3_PS6_PS1_.has_indirect_call, 0
	.section	.AMDGPU.csdata,"",@progbits
; Kernel info:
; codeLenInByte = 612
; TotalNumSgprs: 26
; NumVgprs: 11
; ScratchSize: 0
; MemoryBound: 0
; FloatMode: 240
; IeeeMode: 1
; LDSByteSize: 0 bytes/workgroup (compile time only)
; SGPRBlocks: 0
; VGPRBlocks: 1
; NumSGPRsForWavesPerEU: 26
; NumVGPRsForWavesPerEU: 11
; Occupancy: 16
; WaveLimiterHint : 0
; COMPUTE_PGM_RSRC2:SCRATCH_EN: 0
; COMPUTE_PGM_RSRC2:USER_SGPR: 6
; COMPUTE_PGM_RSRC2:TRAP_HANDLER: 0
; COMPUTE_PGM_RSRC2:TGID_X_EN: 1
; COMPUTE_PGM_RSRC2:TGID_Y_EN: 0
; COMPUTE_PGM_RSRC2:TGID_Z_EN: 0
; COMPUTE_PGM_RSRC2:TIDIG_COMP_CNT: 0
	.section	.text._ZN9rocsparseL32bsr2csr_block_per_row_2_7_kernelILj256ELj2EdliEEv20rocsparse_direction_T3_S2_21rocsparse_index_base_PKT1_PKT2_PKS2_S2_S3_PS4_PS7_PS2_,"axG",@progbits,_ZN9rocsparseL32bsr2csr_block_per_row_2_7_kernelILj256ELj2EdliEEv20rocsparse_direction_T3_S2_21rocsparse_index_base_PKT1_PKT2_PKS2_S2_S3_PS4_PS7_PS2_,comdat
	.globl	_ZN9rocsparseL32bsr2csr_block_per_row_2_7_kernelILj256ELj2EdliEEv20rocsparse_direction_T3_S2_21rocsparse_index_base_PKT1_PKT2_PKS2_S2_S3_PS4_PS7_PS2_ ; -- Begin function _ZN9rocsparseL32bsr2csr_block_per_row_2_7_kernelILj256ELj2EdliEEv20rocsparse_direction_T3_S2_21rocsparse_index_base_PKT1_PKT2_PKS2_S2_S3_PS4_PS7_PS2_
	.p2align	8
	.type	_ZN9rocsparseL32bsr2csr_block_per_row_2_7_kernelILj256ELj2EdliEEv20rocsparse_direction_T3_S2_21rocsparse_index_base_PKT1_PKT2_PKS2_S2_S3_PS4_PS7_PS2_,@function
_ZN9rocsparseL32bsr2csr_block_per_row_2_7_kernelILj256ELj2EdliEEv20rocsparse_direction_T3_S2_21rocsparse_index_base_PKT1_PKT2_PKS2_S2_S3_PS4_PS7_PS2_: ; @_ZN9rocsparseL32bsr2csr_block_per_row_2_7_kernelILj256ELj2EdliEEv20rocsparse_direction_T3_S2_21rocsparse_index_base_PKT1_PKT2_PKS2_S2_S3_PS4_PS7_PS2_
; %bb.0:
	s_load_dwordx2 s[0:1], s[4:5], 0x18
	s_ashr_i32 s7, s6, 31
	s_clause 0x1
	s_load_dword s8, s[4:5], 0x2c
	s_load_dwordx2 s[12:13], s[4:5], 0x38
	s_lshl_b64 s[2:3], s[6:7], 3
	v_or_b32_e32 v1, s6, v0
	s_mov_b32 s11, 0
	s_mov_b32 s7, exec_lo
	s_waitcnt lgkmcnt(0)
	s_add_u32 s0, s0, s2
	s_addc_u32 s1, s1, s3
	s_load_dwordx4 s[0:3], s[0:1], 0x0
	v_cmpx_eq_u32_e32 0, v1
	s_cbranch_execz .LBB222_2
; %bb.1:
	s_mov_b32 s9, s11
	v_mov_b32_e32 v1, s8
	v_mov_b32_e32 v3, 0
	;; [unrolled: 1-line block ×3, first 2 shown]
	global_store_dwordx2 v3, v[1:2], s[12:13]
.LBB222_2:
	s_or_b32 exec_lo, exec_lo, s7
	s_load_dword s10, s[4:5], 0xc
	v_and_b32_e32 v8, 1, v0
	v_mov_b32_e32 v2, 0
	v_lshrrev_b32_e32 v3, 1, v0
	v_lshl_or_b32 v1, s6, 1, v8
	v_add_nc_u32_e32 v1, 1, v1
	v_lshlrev_b64 v[0:1], 3, v[1:2]
	s_waitcnt lgkmcnt(0)
	s_sub_u32 s6, s0, s10
	s_subb_u32 s7, s1, 0
	s_sub_u32 s2, s2, s10
	s_subb_u32 s3, s3, 0
	s_lshl_b64 s[14:15], s[6:7], 2
	s_sub_u32 s16, s2, s6
	s_subb_u32 s17, s3, s7
	v_add_co_u32 v5, vcc_lo, s12, v0
	v_add_co_ci_u32_e64 v6, null, s13, v1, vcc_lo
	s_lshl_b64 s[12:13], s[16:17], 1
	s_lshr_b64 s[16:17], s[16:17], 31
	v_mul_lo_u32 v2, s12, v8
	v_add_co_u32 v0, s6, s6, v3
	v_mul_lo_u32 v4, s16, v8
	v_add_co_ci_u32_e64 v1, null, s7, 0, s6
	s_add_u32 s6, s12, s8
	s_addc_u32 s7, s13, 0
	s_add_u32 s6, s6, s14
	s_addc_u32 s7, s7, s15
	v_add_co_u32 v9, vcc_lo, s6, v2
	v_add_co_ci_u32_e64 v10, null, s7, v4, vcc_lo
	s_mov_b32 s6, exec_lo
	global_store_dwordx2 v[5:6], v[9:10], off
	v_cmpx_gt_i64_e64 s[2:3], v[0:1]
	s_cbranch_execz .LBB222_5
; %bb.3:
	s_clause 0x4
	s_load_dwordx2 s[6:7], s[4:5], 0x20
	s_load_dwordx2 s[12:13], s[4:5], 0x30
	s_load_dword s9, s[4:5], 0x0
	s_load_dwordx2 s[14:15], s[4:5], 0x10
	s_load_dwordx2 s[4:5], s[4:5], 0x40
	v_lshlrev_b32_e32 v3, 1, v3
	v_lshlrev_b64 v[5:6], 2, v[0:1]
	v_lshlrev_b64 v[10:11], 5, v[0:1]
	v_lshlrev_b32_e32 v9, 3, v8
	v_lshlrev_b32_e32 v8, 4, v8
	s_waitcnt lgkmcnt(0)
	s_cmp_eq_u32 s9, 0
	s_cselect_b32 vcc_lo, -1, 0
	s_lshl_b64 s[0:1], s[0:1], 2
	v_add_co_u32 v2, s0, v2, s0
	v_add_co_ci_u32_e64 v4, null, s1, v4, s0
	v_add_co_u32 v2, s0, v2, v3
	v_add_co_ci_u32_e64 v3, null, 0, v4, s0
	s_lshl_b64 s[0:1], s[10:11], 2
	v_sub_co_u32 v12, s0, v2, s0
	v_subrev_co_ci_u32_e64 v13, null, s1, v3, s0
	v_add_co_u32 v2, s0, s6, v5
	v_add_co_ci_u32_e64 v3, null, s7, v6, s0
	v_lshlrev_b64 v[4:5], 3, v[12:13]
	v_lshlrev_b64 v[6:7], 2, v[12:13]
	v_add_co_u32 v10, s0, s14, v10
	v_add_co_ci_u32_e64 v11, null, s15, v11, s0
	v_add_co_u32 v4, s0, s12, v4
	v_add_co_ci_u32_e64 v5, null, s13, v5, s0
	;; [unrolled: 2-line block ×5, first 2 shown]
	s_mov_b32 s4, 0
.LBB222_4:                              ; =>This Inner Loop Header: Depth=1
	v_add_co_u32 v12, s0, v10, v8
	v_add_co_ci_u32_e64 v13, null, 0, v11, s0
	v_add_co_u32 v14, s0, v10, v9
	global_load_dword v16, v[2:3], off
	v_add_co_ci_u32_e64 v15, null, 0, v11, s0
	v_add_co_u32 v17, s0, v12, 8
	v_add_co_ci_u32_e64 v18, null, 0, v13, s0
	v_add_co_u32 v19, s0, v14, 16
	v_add_co_ci_u32_e64 v20, null, 0, v15, s0
	v_cndmask_b32_e32 v13, v15, v13, vcc_lo
	v_cndmask_b32_e32 v12, v14, v12, vcc_lo
	;; [unrolled: 1-line block ×4, first 2 shown]
	global_load_dwordx2 v[12:13], v[12:13], off
	global_load_dwordx2 v[14:15], v[14:15], off
	v_add_co_u32 v0, s0, 0x80, v0
	v_add_co_ci_u32_e64 v1, null, 0, v1, s0
	v_add_co_u32 v2, s0, 0x200, v2
	v_add_co_ci_u32_e64 v3, null, 0, v3, s0
	;; [unrolled: 2-line block ×3, first 2 shown]
	v_cmp_le_i64_e64 s0, s[2:3], v[0:1]
	s_or_b32 s4, s0, s4
	s_waitcnt vmcnt(2)
	v_subrev_nc_u32_e32 v16, s10, v16
	v_lshl_add_u32 v16, v16, 1, s8
	v_add_nc_u32_e32 v17, 1, v16
	global_store_dwordx2 v[6:7], v[16:17], off offset:-4
	s_waitcnt vmcnt(0)
	global_store_dwordx4 v[4:5], v[12:15], off offset:-8
	v_add_co_u32 v4, s1, 0x800, v4
	v_add_co_ci_u32_e64 v5, null, 0, v5, s1
	v_add_co_u32 v6, s1, 0x400, v6
	v_add_co_ci_u32_e64 v7, null, 0, v7, s1
	s_andn2_b32 exec_lo, exec_lo, s4
	s_cbranch_execnz .LBB222_4
.LBB222_5:
	s_endpgm
	.section	.rodata,"a",@progbits
	.p2align	6, 0x0
	.amdhsa_kernel _ZN9rocsparseL32bsr2csr_block_per_row_2_7_kernelILj256ELj2EdliEEv20rocsparse_direction_T3_S2_21rocsparse_index_base_PKT1_PKT2_PKS2_S2_S3_PS4_PS7_PS2_
		.amdhsa_group_segment_fixed_size 0
		.amdhsa_private_segment_fixed_size 0
		.amdhsa_kernarg_size 72
		.amdhsa_user_sgpr_count 6
		.amdhsa_user_sgpr_private_segment_buffer 1
		.amdhsa_user_sgpr_dispatch_ptr 0
		.amdhsa_user_sgpr_queue_ptr 0
		.amdhsa_user_sgpr_kernarg_segment_ptr 1
		.amdhsa_user_sgpr_dispatch_id 0
		.amdhsa_user_sgpr_flat_scratch_init 0
		.amdhsa_user_sgpr_private_segment_size 0
		.amdhsa_wavefront_size32 1
		.amdhsa_uses_dynamic_stack 0
		.amdhsa_system_sgpr_private_segment_wavefront_offset 0
		.amdhsa_system_sgpr_workgroup_id_x 1
		.amdhsa_system_sgpr_workgroup_id_y 0
		.amdhsa_system_sgpr_workgroup_id_z 0
		.amdhsa_system_sgpr_workgroup_info 0
		.amdhsa_system_vgpr_workitem_id 0
		.amdhsa_next_free_vgpr 21
		.amdhsa_next_free_sgpr 18
		.amdhsa_reserve_vcc 1
		.amdhsa_reserve_flat_scratch 0
		.amdhsa_float_round_mode_32 0
		.amdhsa_float_round_mode_16_64 0
		.amdhsa_float_denorm_mode_32 3
		.amdhsa_float_denorm_mode_16_64 3
		.amdhsa_dx10_clamp 1
		.amdhsa_ieee_mode 1
		.amdhsa_fp16_overflow 0
		.amdhsa_workgroup_processor_mode 1
		.amdhsa_memory_ordered 1
		.amdhsa_forward_progress 1
		.amdhsa_shared_vgpr_count 0
		.amdhsa_exception_fp_ieee_invalid_op 0
		.amdhsa_exception_fp_denorm_src 0
		.amdhsa_exception_fp_ieee_div_zero 0
		.amdhsa_exception_fp_ieee_overflow 0
		.amdhsa_exception_fp_ieee_underflow 0
		.amdhsa_exception_fp_ieee_inexact 0
		.amdhsa_exception_int_div_zero 0
	.end_amdhsa_kernel
	.section	.text._ZN9rocsparseL32bsr2csr_block_per_row_2_7_kernelILj256ELj2EdliEEv20rocsparse_direction_T3_S2_21rocsparse_index_base_PKT1_PKT2_PKS2_S2_S3_PS4_PS7_PS2_,"axG",@progbits,_ZN9rocsparseL32bsr2csr_block_per_row_2_7_kernelILj256ELj2EdliEEv20rocsparse_direction_T3_S2_21rocsparse_index_base_PKT1_PKT2_PKS2_S2_S3_PS4_PS7_PS2_,comdat
.Lfunc_end222:
	.size	_ZN9rocsparseL32bsr2csr_block_per_row_2_7_kernelILj256ELj2EdliEEv20rocsparse_direction_T3_S2_21rocsparse_index_base_PKT1_PKT2_PKS2_S2_S3_PS4_PS7_PS2_, .Lfunc_end222-_ZN9rocsparseL32bsr2csr_block_per_row_2_7_kernelILj256ELj2EdliEEv20rocsparse_direction_T3_S2_21rocsparse_index_base_PKT1_PKT2_PKS2_S2_S3_PS4_PS7_PS2_
                                        ; -- End function
	.set _ZN9rocsparseL32bsr2csr_block_per_row_2_7_kernelILj256ELj2EdliEEv20rocsparse_direction_T3_S2_21rocsparse_index_base_PKT1_PKT2_PKS2_S2_S3_PS4_PS7_PS2_.num_vgpr, 21
	.set _ZN9rocsparseL32bsr2csr_block_per_row_2_7_kernelILj256ELj2EdliEEv20rocsparse_direction_T3_S2_21rocsparse_index_base_PKT1_PKT2_PKS2_S2_S3_PS4_PS7_PS2_.num_agpr, 0
	.set _ZN9rocsparseL32bsr2csr_block_per_row_2_7_kernelILj256ELj2EdliEEv20rocsparse_direction_T3_S2_21rocsparse_index_base_PKT1_PKT2_PKS2_S2_S3_PS4_PS7_PS2_.numbered_sgpr, 18
	.set _ZN9rocsparseL32bsr2csr_block_per_row_2_7_kernelILj256ELj2EdliEEv20rocsparse_direction_T3_S2_21rocsparse_index_base_PKT1_PKT2_PKS2_S2_S3_PS4_PS7_PS2_.num_named_barrier, 0
	.set _ZN9rocsparseL32bsr2csr_block_per_row_2_7_kernelILj256ELj2EdliEEv20rocsparse_direction_T3_S2_21rocsparse_index_base_PKT1_PKT2_PKS2_S2_S3_PS4_PS7_PS2_.private_seg_size, 0
	.set _ZN9rocsparseL32bsr2csr_block_per_row_2_7_kernelILj256ELj2EdliEEv20rocsparse_direction_T3_S2_21rocsparse_index_base_PKT1_PKT2_PKS2_S2_S3_PS4_PS7_PS2_.uses_vcc, 1
	.set _ZN9rocsparseL32bsr2csr_block_per_row_2_7_kernelILj256ELj2EdliEEv20rocsparse_direction_T3_S2_21rocsparse_index_base_PKT1_PKT2_PKS2_S2_S3_PS4_PS7_PS2_.uses_flat_scratch, 0
	.set _ZN9rocsparseL32bsr2csr_block_per_row_2_7_kernelILj256ELj2EdliEEv20rocsparse_direction_T3_S2_21rocsparse_index_base_PKT1_PKT2_PKS2_S2_S3_PS4_PS7_PS2_.has_dyn_sized_stack, 0
	.set _ZN9rocsparseL32bsr2csr_block_per_row_2_7_kernelILj256ELj2EdliEEv20rocsparse_direction_T3_S2_21rocsparse_index_base_PKT1_PKT2_PKS2_S2_S3_PS4_PS7_PS2_.has_recursion, 0
	.set _ZN9rocsparseL32bsr2csr_block_per_row_2_7_kernelILj256ELj2EdliEEv20rocsparse_direction_T3_S2_21rocsparse_index_base_PKT1_PKT2_PKS2_S2_S3_PS4_PS7_PS2_.has_indirect_call, 0
	.section	.AMDGPU.csdata,"",@progbits
; Kernel info:
; codeLenInByte = 812
; TotalNumSgprs: 20
; NumVgprs: 21
; ScratchSize: 0
; MemoryBound: 0
; FloatMode: 240
; IeeeMode: 1
; LDSByteSize: 0 bytes/workgroup (compile time only)
; SGPRBlocks: 0
; VGPRBlocks: 2
; NumSGPRsForWavesPerEU: 20
; NumVGPRsForWavesPerEU: 21
; Occupancy: 16
; WaveLimiterHint : 0
; COMPUTE_PGM_RSRC2:SCRATCH_EN: 0
; COMPUTE_PGM_RSRC2:USER_SGPR: 6
; COMPUTE_PGM_RSRC2:TRAP_HANDLER: 0
; COMPUTE_PGM_RSRC2:TGID_X_EN: 1
; COMPUTE_PGM_RSRC2:TGID_Y_EN: 0
; COMPUTE_PGM_RSRC2:TGID_Z_EN: 0
; COMPUTE_PGM_RSRC2:TIDIG_COMP_CNT: 0
	.section	.text._ZN9rocsparseL32bsr2csr_block_per_row_2_7_kernelILj256ELj3EdliEEv20rocsparse_direction_T3_S2_21rocsparse_index_base_PKT1_PKT2_PKS2_S2_S3_PS4_PS7_PS2_,"axG",@progbits,_ZN9rocsparseL32bsr2csr_block_per_row_2_7_kernelILj256ELj3EdliEEv20rocsparse_direction_T3_S2_21rocsparse_index_base_PKT1_PKT2_PKS2_S2_S3_PS4_PS7_PS2_,comdat
	.globl	_ZN9rocsparseL32bsr2csr_block_per_row_2_7_kernelILj256ELj3EdliEEv20rocsparse_direction_T3_S2_21rocsparse_index_base_PKT1_PKT2_PKS2_S2_S3_PS4_PS7_PS2_ ; -- Begin function _ZN9rocsparseL32bsr2csr_block_per_row_2_7_kernelILj256ELj3EdliEEv20rocsparse_direction_T3_S2_21rocsparse_index_base_PKT1_PKT2_PKS2_S2_S3_PS4_PS7_PS2_
	.p2align	8
	.type	_ZN9rocsparseL32bsr2csr_block_per_row_2_7_kernelILj256ELj3EdliEEv20rocsparse_direction_T3_S2_21rocsparse_index_base_PKT1_PKT2_PKS2_S2_S3_PS4_PS7_PS2_,@function
_ZN9rocsparseL32bsr2csr_block_per_row_2_7_kernelILj256ELj3EdliEEv20rocsparse_direction_T3_S2_21rocsparse_index_base_PKT1_PKT2_PKS2_S2_S3_PS4_PS7_PS2_: ; @_ZN9rocsparseL32bsr2csr_block_per_row_2_7_kernelILj256ELj3EdliEEv20rocsparse_direction_T3_S2_21rocsparse_index_base_PKT1_PKT2_PKS2_S2_S3_PS4_PS7_PS2_
; %bb.0:
	s_clause 0x2
	s_load_dwordx2 s[0:1], s[4:5], 0x18
	s_load_dword s8, s[4:5], 0x2c
	s_load_dwordx2 s[10:11], s[4:5], 0x38
	s_ashr_i32 s7, s6, 31
	v_or_b32_e32 v1, s6, v0
	s_lshl_b64 s[2:3], s[6:7], 3
	s_waitcnt lgkmcnt(0)
	s_add_u32 s0, s0, s2
	s_addc_u32 s1, s1, s3
	s_mov_b32 s2, exec_lo
	v_cmpx_eq_u32_e32 0, v1
	s_cbranch_execz .LBB223_2
; %bb.1:
	v_mov_b32_e32 v1, s8
	v_mov_b32_e32 v2, 0
	global_store_dwordx2 v2, v[1:2], s[10:11]
.LBB223_2:
	s_or_b32 exec_lo, exec_lo, s2
	v_and_b32_e32 v4, 3, v0
	s_mov_b32 s2, exec_lo
	v_cmpx_ne_u32_e32 3, v4
	s_cbranch_execz .LBB223_6
; %bb.3:
	s_load_dwordx4 s[0:3], s[0:1], 0x0
	s_load_dword s7, s[4:5], 0xc
	s_mul_i32 s6, s6, 3
	v_mov_b32_e32 v2, 0
	v_add3_u32 v1, v4, s6, 1
	v_lshrrev_b32_e32 v5, 2, v0
	v_lshlrev_b64 v[6:7], 3, v[1:2]
	v_add_co_u32 v6, vcc_lo, s10, v6
	v_add_co_ci_u32_e64 v7, null, s11, v7, vcc_lo
	s_waitcnt lgkmcnt(0)
	s_sub_u32 s6, s0, s7
	s_subb_u32 s9, s1, 0
	s_mul_hi_u32 s12, s6, 9
	s_mul_i32 s13, s9, 9
	s_sub_u32 s2, s2, s7
	s_subb_u32 s3, s3, 0
	s_add_i32 s12, s12, s13
	s_sub_u32 s13, s2, s6
	s_subb_u32 s11, s3, s9
	s_mul_i32 s14, s13, 3
	s_mul_hi_u32 s13, s13, 3
	v_mad_u64_u32 v[2:3], null, s14, v4, 0
	s_mul_i32 s11, s11, 3
	s_mul_i32 s10, s6, 9
	s_add_i32 s13, s13, s11
	v_add_co_u32 v0, s6, s6, v5
	v_add_co_ci_u32_e64 v1, null, s9, 0, s6
	v_mad_u64_u32 v[8:9], null, s13, v4, v[3:4]
	s_add_u32 s6, s14, s8
	s_addc_u32 s9, s13, 0
	s_add_u32 s6, s6, s10
	s_addc_u32 s9, s9, s12
	v_add_co_u32 v9, vcc_lo, s6, v2
	v_add_co_ci_u32_e64 v10, null, s9, v8, vcc_lo
	v_cmp_gt_i64_e32 vcc_lo, s[2:3], v[0:1]
	v_mov_b32_e32 v3, v8
	s_mov_b32 s6, 0
	global_store_dwordx2 v[6:7], v[9:10], off
	s_and_b32 exec_lo, exec_lo, vcc_lo
	s_cbranch_execz .LBB223_6
; %bb.4:
	v_mad_u64_u32 v[6:7], null, s0, 9, v[2:3]
	s_clause 0x1
	s_load_dwordx2 s[10:11], s[4:5], 0x30
	s_load_dwordx2 s[12:13], s[4:5], 0x10
	v_mul_u32_u24_e32 v13, 3, v4
	v_lshlrev_b32_e32 v9, 3, v4
	v_mov_b32_e32 v2, v7
	v_mad_u64_u32 v[2:3], null, s1, 9, v[2:3]
	s_clause 0x2
	s_load_dwordx2 s[0:1], s[4:5], 0x20
	s_load_dword s9, s[4:5], 0x0
	s_load_dwordx2 s[4:5], s[4:5], 0x40
	v_mov_b32_e32 v7, v2
	s_waitcnt lgkmcnt(0)
	v_mad_u64_u32 v[2:3], null, 0x48, v0, s[12:13]
	s_mul_i32 s13, s7, 9
	s_mul_hi_u32 s12, s7, 9
	v_mad_u64_u32 v[5:6], null, v5, 3, v[6:7]
	v_lshlrev_b64 v[7:8], 2, v[0:1]
	v_mad_u64_u32 v[10:11], null, 0x48, v1, v[3:4]
	v_sub_co_u32 v5, vcc_lo, v5, s13
	v_subrev_co_ci_u32_e64 v6, null, s12, v6, vcc_lo
	v_add_co_u32 v3, vcc_lo, s0, v7
	v_add_co_ci_u32_e64 v4, null, s1, v8, vcc_lo
	v_lshlrev_b64 v[11:12], 3, v[5:6]
	v_lshlrev_b64 v[5:6], 2, v[5:6]
	s_cmp_eq_u32 s9, 0
	v_add_co_u32 v7, vcc_lo, s10, v11
	v_add_co_ci_u32_e64 v8, null, s11, v12, vcc_lo
	v_add_co_u32 v11, vcc_lo, s4, v5
	v_add_co_ci_u32_e64 v12, null, s5, v6, vcc_lo
	;; [unrolled: 2-line block ×4, first 2 shown]
	v_lshlrev_b32_e32 v11, 3, v13
	s_cselect_b32 vcc_lo, -1, 0
.LBB223_5:                              ; =>This Inner Loop Header: Depth=1
	v_add_co_u32 v12, s0, v2, v11
	v_add_co_ci_u32_e64 v13, null, 0, v10, s0
	v_add_co_u32 v14, s0, v2, v9
	v_add_co_ci_u32_e64 v15, null, 0, v10, s0
	global_load_dword v18, v[3:4], off
	v_add_co_u32 v16, s0, v12, 8
	v_add_co_ci_u32_e64 v17, null, 0, v13, s0
	v_add_co_u32 v19, s0, v14, 24
	v_add_co_ci_u32_e64 v20, null, 0, v15, s0
	;; [unrolled: 2-line block ×4, first 2 shown]
	v_cndmask_b32_e32 v13, v15, v13, vcc_lo
	v_cndmask_b32_e32 v12, v14, v12, vcc_lo
	;; [unrolled: 1-line block ×6, first 2 shown]
	global_load_dwordx2 v[12:13], v[12:13], off
	global_load_dwordx2 v[14:15], v[14:15], off
	;; [unrolled: 1-line block ×3, first 2 shown]
	v_add_co_u32 v0, s0, v0, 64
	v_add_co_ci_u32_e64 v1, null, 0, v1, s0
	v_add_co_u32 v3, s0, 0x100, v3
	v_add_co_ci_u32_e64 v4, null, 0, v4, s0
	;; [unrolled: 2-line block ×3, first 2 shown]
	v_cmp_le_i64_e64 s0, s[2:3], v[0:1]
	s_waitcnt vmcnt(1)
	global_store_dwordx4 v[5:6], v[12:15], off offset:-8
	s_waitcnt vmcnt(0)
	global_store_dwordx2 v[5:6], v[19:20], off offset:8
	v_subrev_nc_u32_e32 v16, s7, v18
	v_add_co_u32 v5, s1, 0x600, v5
	v_add_co_ci_u32_e64 v6, null, 0, v6, s1
	v_mad_u64_u32 v[16:17], null, v16, 3, s[8:9]
	s_or_b32 s6, s0, s6
	v_add_nc_u32_e32 v17, 1, v16
	v_add_nc_u32_e32 v18, 2, v16
	global_store_dwordx3 v[7:8], v[16:18], off offset:-4
	v_add_co_u32 v7, s1, 0x300, v7
	v_add_co_ci_u32_e64 v8, null, 0, v8, s1
	s_andn2_b32 exec_lo, exec_lo, s6
	s_cbranch_execnz .LBB223_5
.LBB223_6:
	s_endpgm
	.section	.rodata,"a",@progbits
	.p2align	6, 0x0
	.amdhsa_kernel _ZN9rocsparseL32bsr2csr_block_per_row_2_7_kernelILj256ELj3EdliEEv20rocsparse_direction_T3_S2_21rocsparse_index_base_PKT1_PKT2_PKS2_S2_S3_PS4_PS7_PS2_
		.amdhsa_group_segment_fixed_size 0
		.amdhsa_private_segment_fixed_size 0
		.amdhsa_kernarg_size 72
		.amdhsa_user_sgpr_count 6
		.amdhsa_user_sgpr_private_segment_buffer 1
		.amdhsa_user_sgpr_dispatch_ptr 0
		.amdhsa_user_sgpr_queue_ptr 0
		.amdhsa_user_sgpr_kernarg_segment_ptr 1
		.amdhsa_user_sgpr_dispatch_id 0
		.amdhsa_user_sgpr_flat_scratch_init 0
		.amdhsa_user_sgpr_private_segment_size 0
		.amdhsa_wavefront_size32 1
		.amdhsa_uses_dynamic_stack 0
		.amdhsa_system_sgpr_private_segment_wavefront_offset 0
		.amdhsa_system_sgpr_workgroup_id_x 1
		.amdhsa_system_sgpr_workgroup_id_y 0
		.amdhsa_system_sgpr_workgroup_id_z 0
		.amdhsa_system_sgpr_workgroup_info 0
		.amdhsa_system_vgpr_workitem_id 0
		.amdhsa_next_free_vgpr 25
		.amdhsa_next_free_sgpr 15
		.amdhsa_reserve_vcc 1
		.amdhsa_reserve_flat_scratch 0
		.amdhsa_float_round_mode_32 0
		.amdhsa_float_round_mode_16_64 0
		.amdhsa_float_denorm_mode_32 3
		.amdhsa_float_denorm_mode_16_64 3
		.amdhsa_dx10_clamp 1
		.amdhsa_ieee_mode 1
		.amdhsa_fp16_overflow 0
		.amdhsa_workgroup_processor_mode 1
		.amdhsa_memory_ordered 1
		.amdhsa_forward_progress 1
		.amdhsa_shared_vgpr_count 0
		.amdhsa_exception_fp_ieee_invalid_op 0
		.amdhsa_exception_fp_denorm_src 0
		.amdhsa_exception_fp_ieee_div_zero 0
		.amdhsa_exception_fp_ieee_overflow 0
		.amdhsa_exception_fp_ieee_underflow 0
		.amdhsa_exception_fp_ieee_inexact 0
		.amdhsa_exception_int_div_zero 0
	.end_amdhsa_kernel
	.section	.text._ZN9rocsparseL32bsr2csr_block_per_row_2_7_kernelILj256ELj3EdliEEv20rocsparse_direction_T3_S2_21rocsparse_index_base_PKT1_PKT2_PKS2_S2_S3_PS4_PS7_PS2_,"axG",@progbits,_ZN9rocsparseL32bsr2csr_block_per_row_2_7_kernelILj256ELj3EdliEEv20rocsparse_direction_T3_S2_21rocsparse_index_base_PKT1_PKT2_PKS2_S2_S3_PS4_PS7_PS2_,comdat
.Lfunc_end223:
	.size	_ZN9rocsparseL32bsr2csr_block_per_row_2_7_kernelILj256ELj3EdliEEv20rocsparse_direction_T3_S2_21rocsparse_index_base_PKT1_PKT2_PKS2_S2_S3_PS4_PS7_PS2_, .Lfunc_end223-_ZN9rocsparseL32bsr2csr_block_per_row_2_7_kernelILj256ELj3EdliEEv20rocsparse_direction_T3_S2_21rocsparse_index_base_PKT1_PKT2_PKS2_S2_S3_PS4_PS7_PS2_
                                        ; -- End function
	.set _ZN9rocsparseL32bsr2csr_block_per_row_2_7_kernelILj256ELj3EdliEEv20rocsparse_direction_T3_S2_21rocsparse_index_base_PKT1_PKT2_PKS2_S2_S3_PS4_PS7_PS2_.num_vgpr, 25
	.set _ZN9rocsparseL32bsr2csr_block_per_row_2_7_kernelILj256ELj3EdliEEv20rocsparse_direction_T3_S2_21rocsparse_index_base_PKT1_PKT2_PKS2_S2_S3_PS4_PS7_PS2_.num_agpr, 0
	.set _ZN9rocsparseL32bsr2csr_block_per_row_2_7_kernelILj256ELj3EdliEEv20rocsparse_direction_T3_S2_21rocsparse_index_base_PKT1_PKT2_PKS2_S2_S3_PS4_PS7_PS2_.numbered_sgpr, 15
	.set _ZN9rocsparseL32bsr2csr_block_per_row_2_7_kernelILj256ELj3EdliEEv20rocsparse_direction_T3_S2_21rocsparse_index_base_PKT1_PKT2_PKS2_S2_S3_PS4_PS7_PS2_.num_named_barrier, 0
	.set _ZN9rocsparseL32bsr2csr_block_per_row_2_7_kernelILj256ELj3EdliEEv20rocsparse_direction_T3_S2_21rocsparse_index_base_PKT1_PKT2_PKS2_S2_S3_PS4_PS7_PS2_.private_seg_size, 0
	.set _ZN9rocsparseL32bsr2csr_block_per_row_2_7_kernelILj256ELj3EdliEEv20rocsparse_direction_T3_S2_21rocsparse_index_base_PKT1_PKT2_PKS2_S2_S3_PS4_PS7_PS2_.uses_vcc, 1
	.set _ZN9rocsparseL32bsr2csr_block_per_row_2_7_kernelILj256ELj3EdliEEv20rocsparse_direction_T3_S2_21rocsparse_index_base_PKT1_PKT2_PKS2_S2_S3_PS4_PS7_PS2_.uses_flat_scratch, 0
	.set _ZN9rocsparseL32bsr2csr_block_per_row_2_7_kernelILj256ELj3EdliEEv20rocsparse_direction_T3_S2_21rocsparse_index_base_PKT1_PKT2_PKS2_S2_S3_PS4_PS7_PS2_.has_dyn_sized_stack, 0
	.set _ZN9rocsparseL32bsr2csr_block_per_row_2_7_kernelILj256ELj3EdliEEv20rocsparse_direction_T3_S2_21rocsparse_index_base_PKT1_PKT2_PKS2_S2_S3_PS4_PS7_PS2_.has_recursion, 0
	.set _ZN9rocsparseL32bsr2csr_block_per_row_2_7_kernelILj256ELj3EdliEEv20rocsparse_direction_T3_S2_21rocsparse_index_base_PKT1_PKT2_PKS2_S2_S3_PS4_PS7_PS2_.has_indirect_call, 0
	.section	.AMDGPU.csdata,"",@progbits
; Kernel info:
; codeLenInByte = 892
; TotalNumSgprs: 17
; NumVgprs: 25
; ScratchSize: 0
; MemoryBound: 0
; FloatMode: 240
; IeeeMode: 1
; LDSByteSize: 0 bytes/workgroup (compile time only)
; SGPRBlocks: 0
; VGPRBlocks: 3
; NumSGPRsForWavesPerEU: 17
; NumVGPRsForWavesPerEU: 25
; Occupancy: 16
; WaveLimiterHint : 0
; COMPUTE_PGM_RSRC2:SCRATCH_EN: 0
; COMPUTE_PGM_RSRC2:USER_SGPR: 6
; COMPUTE_PGM_RSRC2:TRAP_HANDLER: 0
; COMPUTE_PGM_RSRC2:TGID_X_EN: 1
; COMPUTE_PGM_RSRC2:TGID_Y_EN: 0
; COMPUTE_PGM_RSRC2:TGID_Z_EN: 0
; COMPUTE_PGM_RSRC2:TIDIG_COMP_CNT: 0
	.section	.text._ZN9rocsparseL32bsr2csr_block_per_row_2_7_kernelILj256ELj4EdliEEv20rocsparse_direction_T3_S2_21rocsparse_index_base_PKT1_PKT2_PKS2_S2_S3_PS4_PS7_PS2_,"axG",@progbits,_ZN9rocsparseL32bsr2csr_block_per_row_2_7_kernelILj256ELj4EdliEEv20rocsparse_direction_T3_S2_21rocsparse_index_base_PKT1_PKT2_PKS2_S2_S3_PS4_PS7_PS2_,comdat
	.globl	_ZN9rocsparseL32bsr2csr_block_per_row_2_7_kernelILj256ELj4EdliEEv20rocsparse_direction_T3_S2_21rocsparse_index_base_PKT1_PKT2_PKS2_S2_S3_PS4_PS7_PS2_ ; -- Begin function _ZN9rocsparseL32bsr2csr_block_per_row_2_7_kernelILj256ELj4EdliEEv20rocsparse_direction_T3_S2_21rocsparse_index_base_PKT1_PKT2_PKS2_S2_S3_PS4_PS7_PS2_
	.p2align	8
	.type	_ZN9rocsparseL32bsr2csr_block_per_row_2_7_kernelILj256ELj4EdliEEv20rocsparse_direction_T3_S2_21rocsparse_index_base_PKT1_PKT2_PKS2_S2_S3_PS4_PS7_PS2_,@function
_ZN9rocsparseL32bsr2csr_block_per_row_2_7_kernelILj256ELj4EdliEEv20rocsparse_direction_T3_S2_21rocsparse_index_base_PKT1_PKT2_PKS2_S2_S3_PS4_PS7_PS2_: ; @_ZN9rocsparseL32bsr2csr_block_per_row_2_7_kernelILj256ELj4EdliEEv20rocsparse_direction_T3_S2_21rocsparse_index_base_PKT1_PKT2_PKS2_S2_S3_PS4_PS7_PS2_
; %bb.0:
	s_load_dwordx2 s[0:1], s[4:5], 0x18
	s_ashr_i32 s7, s6, 31
	s_clause 0x1
	s_load_dword s8, s[4:5], 0x2c
	s_load_dwordx2 s[12:13], s[4:5], 0x38
	s_lshl_b64 s[2:3], s[6:7], 3
	v_or_b32_e32 v1, s6, v0
	s_mov_b32 s11, 0
	s_mov_b32 s7, exec_lo
	s_waitcnt lgkmcnt(0)
	s_add_u32 s0, s0, s2
	s_addc_u32 s1, s1, s3
	s_load_dwordx4 s[0:3], s[0:1], 0x0
	v_cmpx_eq_u32_e32 0, v1
	s_cbranch_execz .LBB224_2
; %bb.1:
	s_mov_b32 s9, s11
	v_mov_b32_e32 v1, s8
	v_mov_b32_e32 v3, 0
	;; [unrolled: 1-line block ×3, first 2 shown]
	global_store_dwordx2 v3, v[1:2], s[12:13]
.LBB224_2:
	s_or_b32 exec_lo, exec_lo, s7
	s_load_dword s10, s[4:5], 0xc
	v_and_b32_e32 v4, 3, v0
	v_mov_b32_e32 v2, 0
	v_lshrrev_b32_e32 v5, 2, v0
	v_lshl_or_b32 v1, s6, 2, v4
	v_add_nc_u32_e32 v1, 1, v1
	v_lshlrev_b64 v[6:7], 3, v[1:2]
	s_waitcnt lgkmcnt(0)
	s_sub_u32 s6, s0, s10
	s_subb_u32 s7, s1, 0
	s_sub_u32 s2, s2, s10
	s_subb_u32 s3, s3, 0
	s_lshl_b64 s[14:15], s[6:7], 4
	s_sub_u32 s16, s2, s6
	s_subb_u32 s17, s3, s7
	v_add_co_u32 v0, s6, s6, v5
	s_lshl_b64 s[18:19], s[16:17], 2
	v_add_co_ci_u32_e64 v1, null, s7, 0, s6
	v_mad_u64_u32 v[2:3], null, s18, v4, 0
	s_lshr_b64 s[6:7], s[16:17], 30
	v_add_co_u32 v6, vcc_lo, s12, v6
	v_add_co_ci_u32_e64 v7, null, s13, v7, vcc_lo
	v_mad_u64_u32 v[8:9], null, s6, v4, v[3:4]
	s_add_u32 s6, s18, s8
	s_addc_u32 s7, s19, 0
	s_add_u32 s6, s6, s14
	s_addc_u32 s7, s7, s15
	v_add_co_u32 v9, vcc_lo, s6, v2
	v_add_co_ci_u32_e64 v10, null, s7, v8, vcc_lo
	v_mov_b32_e32 v3, v8
	s_mov_b32 s6, exec_lo
	global_store_dwordx2 v[6:7], v[9:10], off
	v_cmpx_gt_i64_e64 s[2:3], v[0:1]
	s_cbranch_execz .LBB224_5
; %bb.3:
	s_clause 0x4
	s_load_dwordx2 s[6:7], s[4:5], 0x20
	s_load_dwordx2 s[12:13], s[4:5], 0x30
	s_load_dword s9, s[4:5], 0x0
	s_load_dwordx2 s[14:15], s[4:5], 0x10
	s_load_dwordx2 s[4:5], s[4:5], 0x40
	v_lshlrev_b32_e32 v5, 2, v5
	v_lshlrev_b64 v[6:7], 2, v[0:1]
	v_lshlrev_b32_e32 v8, 3, v4
	v_lshlrev_b32_e32 v9, 5, v4
	v_lshlrev_b64 v[10:11], 7, v[0:1]
	s_waitcnt lgkmcnt(0)
	s_cmp_eq_u32 s9, 0
	s_cselect_b32 vcc_lo, -1, 0
	s_lshl_b64 s[0:1], s[0:1], 4
	v_add_co_u32 v2, s0, v2, s0
	v_add_co_ci_u32_e64 v3, null, s1, v3, s0
	v_add_co_u32 v2, s0, v2, v5
	v_add_co_ci_u32_e64 v3, null, 0, v3, s0
	s_lshl_b64 s[0:1], s[10:11], 4
	v_sub_co_u32 v4, s0, v2, s0
	v_subrev_co_ci_u32_e64 v5, null, s1, v3, s0
	v_add_co_u32 v2, s0, s6, v6
	v_add_co_ci_u32_e64 v3, null, s7, v7, s0
	v_lshlrev_b64 v[6:7], 3, v[4:5]
	v_lshlrev_b64 v[4:5], 2, v[4:5]
	v_add_co_u32 v10, s0, s14, v10
	v_add_co_ci_u32_e64 v11, null, s15, v11, s0
	v_add_co_u32 v6, s0, s12, v6
	v_add_co_ci_u32_e64 v7, null, s13, v7, s0
	;; [unrolled: 2-line block ×5, first 2 shown]
	s_mov_b32 s4, 0
.LBB224_4:                              ; =>This Inner Loop Header: Depth=1
	v_add_co_u32 v14, s0, v10, v8
	v_add_co_ci_u32_e64 v15, null, 0, v11, s0
	v_add_co_u32 v16, s0, v10, v9
	v_add_co_ci_u32_e64 v17, null, 0, v11, s0
	global_load_dword v20, v[2:3], off
	v_add_co_u32 v18, s0, v16, 8
	v_add_co_ci_u32_e64 v19, null, 0, v17, s0
	v_add_co_u32 v21, s0, v14, 32
	v_add_co_ci_u32_e64 v22, null, 0, v15, s0
	v_add_co_u32 v23, s0, v16, 16
	v_add_co_ci_u32_e64 v24, null, 0, v17, s0
	v_add_co_u32 v25, s0, v14, 64
	v_add_co_ci_u32_e64 v26, null, 0, v15, s0
	v_add_co_u32 v27, s0, v16, 24
	v_add_co_ci_u32_e64 v28, null, 0, v17, s0
	v_add_co_u32 v29, s0, 0x60, v14
	v_add_co_ci_u32_e64 v30, null, 0, v15, s0
	v_cndmask_b32_e32 v13, v15, v17, vcc_lo
	v_cndmask_b32_e32 v12, v14, v16, vcc_lo
	;; [unrolled: 1-line block ×8, first 2 shown]
	global_load_dwordx2 v[12:13], v[12:13], off
	global_load_dwordx2 v[14:15], v[14:15], off
	;; [unrolled: 1-line block ×4, first 2 shown]
	v_add_co_u32 v0, s0, v0, 64
	v_add_co_ci_u32_e64 v1, null, 0, v1, s0
	v_add_co_u32 v2, s0, 0x100, v2
	v_add_co_ci_u32_e64 v3, null, 0, v3, s0
	;; [unrolled: 2-line block ×3, first 2 shown]
	v_cmp_le_i64_e64 s0, s[2:3], v[0:1]
	s_or_b32 s4, s0, s4
	s_waitcnt vmcnt(4)
	v_subrev_nc_u32_e32 v20, s10, v20
	v_lshl_add_u32 v20, v20, 2, s8
	v_add_nc_u32_e32 v21, 1, v20
	v_add_nc_u32_e32 v22, 2, v20
	;; [unrolled: 1-line block ×3, first 2 shown]
	s_waitcnt vmcnt(2)
	global_store_dwordx4 v[4:5], v[12:15], off offset:-16
	global_store_dwordx4 v[6:7], v[20:23], off offset:-8
	s_waitcnt vmcnt(0)
	global_store_dwordx4 v[4:5], v[16:19], off
	v_add_co_u32 v4, s1, 0x800, v4
	v_add_co_ci_u32_e64 v5, null, 0, v5, s1
	v_add_co_u32 v6, s1, 0x400, v6
	v_add_co_ci_u32_e64 v7, null, 0, v7, s1
	s_andn2_b32 exec_lo, exec_lo, s4
	s_cbranch_execnz .LBB224_4
.LBB224_5:
	s_endpgm
	.section	.rodata,"a",@progbits
	.p2align	6, 0x0
	.amdhsa_kernel _ZN9rocsparseL32bsr2csr_block_per_row_2_7_kernelILj256ELj4EdliEEv20rocsparse_direction_T3_S2_21rocsparse_index_base_PKT1_PKT2_PKS2_S2_S3_PS4_PS7_PS2_
		.amdhsa_group_segment_fixed_size 0
		.amdhsa_private_segment_fixed_size 0
		.amdhsa_kernarg_size 72
		.amdhsa_user_sgpr_count 6
		.amdhsa_user_sgpr_private_segment_buffer 1
		.amdhsa_user_sgpr_dispatch_ptr 0
		.amdhsa_user_sgpr_queue_ptr 0
		.amdhsa_user_sgpr_kernarg_segment_ptr 1
		.amdhsa_user_sgpr_dispatch_id 0
		.amdhsa_user_sgpr_flat_scratch_init 0
		.amdhsa_user_sgpr_private_segment_size 0
		.amdhsa_wavefront_size32 1
		.amdhsa_uses_dynamic_stack 0
		.amdhsa_system_sgpr_private_segment_wavefront_offset 0
		.amdhsa_system_sgpr_workgroup_id_x 1
		.amdhsa_system_sgpr_workgroup_id_y 0
		.amdhsa_system_sgpr_workgroup_id_z 0
		.amdhsa_system_sgpr_workgroup_info 0
		.amdhsa_system_vgpr_workitem_id 0
		.amdhsa_next_free_vgpr 31
		.amdhsa_next_free_sgpr 20
		.amdhsa_reserve_vcc 1
		.amdhsa_reserve_flat_scratch 0
		.amdhsa_float_round_mode_32 0
		.amdhsa_float_round_mode_16_64 0
		.amdhsa_float_denorm_mode_32 3
		.amdhsa_float_denorm_mode_16_64 3
		.amdhsa_dx10_clamp 1
		.amdhsa_ieee_mode 1
		.amdhsa_fp16_overflow 0
		.amdhsa_workgroup_processor_mode 1
		.amdhsa_memory_ordered 1
		.amdhsa_forward_progress 1
		.amdhsa_shared_vgpr_count 0
		.amdhsa_exception_fp_ieee_invalid_op 0
		.amdhsa_exception_fp_denorm_src 0
		.amdhsa_exception_fp_ieee_div_zero 0
		.amdhsa_exception_fp_ieee_overflow 0
		.amdhsa_exception_fp_ieee_underflow 0
		.amdhsa_exception_fp_ieee_inexact 0
		.amdhsa_exception_int_div_zero 0
	.end_amdhsa_kernel
	.section	.text._ZN9rocsparseL32bsr2csr_block_per_row_2_7_kernelILj256ELj4EdliEEv20rocsparse_direction_T3_S2_21rocsparse_index_base_PKT1_PKT2_PKS2_S2_S3_PS4_PS7_PS2_,"axG",@progbits,_ZN9rocsparseL32bsr2csr_block_per_row_2_7_kernelILj256ELj4EdliEEv20rocsparse_direction_T3_S2_21rocsparse_index_base_PKT1_PKT2_PKS2_S2_S3_PS4_PS7_PS2_,comdat
.Lfunc_end224:
	.size	_ZN9rocsparseL32bsr2csr_block_per_row_2_7_kernelILj256ELj4EdliEEv20rocsparse_direction_T3_S2_21rocsparse_index_base_PKT1_PKT2_PKS2_S2_S3_PS4_PS7_PS2_, .Lfunc_end224-_ZN9rocsparseL32bsr2csr_block_per_row_2_7_kernelILj256ELj4EdliEEv20rocsparse_direction_T3_S2_21rocsparse_index_base_PKT1_PKT2_PKS2_S2_S3_PS4_PS7_PS2_
                                        ; -- End function
	.set _ZN9rocsparseL32bsr2csr_block_per_row_2_7_kernelILj256ELj4EdliEEv20rocsparse_direction_T3_S2_21rocsparse_index_base_PKT1_PKT2_PKS2_S2_S3_PS4_PS7_PS2_.num_vgpr, 31
	.set _ZN9rocsparseL32bsr2csr_block_per_row_2_7_kernelILj256ELj4EdliEEv20rocsparse_direction_T3_S2_21rocsparse_index_base_PKT1_PKT2_PKS2_S2_S3_PS4_PS7_PS2_.num_agpr, 0
	.set _ZN9rocsparseL32bsr2csr_block_per_row_2_7_kernelILj256ELj4EdliEEv20rocsparse_direction_T3_S2_21rocsparse_index_base_PKT1_PKT2_PKS2_S2_S3_PS4_PS7_PS2_.numbered_sgpr, 20
	.set _ZN9rocsparseL32bsr2csr_block_per_row_2_7_kernelILj256ELj4EdliEEv20rocsparse_direction_T3_S2_21rocsparse_index_base_PKT1_PKT2_PKS2_S2_S3_PS4_PS7_PS2_.num_named_barrier, 0
	.set _ZN9rocsparseL32bsr2csr_block_per_row_2_7_kernelILj256ELj4EdliEEv20rocsparse_direction_T3_S2_21rocsparse_index_base_PKT1_PKT2_PKS2_S2_S3_PS4_PS7_PS2_.private_seg_size, 0
	.set _ZN9rocsparseL32bsr2csr_block_per_row_2_7_kernelILj256ELj4EdliEEv20rocsparse_direction_T3_S2_21rocsparse_index_base_PKT1_PKT2_PKS2_S2_S3_PS4_PS7_PS2_.uses_vcc, 1
	.set _ZN9rocsparseL32bsr2csr_block_per_row_2_7_kernelILj256ELj4EdliEEv20rocsparse_direction_T3_S2_21rocsparse_index_base_PKT1_PKT2_PKS2_S2_S3_PS4_PS7_PS2_.uses_flat_scratch, 0
	.set _ZN9rocsparseL32bsr2csr_block_per_row_2_7_kernelILj256ELj4EdliEEv20rocsparse_direction_T3_S2_21rocsparse_index_base_PKT1_PKT2_PKS2_S2_S3_PS4_PS7_PS2_.has_dyn_sized_stack, 0
	.set _ZN9rocsparseL32bsr2csr_block_per_row_2_7_kernelILj256ELj4EdliEEv20rocsparse_direction_T3_S2_21rocsparse_index_base_PKT1_PKT2_PKS2_S2_S3_PS4_PS7_PS2_.has_recursion, 0
	.set _ZN9rocsparseL32bsr2csr_block_per_row_2_7_kernelILj256ELj4EdliEEv20rocsparse_direction_T3_S2_21rocsparse_index_base_PKT1_PKT2_PKS2_S2_S3_PS4_PS7_PS2_.has_indirect_call, 0
	.section	.AMDGPU.csdata,"",@progbits
; Kernel info:
; codeLenInByte = 932
; TotalNumSgprs: 22
; NumVgprs: 31
; ScratchSize: 0
; MemoryBound: 0
; FloatMode: 240
; IeeeMode: 1
; LDSByteSize: 0 bytes/workgroup (compile time only)
; SGPRBlocks: 0
; VGPRBlocks: 3
; NumSGPRsForWavesPerEU: 22
; NumVGPRsForWavesPerEU: 31
; Occupancy: 16
; WaveLimiterHint : 0
; COMPUTE_PGM_RSRC2:SCRATCH_EN: 0
; COMPUTE_PGM_RSRC2:USER_SGPR: 6
; COMPUTE_PGM_RSRC2:TRAP_HANDLER: 0
; COMPUTE_PGM_RSRC2:TGID_X_EN: 1
; COMPUTE_PGM_RSRC2:TGID_Y_EN: 0
; COMPUTE_PGM_RSRC2:TGID_Z_EN: 0
; COMPUTE_PGM_RSRC2:TIDIG_COMP_CNT: 0
	.section	.text._ZN9rocsparseL32bsr2csr_block_per_row_2_7_kernelILj256ELj5EdliEEv20rocsparse_direction_T3_S2_21rocsparse_index_base_PKT1_PKT2_PKS2_S2_S3_PS4_PS7_PS2_,"axG",@progbits,_ZN9rocsparseL32bsr2csr_block_per_row_2_7_kernelILj256ELj5EdliEEv20rocsparse_direction_T3_S2_21rocsparse_index_base_PKT1_PKT2_PKS2_S2_S3_PS4_PS7_PS2_,comdat
	.globl	_ZN9rocsparseL32bsr2csr_block_per_row_2_7_kernelILj256ELj5EdliEEv20rocsparse_direction_T3_S2_21rocsparse_index_base_PKT1_PKT2_PKS2_S2_S3_PS4_PS7_PS2_ ; -- Begin function _ZN9rocsparseL32bsr2csr_block_per_row_2_7_kernelILj256ELj5EdliEEv20rocsparse_direction_T3_S2_21rocsparse_index_base_PKT1_PKT2_PKS2_S2_S3_PS4_PS7_PS2_
	.p2align	8
	.type	_ZN9rocsparseL32bsr2csr_block_per_row_2_7_kernelILj256ELj5EdliEEv20rocsparse_direction_T3_S2_21rocsparse_index_base_PKT1_PKT2_PKS2_S2_S3_PS4_PS7_PS2_,@function
_ZN9rocsparseL32bsr2csr_block_per_row_2_7_kernelILj256ELj5EdliEEv20rocsparse_direction_T3_S2_21rocsparse_index_base_PKT1_PKT2_PKS2_S2_S3_PS4_PS7_PS2_: ; @_ZN9rocsparseL32bsr2csr_block_per_row_2_7_kernelILj256ELj5EdliEEv20rocsparse_direction_T3_S2_21rocsparse_index_base_PKT1_PKT2_PKS2_S2_S3_PS4_PS7_PS2_
; %bb.0:
	s_clause 0x2
	s_load_dwordx2 s[0:1], s[4:5], 0x18
	s_load_dword s8, s[4:5], 0x2c
	s_load_dwordx2 s[10:11], s[4:5], 0x38
	s_ashr_i32 s7, s6, 31
	v_or_b32_e32 v1, s6, v0
	s_lshl_b64 s[2:3], s[6:7], 3
	s_waitcnt lgkmcnt(0)
	s_add_u32 s0, s0, s2
	s_addc_u32 s1, s1, s3
	s_mov_b32 s2, exec_lo
	v_cmpx_eq_u32_e32 0, v1
	s_cbranch_execz .LBB225_2
; %bb.1:
	v_mov_b32_e32 v1, s8
	v_mov_b32_e32 v2, 0
	global_store_dwordx2 v2, v[1:2], s[10:11]
.LBB225_2:
	s_or_b32 exec_lo, exec_lo, s2
	v_and_b32_e32 v4, 7, v0
	s_mov_b32 s2, exec_lo
	v_cmpx_gt_u32_e32 5, v4
	s_cbranch_execz .LBB225_6
; %bb.3:
	s_load_dwordx4 s[0:3], s[0:1], 0x0
	s_load_dword s7, s[4:5], 0xc
	s_mul_i32 s6, s6, 5
	v_mov_b32_e32 v2, 0
	v_add3_u32 v1, v4, s6, 1
	v_lshrrev_b32_e32 v5, 3, v0
	v_lshlrev_b64 v[6:7], 3, v[1:2]
	v_add_co_u32 v6, vcc_lo, s10, v6
	v_add_co_ci_u32_e64 v7, null, s11, v7, vcc_lo
	s_waitcnt lgkmcnt(0)
	s_sub_u32 s6, s0, s7
	s_subb_u32 s9, s1, 0
	s_mul_hi_u32 s12, s6, 25
	s_mul_i32 s13, s9, 25
	s_sub_u32 s2, s2, s7
	s_subb_u32 s3, s3, 0
	s_add_i32 s12, s12, s13
	s_sub_u32 s13, s2, s6
	s_subb_u32 s11, s3, s9
	s_mul_i32 s14, s13, 5
	s_mul_hi_u32 s13, s13, 5
	v_mad_u64_u32 v[2:3], null, s14, v4, 0
	s_mul_i32 s11, s11, 5
	s_mul_i32 s10, s6, 25
	s_add_i32 s13, s13, s11
	v_add_co_u32 v0, s6, s6, v5
	v_add_co_ci_u32_e64 v1, null, s9, 0, s6
	v_mad_u64_u32 v[8:9], null, s13, v4, v[3:4]
	s_add_u32 s6, s14, s8
	s_addc_u32 s9, s13, 0
	s_add_u32 s6, s6, s10
	s_addc_u32 s9, s9, s12
	v_add_co_u32 v9, vcc_lo, s6, v2
	v_add_co_ci_u32_e64 v10, null, s9, v8, vcc_lo
	v_cmp_gt_i64_e32 vcc_lo, s[2:3], v[0:1]
	v_mov_b32_e32 v3, v8
	s_mov_b32 s6, 0
	global_store_dwordx2 v[6:7], v[9:10], off
	s_and_b32 exec_lo, exec_lo, vcc_lo
	s_cbranch_execz .LBB225_6
; %bb.4:
	v_mad_u64_u32 v[6:7], null, s0, 25, v[2:3]
	s_clause 0x1
	s_load_dwordx2 s[10:11], s[4:5], 0x30
	s_load_dwordx2 s[12:13], s[4:5], 0x10
	v_mul_u32_u24_e32 v10, 5, v4
	v_lshlrev_b32_e32 v9, 3, v4
	v_lshlrev_b32_e32 v10, 3, v10
	v_mov_b32_e32 v2, v7
	v_mad_u64_u32 v[2:3], null, s1, 25, v[2:3]
	s_clause 0x2
	s_load_dwordx2 s[0:1], s[4:5], 0x20
	s_load_dword s9, s[4:5], 0x0
	s_load_dwordx2 s[4:5], s[4:5], 0x40
	v_mov_b32_e32 v7, v2
	s_waitcnt lgkmcnt(0)
	v_mad_u64_u32 v[2:3], null, 0xc8, v0, s[12:13]
	s_mul_i32 s13, s7, 25
	s_mul_hi_u32 s12, s7, 25
	v_mad_u64_u32 v[5:6], null, v5, 5, v[6:7]
	v_lshlrev_b64 v[7:8], 2, v[0:1]
	v_mad_u64_u32 v[11:12], null, 0xc8, v1, v[3:4]
	v_sub_co_u32 v5, vcc_lo, v5, s13
	v_subrev_co_ci_u32_e64 v6, null, s12, v6, vcc_lo
	v_add_co_u32 v3, vcc_lo, s0, v7
	v_add_co_ci_u32_e64 v4, null, s1, v8, vcc_lo
	v_lshlrev_b64 v[12:13], 3, v[5:6]
	v_lshlrev_b64 v[5:6], 2, v[5:6]
	s_cmp_eq_u32 s9, 0
	v_add_co_u32 v7, vcc_lo, s10, v12
	v_add_co_ci_u32_e64 v8, null, s11, v13, vcc_lo
	v_add_co_u32 v12, vcc_lo, s4, v5
	v_add_co_ci_u32_e64 v13, null, s5, v6, vcc_lo
	;; [unrolled: 2-line block ×4, first 2 shown]
	s_cselect_b32 vcc_lo, -1, 0
.LBB225_5:                              ; =>This Inner Loop Header: Depth=1
	v_add_co_u32 v14, s0, v2, v9
	v_add_co_ci_u32_e64 v15, null, 0, v11, s0
	v_add_co_u32 v16, s0, v2, v10
	v_add_co_ci_u32_e64 v17, null, 0, v11, s0
	global_load_dword v22, v[3:4], off
	v_add_co_u32 v18, s0, v16, 8
	v_add_co_ci_u32_e64 v19, null, 0, v17, s0
	v_add_co_u32 v20, s0, v14, 40
	v_add_co_ci_u32_e64 v21, null, 0, v15, s0
	;; [unrolled: 2-line block ×8, first 2 shown]
	v_cndmask_b32_e32 v13, v15, v17, vcc_lo
	v_cndmask_b32_e32 v12, v14, v16, vcc_lo
	;; [unrolled: 1-line block ×10, first 2 shown]
	global_load_dwordx2 v[12:13], v[12:13], off
	global_load_dwordx2 v[14:15], v[14:15], off
	;; [unrolled: 1-line block ×5, first 2 shown]
	v_add_co_u32 v0, s0, v0, 32
	v_add_co_ci_u32_e64 v1, null, 0, v1, s0
	v_add_co_u32 v3, s0, 0x80, v3
	v_add_co_ci_u32_e64 v4, null, 0, v4, s0
	;; [unrolled: 2-line block ×3, first 2 shown]
	v_cmp_le_i64_e64 s0, s[2:3], v[0:1]
	s_waitcnt vmcnt(3)
	global_store_dwordx4 v[5:6], v[12:15], off offset:-16
	s_waitcnt vmcnt(1)
	global_store_dwordx4 v[5:6], v[16:19], off
	s_waitcnt vmcnt(0)
	global_store_dwordx2 v[5:6], v[24:25], off offset:16
	v_subrev_nc_u32_e32 v20, s7, v22
	v_add_co_u32 v5, s1, 0x500, v5
	v_add_co_ci_u32_e64 v6, null, 0, v6, s1
	v_mad_u64_u32 v[20:21], null, v20, 5, s[8:9]
	s_or_b32 s6, s0, s6
	v_add_nc_u32_e32 v21, 1, v20
	v_add_nc_u32_e32 v22, 2, v20
	v_add_nc_u32_e32 v23, 3, v20
	v_add_nc_u32_e32 v26, 4, v20
	global_store_dwordx4 v[7:8], v[20:23], off offset:-8
	global_store_dword v[7:8], v26, off offset:8
	v_add_co_u32 v7, s1, 0x280, v7
	v_add_co_ci_u32_e64 v8, null, 0, v8, s1
	s_andn2_b32 exec_lo, exec_lo, s6
	s_cbranch_execnz .LBB225_5
.LBB225_6:
	s_endpgm
	.section	.rodata,"a",@progbits
	.p2align	6, 0x0
	.amdhsa_kernel _ZN9rocsparseL32bsr2csr_block_per_row_2_7_kernelILj256ELj5EdliEEv20rocsparse_direction_T3_S2_21rocsparse_index_base_PKT1_PKT2_PKS2_S2_S3_PS4_PS7_PS2_
		.amdhsa_group_segment_fixed_size 0
		.amdhsa_private_segment_fixed_size 0
		.amdhsa_kernarg_size 72
		.amdhsa_user_sgpr_count 6
		.amdhsa_user_sgpr_private_segment_buffer 1
		.amdhsa_user_sgpr_dispatch_ptr 0
		.amdhsa_user_sgpr_queue_ptr 0
		.amdhsa_user_sgpr_kernarg_segment_ptr 1
		.amdhsa_user_sgpr_dispatch_id 0
		.amdhsa_user_sgpr_flat_scratch_init 0
		.amdhsa_user_sgpr_private_segment_size 0
		.amdhsa_wavefront_size32 1
		.amdhsa_uses_dynamic_stack 0
		.amdhsa_system_sgpr_private_segment_wavefront_offset 0
		.amdhsa_system_sgpr_workgroup_id_x 1
		.amdhsa_system_sgpr_workgroup_id_y 0
		.amdhsa_system_sgpr_workgroup_id_z 0
		.amdhsa_system_sgpr_workgroup_info 0
		.amdhsa_system_vgpr_workitem_id 0
		.amdhsa_next_free_vgpr 35
		.amdhsa_next_free_sgpr 15
		.amdhsa_reserve_vcc 1
		.amdhsa_reserve_flat_scratch 0
		.amdhsa_float_round_mode_32 0
		.amdhsa_float_round_mode_16_64 0
		.amdhsa_float_denorm_mode_32 3
		.amdhsa_float_denorm_mode_16_64 3
		.amdhsa_dx10_clamp 1
		.amdhsa_ieee_mode 1
		.amdhsa_fp16_overflow 0
		.amdhsa_workgroup_processor_mode 1
		.amdhsa_memory_ordered 1
		.amdhsa_forward_progress 1
		.amdhsa_shared_vgpr_count 0
		.amdhsa_exception_fp_ieee_invalid_op 0
		.amdhsa_exception_fp_denorm_src 0
		.amdhsa_exception_fp_ieee_div_zero 0
		.amdhsa_exception_fp_ieee_overflow 0
		.amdhsa_exception_fp_ieee_underflow 0
		.amdhsa_exception_fp_ieee_inexact 0
		.amdhsa_exception_int_div_zero 0
	.end_amdhsa_kernel
	.section	.text._ZN9rocsparseL32bsr2csr_block_per_row_2_7_kernelILj256ELj5EdliEEv20rocsparse_direction_T3_S2_21rocsparse_index_base_PKT1_PKT2_PKS2_S2_S3_PS4_PS7_PS2_,"axG",@progbits,_ZN9rocsparseL32bsr2csr_block_per_row_2_7_kernelILj256ELj5EdliEEv20rocsparse_direction_T3_S2_21rocsparse_index_base_PKT1_PKT2_PKS2_S2_S3_PS4_PS7_PS2_,comdat
.Lfunc_end225:
	.size	_ZN9rocsparseL32bsr2csr_block_per_row_2_7_kernelILj256ELj5EdliEEv20rocsparse_direction_T3_S2_21rocsparse_index_base_PKT1_PKT2_PKS2_S2_S3_PS4_PS7_PS2_, .Lfunc_end225-_ZN9rocsparseL32bsr2csr_block_per_row_2_7_kernelILj256ELj5EdliEEv20rocsparse_direction_T3_S2_21rocsparse_index_base_PKT1_PKT2_PKS2_S2_S3_PS4_PS7_PS2_
                                        ; -- End function
	.set _ZN9rocsparseL32bsr2csr_block_per_row_2_7_kernelILj256ELj5EdliEEv20rocsparse_direction_T3_S2_21rocsparse_index_base_PKT1_PKT2_PKS2_S2_S3_PS4_PS7_PS2_.num_vgpr, 35
	.set _ZN9rocsparseL32bsr2csr_block_per_row_2_7_kernelILj256ELj5EdliEEv20rocsparse_direction_T3_S2_21rocsparse_index_base_PKT1_PKT2_PKS2_S2_S3_PS4_PS7_PS2_.num_agpr, 0
	.set _ZN9rocsparseL32bsr2csr_block_per_row_2_7_kernelILj256ELj5EdliEEv20rocsparse_direction_T3_S2_21rocsparse_index_base_PKT1_PKT2_PKS2_S2_S3_PS4_PS7_PS2_.numbered_sgpr, 15
	.set _ZN9rocsparseL32bsr2csr_block_per_row_2_7_kernelILj256ELj5EdliEEv20rocsparse_direction_T3_S2_21rocsparse_index_base_PKT1_PKT2_PKS2_S2_S3_PS4_PS7_PS2_.num_named_barrier, 0
	.set _ZN9rocsparseL32bsr2csr_block_per_row_2_7_kernelILj256ELj5EdliEEv20rocsparse_direction_T3_S2_21rocsparse_index_base_PKT1_PKT2_PKS2_S2_S3_PS4_PS7_PS2_.private_seg_size, 0
	.set _ZN9rocsparseL32bsr2csr_block_per_row_2_7_kernelILj256ELj5EdliEEv20rocsparse_direction_T3_S2_21rocsparse_index_base_PKT1_PKT2_PKS2_S2_S3_PS4_PS7_PS2_.uses_vcc, 1
	.set _ZN9rocsparseL32bsr2csr_block_per_row_2_7_kernelILj256ELj5EdliEEv20rocsparse_direction_T3_S2_21rocsparse_index_base_PKT1_PKT2_PKS2_S2_S3_PS4_PS7_PS2_.uses_flat_scratch, 0
	.set _ZN9rocsparseL32bsr2csr_block_per_row_2_7_kernelILj256ELj5EdliEEv20rocsparse_direction_T3_S2_21rocsparse_index_base_PKT1_PKT2_PKS2_S2_S3_PS4_PS7_PS2_.has_dyn_sized_stack, 0
	.set _ZN9rocsparseL32bsr2csr_block_per_row_2_7_kernelILj256ELj5EdliEEv20rocsparse_direction_T3_S2_21rocsparse_index_base_PKT1_PKT2_PKS2_S2_S3_PS4_PS7_PS2_.has_recursion, 0
	.set _ZN9rocsparseL32bsr2csr_block_per_row_2_7_kernelILj256ELj5EdliEEv20rocsparse_direction_T3_S2_21rocsparse_index_base_PKT1_PKT2_PKS2_S2_S3_PS4_PS7_PS2_.has_indirect_call, 0
	.section	.AMDGPU.csdata,"",@progbits
; Kernel info:
; codeLenInByte = 1028
; TotalNumSgprs: 17
; NumVgprs: 35
; ScratchSize: 0
; MemoryBound: 0
; FloatMode: 240
; IeeeMode: 1
; LDSByteSize: 0 bytes/workgroup (compile time only)
; SGPRBlocks: 0
; VGPRBlocks: 4
; NumSGPRsForWavesPerEU: 17
; NumVGPRsForWavesPerEU: 35
; Occupancy: 16
; WaveLimiterHint : 0
; COMPUTE_PGM_RSRC2:SCRATCH_EN: 0
; COMPUTE_PGM_RSRC2:USER_SGPR: 6
; COMPUTE_PGM_RSRC2:TRAP_HANDLER: 0
; COMPUTE_PGM_RSRC2:TGID_X_EN: 1
; COMPUTE_PGM_RSRC2:TGID_Y_EN: 0
; COMPUTE_PGM_RSRC2:TGID_Z_EN: 0
; COMPUTE_PGM_RSRC2:TIDIG_COMP_CNT: 0
	.section	.text._ZN9rocsparseL32bsr2csr_block_per_row_2_7_kernelILj256ELj6EdliEEv20rocsparse_direction_T3_S2_21rocsparse_index_base_PKT1_PKT2_PKS2_S2_S3_PS4_PS7_PS2_,"axG",@progbits,_ZN9rocsparseL32bsr2csr_block_per_row_2_7_kernelILj256ELj6EdliEEv20rocsparse_direction_T3_S2_21rocsparse_index_base_PKT1_PKT2_PKS2_S2_S3_PS4_PS7_PS2_,comdat
	.globl	_ZN9rocsparseL32bsr2csr_block_per_row_2_7_kernelILj256ELj6EdliEEv20rocsparse_direction_T3_S2_21rocsparse_index_base_PKT1_PKT2_PKS2_S2_S3_PS4_PS7_PS2_ ; -- Begin function _ZN9rocsparseL32bsr2csr_block_per_row_2_7_kernelILj256ELj6EdliEEv20rocsparse_direction_T3_S2_21rocsparse_index_base_PKT1_PKT2_PKS2_S2_S3_PS4_PS7_PS2_
	.p2align	8
	.type	_ZN9rocsparseL32bsr2csr_block_per_row_2_7_kernelILj256ELj6EdliEEv20rocsparse_direction_T3_S2_21rocsparse_index_base_PKT1_PKT2_PKS2_S2_S3_PS4_PS7_PS2_,@function
_ZN9rocsparseL32bsr2csr_block_per_row_2_7_kernelILj256ELj6EdliEEv20rocsparse_direction_T3_S2_21rocsparse_index_base_PKT1_PKT2_PKS2_S2_S3_PS4_PS7_PS2_: ; @_ZN9rocsparseL32bsr2csr_block_per_row_2_7_kernelILj256ELj6EdliEEv20rocsparse_direction_T3_S2_21rocsparse_index_base_PKT1_PKT2_PKS2_S2_S3_PS4_PS7_PS2_
; %bb.0:
	s_clause 0x2
	s_load_dwordx2 s[0:1], s[4:5], 0x18
	s_load_dword s8, s[4:5], 0x2c
	s_load_dwordx2 s[10:11], s[4:5], 0x38
	s_ashr_i32 s7, s6, 31
	v_or_b32_e32 v1, s6, v0
	s_lshl_b64 s[2:3], s[6:7], 3
	s_waitcnt lgkmcnt(0)
	s_add_u32 s0, s0, s2
	s_addc_u32 s1, s1, s3
	s_mov_b32 s2, exec_lo
	v_cmpx_eq_u32_e32 0, v1
	s_cbranch_execz .LBB226_2
; %bb.1:
	v_mov_b32_e32 v1, s8
	v_mov_b32_e32 v2, 0
	global_store_dwordx2 v2, v[1:2], s[10:11]
.LBB226_2:
	s_or_b32 exec_lo, exec_lo, s2
	v_and_b32_e32 v4, 7, v0
	s_mov_b32 s2, exec_lo
	v_cmpx_gt_u32_e32 6, v4
	s_cbranch_execz .LBB226_6
; %bb.3:
	s_load_dwordx4 s[0:3], s[0:1], 0x0
	s_load_dword s7, s[4:5], 0xc
	s_mul_i32 s6, s6, 6
	v_mov_b32_e32 v2, 0
	v_add3_u32 v1, v4, s6, 1
	v_lshrrev_b32_e32 v5, 3, v0
	v_lshlrev_b64 v[6:7], 3, v[1:2]
	v_add_co_u32 v6, vcc_lo, s10, v6
	v_add_co_ci_u32_e64 v7, null, s11, v7, vcc_lo
	s_waitcnt lgkmcnt(0)
	s_sub_u32 s6, s0, s7
	s_subb_u32 s9, s1, 0
	s_mul_hi_u32 s12, s6, 36
	s_mul_i32 s13, s9, 36
	s_sub_u32 s2, s2, s7
	s_subb_u32 s3, s3, 0
	s_add_i32 s12, s12, s13
	s_sub_u32 s13, s2, s6
	s_subb_u32 s11, s3, s9
	s_mul_i32 s14, s13, 6
	s_mul_hi_u32 s13, s13, 6
	v_mad_u64_u32 v[2:3], null, s14, v4, 0
	s_mul_i32 s11, s11, 6
	s_mul_i32 s10, s6, 36
	s_add_i32 s13, s13, s11
	v_add_co_u32 v0, s6, s6, v5
	v_add_co_ci_u32_e64 v1, null, s9, 0, s6
	v_mad_u64_u32 v[8:9], null, s13, v4, v[3:4]
	s_add_u32 s6, s14, s8
	s_addc_u32 s9, s13, 0
	s_add_u32 s6, s6, s10
	s_addc_u32 s9, s9, s12
	v_add_co_u32 v9, vcc_lo, s6, v2
	v_add_co_ci_u32_e64 v10, null, s9, v8, vcc_lo
	v_cmp_gt_i64_e32 vcc_lo, s[2:3], v[0:1]
	v_mov_b32_e32 v3, v8
	s_mov_b32 s6, 0
	global_store_dwordx2 v[6:7], v[9:10], off
	s_and_b32 exec_lo, exec_lo, vcc_lo
	s_cbranch_execz .LBB226_6
; %bb.4:
	v_mad_u64_u32 v[6:7], null, s0, 36, v[2:3]
	s_clause 0x1
	s_load_dwordx2 s[10:11], s[4:5], 0x30
	s_load_dwordx2 s[12:13], s[4:5], 0x10
	v_mul_u32_u24_e32 v10, 6, v4
	v_lshlrev_b32_e32 v9, 3, v4
	v_lshlrev_b32_e32 v10, 3, v10
	v_mov_b32_e32 v2, v7
	v_mad_u64_u32 v[2:3], null, s1, 36, v[2:3]
	s_clause 0x2
	s_load_dwordx2 s[0:1], s[4:5], 0x20
	s_load_dword s9, s[4:5], 0x0
	s_load_dwordx2 s[4:5], s[4:5], 0x40
	v_mov_b32_e32 v7, v2
	s_waitcnt lgkmcnt(0)
	v_mad_u64_u32 v[2:3], null, 0x120, v0, s[12:13]
	s_mul_i32 s13, s7, 36
	s_mul_hi_u32 s12, s7, 36
	v_mad_u64_u32 v[5:6], null, v5, 6, v[6:7]
	v_lshlrev_b64 v[7:8], 2, v[0:1]
	v_mad_u64_u32 v[11:12], null, 0x120, v1, v[3:4]
	v_sub_co_u32 v5, vcc_lo, v5, s13
	v_subrev_co_ci_u32_e64 v6, null, s12, v6, vcc_lo
	v_add_co_u32 v3, vcc_lo, s0, v7
	v_add_co_ci_u32_e64 v4, null, s1, v8, vcc_lo
	v_lshlrev_b64 v[12:13], 3, v[5:6]
	v_lshlrev_b64 v[5:6], 2, v[5:6]
	s_cmp_eq_u32 s9, 0
	v_add_co_u32 v7, vcc_lo, s10, v12
	v_add_co_ci_u32_e64 v8, null, s11, v13, vcc_lo
	v_add_co_u32 v12, vcc_lo, s4, v5
	v_add_co_ci_u32_e64 v13, null, s5, v6, vcc_lo
	;; [unrolled: 2-line block ×4, first 2 shown]
	s_cselect_b32 vcc_lo, -1, 0
.LBB226_5:                              ; =>This Inner Loop Header: Depth=1
	v_add_co_u32 v14, s0, v2, v9
	v_add_co_ci_u32_e64 v15, null, 0, v11, s0
	v_add_co_u32 v16, s0, v2, v10
	v_add_co_ci_u32_e64 v17, null, 0, v11, s0
	global_load_dword v24, v[3:4], off
	v_add_co_u32 v18, s0, v16, 8
	v_add_co_ci_u32_e64 v19, null, 0, v17, s0
	v_add_co_u32 v20, s0, v14, 48
	v_add_co_ci_u32_e64 v21, null, 0, v15, s0
	;; [unrolled: 2-line block ×10, first 2 shown]
	v_cndmask_b32_e32 v13, v15, v17, vcc_lo
	v_cndmask_b32_e32 v12, v14, v16, vcc_lo
	;; [unrolled: 1-line block ×12, first 2 shown]
	global_load_dwordx2 v[12:13], v[12:13], off
	global_load_dwordx2 v[14:15], v[14:15], off
	;; [unrolled: 1-line block ×6, first 2 shown]
	v_add_co_u32 v0, s0, v0, 32
	v_add_co_ci_u32_e64 v1, null, 0, v1, s0
	v_add_co_u32 v3, s0, 0x80, v3
	v_add_co_ci_u32_e64 v4, null, 0, v4, s0
	;; [unrolled: 2-line block ×3, first 2 shown]
	v_cmp_le_i64_e64 s0, s[2:3], v[0:1]
	s_waitcnt vmcnt(4)
	global_store_dwordx4 v[5:6], v[12:15], off offset:-24
	s_waitcnt vmcnt(2)
	global_store_dwordx4 v[5:6], v[16:19], off offset:-8
	s_waitcnt vmcnt(0)
	global_store_dwordx4 v[5:6], v[20:23], off offset:8
	v_subrev_nc_u32_e32 v24, s7, v24
	v_add_co_u32 v5, s1, 0x600, v5
	v_add_co_ci_u32_e64 v6, null, 0, v6, s1
	v_mad_u64_u32 v[24:25], null, v24, 6, s[8:9]
	s_or_b32 s6, s0, s6
	v_add_nc_u32_e32 v25, 1, v24
	v_add_nc_u32_e32 v26, 2, v24
	;; [unrolled: 1-line block ×5, first 2 shown]
	global_store_dwordx4 v[7:8], v[24:27], off offset:-12
	global_store_dwordx2 v[7:8], v[28:29], off offset:4
	v_add_co_u32 v7, s1, 0x300, v7
	v_add_co_ci_u32_e64 v8, null, 0, v8, s1
	s_andn2_b32 exec_lo, exec_lo, s6
	s_cbranch_execnz .LBB226_5
.LBB226_6:
	s_endpgm
	.section	.rodata,"a",@progbits
	.p2align	6, 0x0
	.amdhsa_kernel _ZN9rocsparseL32bsr2csr_block_per_row_2_7_kernelILj256ELj6EdliEEv20rocsparse_direction_T3_S2_21rocsparse_index_base_PKT1_PKT2_PKS2_S2_S3_PS4_PS7_PS2_
		.amdhsa_group_segment_fixed_size 0
		.amdhsa_private_segment_fixed_size 0
		.amdhsa_kernarg_size 72
		.amdhsa_user_sgpr_count 6
		.amdhsa_user_sgpr_private_segment_buffer 1
		.amdhsa_user_sgpr_dispatch_ptr 0
		.amdhsa_user_sgpr_queue_ptr 0
		.amdhsa_user_sgpr_kernarg_segment_ptr 1
		.amdhsa_user_sgpr_dispatch_id 0
		.amdhsa_user_sgpr_flat_scratch_init 0
		.amdhsa_user_sgpr_private_segment_size 0
		.amdhsa_wavefront_size32 1
		.amdhsa_uses_dynamic_stack 0
		.amdhsa_system_sgpr_private_segment_wavefront_offset 0
		.amdhsa_system_sgpr_workgroup_id_x 1
		.amdhsa_system_sgpr_workgroup_id_y 0
		.amdhsa_system_sgpr_workgroup_id_z 0
		.amdhsa_system_sgpr_workgroup_info 0
		.amdhsa_system_vgpr_workitem_id 0
		.amdhsa_next_free_vgpr 39
		.amdhsa_next_free_sgpr 15
		.amdhsa_reserve_vcc 1
		.amdhsa_reserve_flat_scratch 0
		.amdhsa_float_round_mode_32 0
		.amdhsa_float_round_mode_16_64 0
		.amdhsa_float_denorm_mode_32 3
		.amdhsa_float_denorm_mode_16_64 3
		.amdhsa_dx10_clamp 1
		.amdhsa_ieee_mode 1
		.amdhsa_fp16_overflow 0
		.amdhsa_workgroup_processor_mode 1
		.amdhsa_memory_ordered 1
		.amdhsa_forward_progress 1
		.amdhsa_shared_vgpr_count 0
		.amdhsa_exception_fp_ieee_invalid_op 0
		.amdhsa_exception_fp_denorm_src 0
		.amdhsa_exception_fp_ieee_div_zero 0
		.amdhsa_exception_fp_ieee_overflow 0
		.amdhsa_exception_fp_ieee_underflow 0
		.amdhsa_exception_fp_ieee_inexact 0
		.amdhsa_exception_int_div_zero 0
	.end_amdhsa_kernel
	.section	.text._ZN9rocsparseL32bsr2csr_block_per_row_2_7_kernelILj256ELj6EdliEEv20rocsparse_direction_T3_S2_21rocsparse_index_base_PKT1_PKT2_PKS2_S2_S3_PS4_PS7_PS2_,"axG",@progbits,_ZN9rocsparseL32bsr2csr_block_per_row_2_7_kernelILj256ELj6EdliEEv20rocsparse_direction_T3_S2_21rocsparse_index_base_PKT1_PKT2_PKS2_S2_S3_PS4_PS7_PS2_,comdat
.Lfunc_end226:
	.size	_ZN9rocsparseL32bsr2csr_block_per_row_2_7_kernelILj256ELj6EdliEEv20rocsparse_direction_T3_S2_21rocsparse_index_base_PKT1_PKT2_PKS2_S2_S3_PS4_PS7_PS2_, .Lfunc_end226-_ZN9rocsparseL32bsr2csr_block_per_row_2_7_kernelILj256ELj6EdliEEv20rocsparse_direction_T3_S2_21rocsparse_index_base_PKT1_PKT2_PKS2_S2_S3_PS4_PS7_PS2_
                                        ; -- End function
	.set _ZN9rocsparseL32bsr2csr_block_per_row_2_7_kernelILj256ELj6EdliEEv20rocsparse_direction_T3_S2_21rocsparse_index_base_PKT1_PKT2_PKS2_S2_S3_PS4_PS7_PS2_.num_vgpr, 39
	.set _ZN9rocsparseL32bsr2csr_block_per_row_2_7_kernelILj256ELj6EdliEEv20rocsparse_direction_T3_S2_21rocsparse_index_base_PKT1_PKT2_PKS2_S2_S3_PS4_PS7_PS2_.num_agpr, 0
	.set _ZN9rocsparseL32bsr2csr_block_per_row_2_7_kernelILj256ELj6EdliEEv20rocsparse_direction_T3_S2_21rocsparse_index_base_PKT1_PKT2_PKS2_S2_S3_PS4_PS7_PS2_.numbered_sgpr, 15
	.set _ZN9rocsparseL32bsr2csr_block_per_row_2_7_kernelILj256ELj6EdliEEv20rocsparse_direction_T3_S2_21rocsparse_index_base_PKT1_PKT2_PKS2_S2_S3_PS4_PS7_PS2_.num_named_barrier, 0
	.set _ZN9rocsparseL32bsr2csr_block_per_row_2_7_kernelILj256ELj6EdliEEv20rocsparse_direction_T3_S2_21rocsparse_index_base_PKT1_PKT2_PKS2_S2_S3_PS4_PS7_PS2_.private_seg_size, 0
	.set _ZN9rocsparseL32bsr2csr_block_per_row_2_7_kernelILj256ELj6EdliEEv20rocsparse_direction_T3_S2_21rocsparse_index_base_PKT1_PKT2_PKS2_S2_S3_PS4_PS7_PS2_.uses_vcc, 1
	.set _ZN9rocsparseL32bsr2csr_block_per_row_2_7_kernelILj256ELj6EdliEEv20rocsparse_direction_T3_S2_21rocsparse_index_base_PKT1_PKT2_PKS2_S2_S3_PS4_PS7_PS2_.uses_flat_scratch, 0
	.set _ZN9rocsparseL32bsr2csr_block_per_row_2_7_kernelILj256ELj6EdliEEv20rocsparse_direction_T3_S2_21rocsparse_index_base_PKT1_PKT2_PKS2_S2_S3_PS4_PS7_PS2_.has_dyn_sized_stack, 0
	.set _ZN9rocsparseL32bsr2csr_block_per_row_2_7_kernelILj256ELj6EdliEEv20rocsparse_direction_T3_S2_21rocsparse_index_base_PKT1_PKT2_PKS2_S2_S3_PS4_PS7_PS2_.has_recursion, 0
	.set _ZN9rocsparseL32bsr2csr_block_per_row_2_7_kernelILj256ELj6EdliEEv20rocsparse_direction_T3_S2_21rocsparse_index_base_PKT1_PKT2_PKS2_S2_S3_PS4_PS7_PS2_.has_indirect_call, 0
	.section	.AMDGPU.csdata,"",@progbits
; Kernel info:
; codeLenInByte = 1084
; TotalNumSgprs: 17
; NumVgprs: 39
; ScratchSize: 0
; MemoryBound: 0
; FloatMode: 240
; IeeeMode: 1
; LDSByteSize: 0 bytes/workgroup (compile time only)
; SGPRBlocks: 0
; VGPRBlocks: 4
; NumSGPRsForWavesPerEU: 17
; NumVGPRsForWavesPerEU: 39
; Occupancy: 16
; WaveLimiterHint : 0
; COMPUTE_PGM_RSRC2:SCRATCH_EN: 0
; COMPUTE_PGM_RSRC2:USER_SGPR: 6
; COMPUTE_PGM_RSRC2:TRAP_HANDLER: 0
; COMPUTE_PGM_RSRC2:TGID_X_EN: 1
; COMPUTE_PGM_RSRC2:TGID_Y_EN: 0
; COMPUTE_PGM_RSRC2:TGID_Z_EN: 0
; COMPUTE_PGM_RSRC2:TIDIG_COMP_CNT: 0
	.section	.text._ZN9rocsparseL32bsr2csr_block_per_row_2_7_kernelILj256ELj7EdliEEv20rocsparse_direction_T3_S2_21rocsparse_index_base_PKT1_PKT2_PKS2_S2_S3_PS4_PS7_PS2_,"axG",@progbits,_ZN9rocsparseL32bsr2csr_block_per_row_2_7_kernelILj256ELj7EdliEEv20rocsparse_direction_T3_S2_21rocsparse_index_base_PKT1_PKT2_PKS2_S2_S3_PS4_PS7_PS2_,comdat
	.globl	_ZN9rocsparseL32bsr2csr_block_per_row_2_7_kernelILj256ELj7EdliEEv20rocsparse_direction_T3_S2_21rocsparse_index_base_PKT1_PKT2_PKS2_S2_S3_PS4_PS7_PS2_ ; -- Begin function _ZN9rocsparseL32bsr2csr_block_per_row_2_7_kernelILj256ELj7EdliEEv20rocsparse_direction_T3_S2_21rocsparse_index_base_PKT1_PKT2_PKS2_S2_S3_PS4_PS7_PS2_
	.p2align	8
	.type	_ZN9rocsparseL32bsr2csr_block_per_row_2_7_kernelILj256ELj7EdliEEv20rocsparse_direction_T3_S2_21rocsparse_index_base_PKT1_PKT2_PKS2_S2_S3_PS4_PS7_PS2_,@function
_ZN9rocsparseL32bsr2csr_block_per_row_2_7_kernelILj256ELj7EdliEEv20rocsparse_direction_T3_S2_21rocsparse_index_base_PKT1_PKT2_PKS2_S2_S3_PS4_PS7_PS2_: ; @_ZN9rocsparseL32bsr2csr_block_per_row_2_7_kernelILj256ELj7EdliEEv20rocsparse_direction_T3_S2_21rocsparse_index_base_PKT1_PKT2_PKS2_S2_S3_PS4_PS7_PS2_
; %bb.0:
	s_clause 0x2
	s_load_dwordx2 s[0:1], s[4:5], 0x18
	s_load_dword s8, s[4:5], 0x2c
	s_load_dwordx2 s[10:11], s[4:5], 0x38
	s_ashr_i32 s7, s6, 31
	v_or_b32_e32 v1, s6, v0
	s_lshl_b64 s[2:3], s[6:7], 3
	s_waitcnt lgkmcnt(0)
	s_add_u32 s0, s0, s2
	s_addc_u32 s1, s1, s3
	s_mov_b32 s2, exec_lo
	v_cmpx_eq_u32_e32 0, v1
	s_cbranch_execz .LBB227_2
; %bb.1:
	v_mov_b32_e32 v1, s8
	v_mov_b32_e32 v2, 0
	global_store_dwordx2 v2, v[1:2], s[10:11]
.LBB227_2:
	s_or_b32 exec_lo, exec_lo, s2
	v_and_b32_e32 v4, 7, v0
	s_mov_b32 s2, exec_lo
	v_cmpx_ne_u32_e32 7, v4
	s_cbranch_execz .LBB227_6
; %bb.3:
	s_load_dwordx4 s[0:3], s[0:1], 0x0
	s_load_dword s7, s[4:5], 0xc
	s_mul_i32 s6, s6, 7
	v_mov_b32_e32 v2, 0
	v_add3_u32 v1, v4, s6, 1
	v_lshrrev_b32_e32 v5, 3, v0
	v_lshlrev_b64 v[6:7], 3, v[1:2]
	v_add_co_u32 v6, vcc_lo, s10, v6
	v_add_co_ci_u32_e64 v7, null, s11, v7, vcc_lo
	s_waitcnt lgkmcnt(0)
	s_sub_u32 s6, s0, s7
	s_subb_u32 s9, s1, 0
	s_mul_hi_u32 s12, s6, 49
	s_mul_i32 s13, s9, 49
	s_sub_u32 s2, s2, s7
	s_subb_u32 s3, s3, 0
	s_add_i32 s12, s12, s13
	s_sub_u32 s13, s2, s6
	s_subb_u32 s11, s3, s9
	s_mul_i32 s14, s13, 7
	s_mul_hi_u32 s13, s13, 7
	v_mad_u64_u32 v[2:3], null, s14, v4, 0
	s_mul_i32 s11, s11, 7
	s_mul_i32 s10, s6, 49
	s_add_i32 s13, s13, s11
	v_add_co_u32 v0, s6, s6, v5
	v_add_co_ci_u32_e64 v1, null, s9, 0, s6
	v_mad_u64_u32 v[8:9], null, s13, v4, v[3:4]
	s_add_u32 s6, s14, s8
	s_addc_u32 s9, s13, 0
	s_add_u32 s6, s6, s10
	s_addc_u32 s9, s9, s12
	v_add_co_u32 v9, vcc_lo, s6, v2
	v_add_co_ci_u32_e64 v10, null, s9, v8, vcc_lo
	v_cmp_gt_i64_e32 vcc_lo, s[2:3], v[0:1]
	v_mov_b32_e32 v3, v8
	s_mov_b32 s6, 0
	global_store_dwordx2 v[6:7], v[9:10], off
	s_and_b32 exec_lo, exec_lo, vcc_lo
	s_cbranch_execz .LBB227_6
; %bb.4:
	v_mad_u64_u32 v[6:7], null, s0, 49, v[2:3]
	s_clause 0x1
	s_load_dwordx2 s[10:11], s[4:5], 0x30
	s_load_dwordx2 s[12:13], s[4:5], 0x10
	v_mul_u32_u24_e32 v10, 7, v4
	v_lshlrev_b32_e32 v9, 3, v4
	v_lshlrev_b32_e32 v10, 3, v10
	v_mov_b32_e32 v2, v7
	v_mad_u64_u32 v[2:3], null, s1, 49, v[2:3]
	s_clause 0x2
	s_load_dwordx2 s[0:1], s[4:5], 0x20
	s_load_dword s9, s[4:5], 0x0
	s_load_dwordx2 s[4:5], s[4:5], 0x40
	v_mov_b32_e32 v7, v2
	s_waitcnt lgkmcnt(0)
	v_mad_u64_u32 v[2:3], null, 0x188, v0, s[12:13]
	s_mul_i32 s13, s7, 49
	s_mul_hi_u32 s12, s7, 49
	v_mad_u64_u32 v[5:6], null, v5, 7, v[6:7]
	v_lshlrev_b64 v[7:8], 2, v[0:1]
	v_mad_u64_u32 v[11:12], null, 0x188, v1, v[3:4]
	v_sub_co_u32 v5, vcc_lo, v5, s13
	v_subrev_co_ci_u32_e64 v6, null, s12, v6, vcc_lo
	v_add_co_u32 v3, vcc_lo, s0, v7
	v_add_co_ci_u32_e64 v4, null, s1, v8, vcc_lo
	v_lshlrev_b64 v[12:13], 3, v[5:6]
	v_lshlrev_b64 v[5:6], 2, v[5:6]
	s_cmp_eq_u32 s9, 0
	v_add_co_u32 v7, vcc_lo, s10, v12
	v_add_co_ci_u32_e64 v8, null, s11, v13, vcc_lo
	v_add_co_u32 v12, vcc_lo, s4, v5
	v_add_co_ci_u32_e64 v13, null, s5, v6, vcc_lo
	v_add_co_u32 v5, vcc_lo, v7, 24
	v_add_co_ci_u32_e64 v6, null, 0, v8, vcc_lo
	v_add_co_u32 v7, vcc_lo, v12, 12
	v_add_co_ci_u32_e64 v8, null, 0, v13, vcc_lo
	s_cselect_b32 vcc_lo, -1, 0
.LBB227_5:                              ; =>This Inner Loop Header: Depth=1
	v_add_co_u32 v14, s0, v2, v9
	v_add_co_ci_u32_e64 v15, null, 0, v11, s0
	v_add_co_u32 v16, s0, v2, v10
	v_add_co_ci_u32_e64 v17, null, 0, v11, s0
	global_load_dword v26, v[3:4], off
	v_add_co_u32 v18, s0, v16, 8
	v_add_co_ci_u32_e64 v19, null, 0, v17, s0
	v_add_co_u32 v20, s0, v14, 56
	v_add_co_ci_u32_e64 v21, null, 0, v15, s0
	;; [unrolled: 2-line block ×11, first 2 shown]
	v_add_co_u32 v41, s0, 0x150, v14
	v_cndmask_b32_e32 v13, v15, v17, vcc_lo
	v_cndmask_b32_e32 v12, v14, v16, vcc_lo
	v_add_co_ci_u32_e64 v42, null, 0, v15, s0
	v_cndmask_b32_e32 v15, v21, v19, vcc_lo
	v_cndmask_b32_e32 v14, v20, v18, vcc_lo
	;; [unrolled: 1-line block ×10, first 2 shown]
	global_load_dwordx2 v[12:13], v[12:13], off
	v_cndmask_b32_e32 v25, v42, v40, vcc_lo
	v_cndmask_b32_e32 v24, v41, v39, vcc_lo
	global_load_dwordx2 v[14:15], v[14:15], off
	global_load_dwordx2 v[16:17], v[16:17], off
	global_load_dwordx2 v[18:19], v[18:19], off
	global_load_dwordx2 v[20:21], v[20:21], off
	global_load_dwordx2 v[22:23], v[22:23], off
	global_load_dwordx2 v[31:32], v[24:25], off
	v_add_co_u32 v0, s0, v0, 32
	v_add_co_ci_u32_e64 v1, null, 0, v1, s0
	v_add_co_u32 v3, s0, 0x80, v3
	v_add_co_ci_u32_e64 v4, null, 0, v4, s0
	;; [unrolled: 2-line block ×3, first 2 shown]
	v_cmp_le_i64_e64 s0, s[2:3], v[0:1]
	s_waitcnt vmcnt(5)
	global_store_dwordx4 v[5:6], v[12:15], off offset:-24
	s_waitcnt vmcnt(3)
	global_store_dwordx4 v[5:6], v[16:19], off offset:-8
	s_waitcnt vmcnt(1)
	global_store_dwordx4 v[5:6], v[20:23], off offset:8
	s_waitcnt vmcnt(0)
	global_store_dwordx2 v[5:6], v[31:32], off offset:24
	v_subrev_nc_u32_e32 v24, s7, v26
	v_add_co_u32 v5, s1, 0x700, v5
	v_add_co_ci_u32_e64 v6, null, 0, v6, s1
	v_mad_u64_u32 v[24:25], null, v24, 7, s[8:9]
	s_or_b32 s6, s0, s6
	v_add_nc_u32_e32 v25, 1, v24
	v_add_nc_u32_e32 v26, 2, v24
	;; [unrolled: 1-line block ×6, first 2 shown]
	global_store_dwordx4 v[7:8], v[24:27], off offset:-12
	global_store_dwordx3 v[7:8], v[28:30], off offset:4
	v_add_co_u32 v7, s1, 0x380, v7
	v_add_co_ci_u32_e64 v8, null, 0, v8, s1
	s_andn2_b32 exec_lo, exec_lo, s6
	s_cbranch_execnz .LBB227_5
.LBB227_6:
	s_endpgm
	.section	.rodata,"a",@progbits
	.p2align	6, 0x0
	.amdhsa_kernel _ZN9rocsparseL32bsr2csr_block_per_row_2_7_kernelILj256ELj7EdliEEv20rocsparse_direction_T3_S2_21rocsparse_index_base_PKT1_PKT2_PKS2_S2_S3_PS4_PS7_PS2_
		.amdhsa_group_segment_fixed_size 0
		.amdhsa_private_segment_fixed_size 0
		.amdhsa_kernarg_size 72
		.amdhsa_user_sgpr_count 6
		.amdhsa_user_sgpr_private_segment_buffer 1
		.amdhsa_user_sgpr_dispatch_ptr 0
		.amdhsa_user_sgpr_queue_ptr 0
		.amdhsa_user_sgpr_kernarg_segment_ptr 1
		.amdhsa_user_sgpr_dispatch_id 0
		.amdhsa_user_sgpr_flat_scratch_init 0
		.amdhsa_user_sgpr_private_segment_size 0
		.amdhsa_wavefront_size32 1
		.amdhsa_uses_dynamic_stack 0
		.amdhsa_system_sgpr_private_segment_wavefront_offset 0
		.amdhsa_system_sgpr_workgroup_id_x 1
		.amdhsa_system_sgpr_workgroup_id_y 0
		.amdhsa_system_sgpr_workgroup_id_z 0
		.amdhsa_system_sgpr_workgroup_info 0
		.amdhsa_system_vgpr_workitem_id 0
		.amdhsa_next_free_vgpr 43
		.amdhsa_next_free_sgpr 15
		.amdhsa_reserve_vcc 1
		.amdhsa_reserve_flat_scratch 0
		.amdhsa_float_round_mode_32 0
		.amdhsa_float_round_mode_16_64 0
		.amdhsa_float_denorm_mode_32 3
		.amdhsa_float_denorm_mode_16_64 3
		.amdhsa_dx10_clamp 1
		.amdhsa_ieee_mode 1
		.amdhsa_fp16_overflow 0
		.amdhsa_workgroup_processor_mode 1
		.amdhsa_memory_ordered 1
		.amdhsa_forward_progress 1
		.amdhsa_shared_vgpr_count 0
		.amdhsa_exception_fp_ieee_invalid_op 0
		.amdhsa_exception_fp_denorm_src 0
		.amdhsa_exception_fp_ieee_div_zero 0
		.amdhsa_exception_fp_ieee_overflow 0
		.amdhsa_exception_fp_ieee_underflow 0
		.amdhsa_exception_fp_ieee_inexact 0
		.amdhsa_exception_int_div_zero 0
	.end_amdhsa_kernel
	.section	.text._ZN9rocsparseL32bsr2csr_block_per_row_2_7_kernelILj256ELj7EdliEEv20rocsparse_direction_T3_S2_21rocsparse_index_base_PKT1_PKT2_PKS2_S2_S3_PS4_PS7_PS2_,"axG",@progbits,_ZN9rocsparseL32bsr2csr_block_per_row_2_7_kernelILj256ELj7EdliEEv20rocsparse_direction_T3_S2_21rocsparse_index_base_PKT1_PKT2_PKS2_S2_S3_PS4_PS7_PS2_,comdat
.Lfunc_end227:
	.size	_ZN9rocsparseL32bsr2csr_block_per_row_2_7_kernelILj256ELj7EdliEEv20rocsparse_direction_T3_S2_21rocsparse_index_base_PKT1_PKT2_PKS2_S2_S3_PS4_PS7_PS2_, .Lfunc_end227-_ZN9rocsparseL32bsr2csr_block_per_row_2_7_kernelILj256ELj7EdliEEv20rocsparse_direction_T3_S2_21rocsparse_index_base_PKT1_PKT2_PKS2_S2_S3_PS4_PS7_PS2_
                                        ; -- End function
	.set _ZN9rocsparseL32bsr2csr_block_per_row_2_7_kernelILj256ELj7EdliEEv20rocsparse_direction_T3_S2_21rocsparse_index_base_PKT1_PKT2_PKS2_S2_S3_PS4_PS7_PS2_.num_vgpr, 43
	.set _ZN9rocsparseL32bsr2csr_block_per_row_2_7_kernelILj256ELj7EdliEEv20rocsparse_direction_T3_S2_21rocsparse_index_base_PKT1_PKT2_PKS2_S2_S3_PS4_PS7_PS2_.num_agpr, 0
	.set _ZN9rocsparseL32bsr2csr_block_per_row_2_7_kernelILj256ELj7EdliEEv20rocsparse_direction_T3_S2_21rocsparse_index_base_PKT1_PKT2_PKS2_S2_S3_PS4_PS7_PS2_.numbered_sgpr, 15
	.set _ZN9rocsparseL32bsr2csr_block_per_row_2_7_kernelILj256ELj7EdliEEv20rocsparse_direction_T3_S2_21rocsparse_index_base_PKT1_PKT2_PKS2_S2_S3_PS4_PS7_PS2_.num_named_barrier, 0
	.set _ZN9rocsparseL32bsr2csr_block_per_row_2_7_kernelILj256ELj7EdliEEv20rocsparse_direction_T3_S2_21rocsparse_index_base_PKT1_PKT2_PKS2_S2_S3_PS4_PS7_PS2_.private_seg_size, 0
	.set _ZN9rocsparseL32bsr2csr_block_per_row_2_7_kernelILj256ELj7EdliEEv20rocsparse_direction_T3_S2_21rocsparse_index_base_PKT1_PKT2_PKS2_S2_S3_PS4_PS7_PS2_.uses_vcc, 1
	.set _ZN9rocsparseL32bsr2csr_block_per_row_2_7_kernelILj256ELj7EdliEEv20rocsparse_direction_T3_S2_21rocsparse_index_base_PKT1_PKT2_PKS2_S2_S3_PS4_PS7_PS2_.uses_flat_scratch, 0
	.set _ZN9rocsparseL32bsr2csr_block_per_row_2_7_kernelILj256ELj7EdliEEv20rocsparse_direction_T3_S2_21rocsparse_index_base_PKT1_PKT2_PKS2_S2_S3_PS4_PS7_PS2_.has_dyn_sized_stack, 0
	.set _ZN9rocsparseL32bsr2csr_block_per_row_2_7_kernelILj256ELj7EdliEEv20rocsparse_direction_T3_S2_21rocsparse_index_base_PKT1_PKT2_PKS2_S2_S3_PS4_PS7_PS2_.has_recursion, 0
	.set _ZN9rocsparseL32bsr2csr_block_per_row_2_7_kernelILj256ELj7EdliEEv20rocsparse_direction_T3_S2_21rocsparse_index_base_PKT1_PKT2_PKS2_S2_S3_PS4_PS7_PS2_.has_indirect_call, 0
	.section	.AMDGPU.csdata,"",@progbits
; Kernel info:
; codeLenInByte = 1152
; TotalNumSgprs: 17
; NumVgprs: 43
; ScratchSize: 0
; MemoryBound: 0
; FloatMode: 240
; IeeeMode: 1
; LDSByteSize: 0 bytes/workgroup (compile time only)
; SGPRBlocks: 0
; VGPRBlocks: 5
; NumSGPRsForWavesPerEU: 17
; NumVGPRsForWavesPerEU: 43
; Occupancy: 16
; WaveLimiterHint : 0
; COMPUTE_PGM_RSRC2:SCRATCH_EN: 0
; COMPUTE_PGM_RSRC2:USER_SGPR: 6
; COMPUTE_PGM_RSRC2:TRAP_HANDLER: 0
; COMPUTE_PGM_RSRC2:TGID_X_EN: 1
; COMPUTE_PGM_RSRC2:TGID_Y_EN: 0
; COMPUTE_PGM_RSRC2:TGID_Z_EN: 0
; COMPUTE_PGM_RSRC2:TIDIG_COMP_CNT: 0
	.section	.text._ZN9rocsparseL33bsr2csr_block_per_row_8_32_kernelILj1024ELj8EdliEEv20rocsparse_direction_T3_S2_21rocsparse_index_base_PKT1_PKT2_PKS2_S2_S3_PS4_PS7_PS2_,"axG",@progbits,_ZN9rocsparseL33bsr2csr_block_per_row_8_32_kernelILj1024ELj8EdliEEv20rocsparse_direction_T3_S2_21rocsparse_index_base_PKT1_PKT2_PKS2_S2_S3_PS4_PS7_PS2_,comdat
	.globl	_ZN9rocsparseL33bsr2csr_block_per_row_8_32_kernelILj1024ELj8EdliEEv20rocsparse_direction_T3_S2_21rocsparse_index_base_PKT1_PKT2_PKS2_S2_S3_PS4_PS7_PS2_ ; -- Begin function _ZN9rocsparseL33bsr2csr_block_per_row_8_32_kernelILj1024ELj8EdliEEv20rocsparse_direction_T3_S2_21rocsparse_index_base_PKT1_PKT2_PKS2_S2_S3_PS4_PS7_PS2_
	.p2align	8
	.type	_ZN9rocsparseL33bsr2csr_block_per_row_8_32_kernelILj1024ELj8EdliEEv20rocsparse_direction_T3_S2_21rocsparse_index_base_PKT1_PKT2_PKS2_S2_S3_PS4_PS7_PS2_,@function
_ZN9rocsparseL33bsr2csr_block_per_row_8_32_kernelILj1024ELj8EdliEEv20rocsparse_direction_T3_S2_21rocsparse_index_base_PKT1_PKT2_PKS2_S2_S3_PS4_PS7_PS2_: ; @_ZN9rocsparseL33bsr2csr_block_per_row_8_32_kernelILj1024ELj8EdliEEv20rocsparse_direction_T3_S2_21rocsparse_index_base_PKT1_PKT2_PKS2_S2_S3_PS4_PS7_PS2_
; %bb.0:
	s_clause 0x2
	s_load_dwordx2 s[8:9], s[4:5], 0x18
	s_load_dwordx2 s[2:3], s[4:5], 0x28
	;; [unrolled: 1-line block ×3, first 2 shown]
	s_ashr_i32 s7, s6, 31
	v_or_b32_e32 v1, s6, v0
	s_lshl_b64 s[10:11], s[6:7], 3
	s_mov_b32 s7, exec_lo
	s_waitcnt lgkmcnt(0)
	s_add_u32 s8, s8, s10
	s_addc_u32 s9, s9, s11
	v_cmpx_eq_u32_e32 0, v1
	s_cbranch_execz .LBB228_2
; %bb.1:
	v_mov_b32_e32 v1, s3
	v_mov_b32_e32 v2, 0
	global_store_dwordx2 v2, v[1:2], s[0:1]
.LBB228_2:
	s_or_b32 exec_lo, exec_lo, s7
	v_and_b32_e32 v5, 7, v0
	v_bfe_u32 v2, v0, 3, 3
	s_mov_b32 s7, exec_lo
	v_max_i32_e32 v1, v2, v5
	v_cmpx_gt_i32_e64 s2, v1
	s_cbranch_execz .LBB228_6
; %bb.3:
	s_load_dwordx4 s[16:19], s[8:9], 0x0
	s_load_dword s14, s[4:5], 0xc
	s_mul_i32 s8, s2, s2
	v_mad_u64_u32 v[6:7], null, s2, s6, v[2:3]
	v_lshrrev_b32_e32 v3, 6, v0
	v_mov_b32_e32 v4, 0
	v_ashrrev_i32_e32 v7, 31, v6
	v_lshlrev_b64 v[6:7], 3, v[6:7]
	s_waitcnt lgkmcnt(0)
	s_sub_u32 s9, s16, s14
	s_subb_u32 s15, s17, 0
	s_mul_hi_u32 s11, s9, s8
	s_mul_i32 s12, s15, s8
	s_sub_u32 s6, s18, s14
	s_subb_u32 s7, s19, 0
	s_add_i32 s11, s11, s12
	s_sub_u32 s13, s6, s9
	s_subb_u32 s12, s7, s15
	s_mul_hi_u32 s16, s13, s2
	s_mul_i32 s17, s12, s2
	s_mul_i32 s18, s13, s2
	s_add_i32 s19, s16, s17
	s_mul_i32 s10, s9, s8
	s_add_u32 s16, s18, s3
	s_addc_u32 s17, s19, 0
	s_add_u32 s16, s16, s10
	s_addc_u32 s17, s17, s11
	v_add_co_u32 v0, s9, s9, v3
	v_mad_u64_u32 v[8:9], null, s18, v2, s[16:17]
	v_add_co_u32 v6, vcc_lo, s0, v6
	v_add_co_ci_u32_e64 v7, null, s1, v7, vcc_lo
	v_mov_b32_e32 v1, v9
	v_mad_u64_u32 v[9:10], null, s19, v2, v[1:2]
	v_add_co_ci_u32_e64 v1, null, s15, 0, s9
	s_mov_b32 s9, 0
	v_cmp_gt_i64_e32 vcc_lo, s[6:7], v[0:1]
	global_store_dwordx2 v[6:7], v[8:9], off offset:8
	s_and_b32 exec_lo, exec_lo, vcc_lo
	s_cbranch_execz .LBB228_6
; %bb.4:
	s_clause 0x3
	s_load_dwordx2 s[0:1], s[4:5], 0x10
	s_load_dwordx2 s[16:17], s[4:5], 0x20
	;; [unrolled: 1-line block ×3, first 2 shown]
	s_load_dword s15, s[4:5], 0x0
	v_mul_lo_u32 v6, s2, v5
	v_mov_b32_e32 v7, v4
	v_mul_lo_u32 v8, s2, v2
	v_mad_u64_u32 v[10:11], null, s13, v2, v[3:4]
	v_mov_b32_e32 v9, v4
	v_lshlrev_b32_e32 v12, 3, v2
	s_mov_b32 s20, s2
	v_lshlrev_b64 v[3:4], 3, v[6:7]
	v_mad_u64_u32 v[6:7], null, v0, s8, 0
	v_lshlrev_b64 v[8:9], 3, v[8:9]
	v_lshlrev_b32_e32 v16, 3, v5
	s_load_dwordx2 s[4:5], s[4:5], 0x40
	s_mov_b32 s21, s9
	s_waitcnt lgkmcnt(0)
	v_add_co_u32 v3, vcc_lo, s0, v3
	v_add_co_ci_u32_e64 v4, null, s1, v4, vcc_lo
	s_cmp_eq_u32 s15, 0
	v_add_co_u32 v12, vcc_lo, v3, v12
	v_add_co_ci_u32_e64 v13, null, 0, v4, vcc_lo
	v_add_co_u32 v14, vcc_lo, s0, v8
	v_mad_u64_u32 v[3:4], null, v10, s20, s[10:11]
	v_add_co_ci_u32_e64 v15, null, s1, v9, vcc_lo
	v_mad_u64_u32 v[8:9], null, s12, v2, v[11:12]
	v_add_co_u32 v14, vcc_lo, v14, v16
	v_mov_b32_e32 v2, v4
	v_add_co_ci_u32_e64 v4, null, 0, v15, vcc_lo
	s_cselect_b32 vcc_lo, -1, 0
	v_mad_u64_u32 v[9:10], null, v1, s8, v[7:8]
	v_mad_u64_u32 v[10:11], null, v8, s20, v[2:3]
	v_add_co_u32 v8, s0, v3, v5
	v_cndmask_b32_e32 v11, v13, v4, vcc_lo
	v_add_nc_u32_e32 v2, s3, v5
	v_mov_b32_e32 v7, v9
	s_lshl_b64 s[10:11], s[20:21], 7
	v_add_co_ci_u32_e64 v9, null, 0, v10, s0
	s_lshl_b64 s[12:13], s[20:21], 6
	v_lshlrev_b64 v[3:4], 3, v[6:7]
	v_cndmask_b32_e32 v7, v12, v14, vcc_lo
	v_lshlrev_b64 v[5:6], 3, v[8:9]
	v_add_co_u32 v3, vcc_lo, v7, v3
	v_lshlrev_b64 v[7:8], 2, v[8:9]
	v_lshlrev_b64 v[9:10], 2, v[0:1]
	v_add_co_ci_u32_e64 v4, null, v11, v4, vcc_lo
	v_add_co_u32 v5, vcc_lo, s18, v5
	v_add_co_ci_u32_e64 v6, null, s19, v6, vcc_lo
	v_add_co_u32 v7, vcc_lo, s4, v7
	v_add_co_ci_u32_e64 v8, null, s5, v8, vcc_lo
	v_add_co_u32 v9, vcc_lo, s16, v9
	v_add_co_ci_u32_e64 v10, null, s17, v10, vcc_lo
	s_lshl_b64 s[4:5], s[8:9], 7
	s_inst_prefetch 0x1
	.p2align	6
.LBB228_5:                              ; =>This Inner Loop Header: Depth=1
	global_load_dword v13, v[9:10], off
	global_load_dwordx2 v[11:12], v[3:4], off
	v_add_co_u32 v0, vcc_lo, v0, 16
	v_add_co_ci_u32_e64 v1, null, 0, v1, vcc_lo
	v_add_co_u32 v3, vcc_lo, v3, s4
	v_add_co_ci_u32_e64 v4, null, s5, v4, vcc_lo
	;; [unrolled: 2-line block ×3, first 2 shown]
	v_cmp_le_i64_e32 vcc_lo, s[6:7], v[0:1]
	s_or_b32 s9, vcc_lo, s9
	s_waitcnt vmcnt(1)
	v_subrev_nc_u32_e32 v13, s14, v13
	s_waitcnt vmcnt(0)
	global_store_dwordx2 v[5:6], v[11:12], off
	v_add_co_u32 v5, s0, v5, s10
	v_add_co_ci_u32_e64 v6, null, s11, v6, s0
	v_mad_u64_u32 v[11:12], null, v13, s2, v[2:3]
	global_store_dword v[7:8], v11, off
	v_add_co_u32 v7, s0, v7, s12
	v_add_co_ci_u32_e64 v8, null, s13, v8, s0
	s_andn2_b32 exec_lo, exec_lo, s9
	s_cbranch_execnz .LBB228_5
.LBB228_6:
	s_inst_prefetch 0x2
	s_endpgm
	.section	.rodata,"a",@progbits
	.p2align	6, 0x0
	.amdhsa_kernel _ZN9rocsparseL33bsr2csr_block_per_row_8_32_kernelILj1024ELj8EdliEEv20rocsparse_direction_T3_S2_21rocsparse_index_base_PKT1_PKT2_PKS2_S2_S3_PS4_PS7_PS2_
		.amdhsa_group_segment_fixed_size 0
		.amdhsa_private_segment_fixed_size 0
		.amdhsa_kernarg_size 72
		.amdhsa_user_sgpr_count 6
		.amdhsa_user_sgpr_private_segment_buffer 1
		.amdhsa_user_sgpr_dispatch_ptr 0
		.amdhsa_user_sgpr_queue_ptr 0
		.amdhsa_user_sgpr_kernarg_segment_ptr 1
		.amdhsa_user_sgpr_dispatch_id 0
		.amdhsa_user_sgpr_flat_scratch_init 0
		.amdhsa_user_sgpr_private_segment_size 0
		.amdhsa_wavefront_size32 1
		.amdhsa_uses_dynamic_stack 0
		.amdhsa_system_sgpr_private_segment_wavefront_offset 0
		.amdhsa_system_sgpr_workgroup_id_x 1
		.amdhsa_system_sgpr_workgroup_id_y 0
		.amdhsa_system_sgpr_workgroup_id_z 0
		.amdhsa_system_sgpr_workgroup_info 0
		.amdhsa_system_vgpr_workitem_id 0
		.amdhsa_next_free_vgpr 17
		.amdhsa_next_free_sgpr 22
		.amdhsa_reserve_vcc 1
		.amdhsa_reserve_flat_scratch 0
		.amdhsa_float_round_mode_32 0
		.amdhsa_float_round_mode_16_64 0
		.amdhsa_float_denorm_mode_32 3
		.amdhsa_float_denorm_mode_16_64 3
		.amdhsa_dx10_clamp 1
		.amdhsa_ieee_mode 1
		.amdhsa_fp16_overflow 0
		.amdhsa_workgroup_processor_mode 1
		.amdhsa_memory_ordered 1
		.amdhsa_forward_progress 1
		.amdhsa_shared_vgpr_count 0
		.amdhsa_exception_fp_ieee_invalid_op 0
		.amdhsa_exception_fp_denorm_src 0
		.amdhsa_exception_fp_ieee_div_zero 0
		.amdhsa_exception_fp_ieee_overflow 0
		.amdhsa_exception_fp_ieee_underflow 0
		.amdhsa_exception_fp_ieee_inexact 0
		.amdhsa_exception_int_div_zero 0
	.end_amdhsa_kernel
	.section	.text._ZN9rocsparseL33bsr2csr_block_per_row_8_32_kernelILj1024ELj8EdliEEv20rocsparse_direction_T3_S2_21rocsparse_index_base_PKT1_PKT2_PKS2_S2_S3_PS4_PS7_PS2_,"axG",@progbits,_ZN9rocsparseL33bsr2csr_block_per_row_8_32_kernelILj1024ELj8EdliEEv20rocsparse_direction_T3_S2_21rocsparse_index_base_PKT1_PKT2_PKS2_S2_S3_PS4_PS7_PS2_,comdat
.Lfunc_end228:
	.size	_ZN9rocsparseL33bsr2csr_block_per_row_8_32_kernelILj1024ELj8EdliEEv20rocsparse_direction_T3_S2_21rocsparse_index_base_PKT1_PKT2_PKS2_S2_S3_PS4_PS7_PS2_, .Lfunc_end228-_ZN9rocsparseL33bsr2csr_block_per_row_8_32_kernelILj1024ELj8EdliEEv20rocsparse_direction_T3_S2_21rocsparse_index_base_PKT1_PKT2_PKS2_S2_S3_PS4_PS7_PS2_
                                        ; -- End function
	.set _ZN9rocsparseL33bsr2csr_block_per_row_8_32_kernelILj1024ELj8EdliEEv20rocsparse_direction_T3_S2_21rocsparse_index_base_PKT1_PKT2_PKS2_S2_S3_PS4_PS7_PS2_.num_vgpr, 17
	.set _ZN9rocsparseL33bsr2csr_block_per_row_8_32_kernelILj1024ELj8EdliEEv20rocsparse_direction_T3_S2_21rocsparse_index_base_PKT1_PKT2_PKS2_S2_S3_PS4_PS7_PS2_.num_agpr, 0
	.set _ZN9rocsparseL33bsr2csr_block_per_row_8_32_kernelILj1024ELj8EdliEEv20rocsparse_direction_T3_S2_21rocsparse_index_base_PKT1_PKT2_PKS2_S2_S3_PS4_PS7_PS2_.numbered_sgpr, 22
	.set _ZN9rocsparseL33bsr2csr_block_per_row_8_32_kernelILj1024ELj8EdliEEv20rocsparse_direction_T3_S2_21rocsparse_index_base_PKT1_PKT2_PKS2_S2_S3_PS4_PS7_PS2_.num_named_barrier, 0
	.set _ZN9rocsparseL33bsr2csr_block_per_row_8_32_kernelILj1024ELj8EdliEEv20rocsparse_direction_T3_S2_21rocsparse_index_base_PKT1_PKT2_PKS2_S2_S3_PS4_PS7_PS2_.private_seg_size, 0
	.set _ZN9rocsparseL33bsr2csr_block_per_row_8_32_kernelILj1024ELj8EdliEEv20rocsparse_direction_T3_S2_21rocsparse_index_base_PKT1_PKT2_PKS2_S2_S3_PS4_PS7_PS2_.uses_vcc, 1
	.set _ZN9rocsparseL33bsr2csr_block_per_row_8_32_kernelILj1024ELj8EdliEEv20rocsparse_direction_T3_S2_21rocsparse_index_base_PKT1_PKT2_PKS2_S2_S3_PS4_PS7_PS2_.uses_flat_scratch, 0
	.set _ZN9rocsparseL33bsr2csr_block_per_row_8_32_kernelILj1024ELj8EdliEEv20rocsparse_direction_T3_S2_21rocsparse_index_base_PKT1_PKT2_PKS2_S2_S3_PS4_PS7_PS2_.has_dyn_sized_stack, 0
	.set _ZN9rocsparseL33bsr2csr_block_per_row_8_32_kernelILj1024ELj8EdliEEv20rocsparse_direction_T3_S2_21rocsparse_index_base_PKT1_PKT2_PKS2_S2_S3_PS4_PS7_PS2_.has_recursion, 0
	.set _ZN9rocsparseL33bsr2csr_block_per_row_8_32_kernelILj1024ELj8EdliEEv20rocsparse_direction_T3_S2_21rocsparse_index_base_PKT1_PKT2_PKS2_S2_S3_PS4_PS7_PS2_.has_indirect_call, 0
	.section	.AMDGPU.csdata,"",@progbits
; Kernel info:
; codeLenInByte = 860
; TotalNumSgprs: 24
; NumVgprs: 17
; ScratchSize: 0
; MemoryBound: 0
; FloatMode: 240
; IeeeMode: 1
; LDSByteSize: 0 bytes/workgroup (compile time only)
; SGPRBlocks: 0
; VGPRBlocks: 2
; NumSGPRsForWavesPerEU: 24
; NumVGPRsForWavesPerEU: 17
; Occupancy: 16
; WaveLimiterHint : 0
; COMPUTE_PGM_RSRC2:SCRATCH_EN: 0
; COMPUTE_PGM_RSRC2:USER_SGPR: 6
; COMPUTE_PGM_RSRC2:TRAP_HANDLER: 0
; COMPUTE_PGM_RSRC2:TGID_X_EN: 1
; COMPUTE_PGM_RSRC2:TGID_Y_EN: 0
; COMPUTE_PGM_RSRC2:TGID_Z_EN: 0
; COMPUTE_PGM_RSRC2:TIDIG_COMP_CNT: 0
	.section	.text._ZN9rocsparseL33bsr2csr_block_per_row_8_32_kernelILj1024ELj16EdliEEv20rocsparse_direction_T3_S2_21rocsparse_index_base_PKT1_PKT2_PKS2_S2_S3_PS4_PS7_PS2_,"axG",@progbits,_ZN9rocsparseL33bsr2csr_block_per_row_8_32_kernelILj1024ELj16EdliEEv20rocsparse_direction_T3_S2_21rocsparse_index_base_PKT1_PKT2_PKS2_S2_S3_PS4_PS7_PS2_,comdat
	.globl	_ZN9rocsparseL33bsr2csr_block_per_row_8_32_kernelILj1024ELj16EdliEEv20rocsparse_direction_T3_S2_21rocsparse_index_base_PKT1_PKT2_PKS2_S2_S3_PS4_PS7_PS2_ ; -- Begin function _ZN9rocsparseL33bsr2csr_block_per_row_8_32_kernelILj1024ELj16EdliEEv20rocsparse_direction_T3_S2_21rocsparse_index_base_PKT1_PKT2_PKS2_S2_S3_PS4_PS7_PS2_
	.p2align	8
	.type	_ZN9rocsparseL33bsr2csr_block_per_row_8_32_kernelILj1024ELj16EdliEEv20rocsparse_direction_T3_S2_21rocsparse_index_base_PKT1_PKT2_PKS2_S2_S3_PS4_PS7_PS2_,@function
_ZN9rocsparseL33bsr2csr_block_per_row_8_32_kernelILj1024ELj16EdliEEv20rocsparse_direction_T3_S2_21rocsparse_index_base_PKT1_PKT2_PKS2_S2_S3_PS4_PS7_PS2_: ; @_ZN9rocsparseL33bsr2csr_block_per_row_8_32_kernelILj1024ELj16EdliEEv20rocsparse_direction_T3_S2_21rocsparse_index_base_PKT1_PKT2_PKS2_S2_S3_PS4_PS7_PS2_
; %bb.0:
	s_clause 0x2
	s_load_dwordx2 s[8:9], s[4:5], 0x18
	s_load_dwordx2 s[2:3], s[4:5], 0x28
	;; [unrolled: 1-line block ×3, first 2 shown]
	s_ashr_i32 s7, s6, 31
	v_or_b32_e32 v1, s6, v0
	s_lshl_b64 s[10:11], s[6:7], 3
	s_mov_b32 s7, exec_lo
	s_waitcnt lgkmcnt(0)
	s_add_u32 s8, s8, s10
	s_addc_u32 s9, s9, s11
	v_cmpx_eq_u32_e32 0, v1
	s_cbranch_execz .LBB229_2
; %bb.1:
	v_mov_b32_e32 v1, s3
	v_mov_b32_e32 v2, 0
	global_store_dwordx2 v2, v[1:2], s[0:1]
.LBB229_2:
	s_or_b32 exec_lo, exec_lo, s7
	v_and_b32_e32 v5, 15, v0
	v_bfe_u32 v2, v0, 4, 4
	s_mov_b32 s7, exec_lo
	v_max_i32_e32 v1, v2, v5
	v_cmpx_gt_i32_e64 s2, v1
	s_cbranch_execz .LBB229_6
; %bb.3:
	s_load_dwordx4 s[16:19], s[8:9], 0x0
	s_load_dword s14, s[4:5], 0xc
	s_mul_i32 s8, s2, s2
	v_mad_u64_u32 v[6:7], null, s2, s6, v[2:3]
	v_lshrrev_b32_e32 v3, 8, v0
	v_mov_b32_e32 v4, 0
	v_ashrrev_i32_e32 v7, 31, v6
	v_lshlrev_b64 v[6:7], 3, v[6:7]
	s_waitcnt lgkmcnt(0)
	s_sub_u32 s9, s16, s14
	s_subb_u32 s15, s17, 0
	s_mul_hi_u32 s11, s9, s8
	s_mul_i32 s12, s15, s8
	s_sub_u32 s6, s18, s14
	s_subb_u32 s7, s19, 0
	s_add_i32 s11, s11, s12
	s_sub_u32 s13, s6, s9
	s_subb_u32 s12, s7, s15
	s_mul_hi_u32 s16, s13, s2
	s_mul_i32 s17, s12, s2
	s_mul_i32 s18, s13, s2
	s_add_i32 s19, s16, s17
	s_mul_i32 s10, s9, s8
	s_add_u32 s16, s18, s3
	s_addc_u32 s17, s19, 0
	s_add_u32 s16, s16, s10
	s_addc_u32 s17, s17, s11
	v_add_co_u32 v0, s9, s9, v3
	v_mad_u64_u32 v[8:9], null, s18, v2, s[16:17]
	v_add_co_u32 v6, vcc_lo, s0, v6
	v_add_co_ci_u32_e64 v7, null, s1, v7, vcc_lo
	v_mov_b32_e32 v1, v9
	v_mad_u64_u32 v[9:10], null, s19, v2, v[1:2]
	v_add_co_ci_u32_e64 v1, null, s15, 0, s9
	s_mov_b32 s9, 0
	v_cmp_gt_i64_e32 vcc_lo, s[6:7], v[0:1]
	global_store_dwordx2 v[6:7], v[8:9], off offset:8
	s_and_b32 exec_lo, exec_lo, vcc_lo
	s_cbranch_execz .LBB229_6
; %bb.4:
	s_clause 0x3
	s_load_dwordx2 s[0:1], s[4:5], 0x10
	s_load_dwordx2 s[16:17], s[4:5], 0x20
	;; [unrolled: 1-line block ×3, first 2 shown]
	s_load_dword s15, s[4:5], 0x0
	v_mul_lo_u32 v6, s2, v5
	v_mov_b32_e32 v7, v4
	v_mul_lo_u32 v8, s2, v2
	v_mad_u64_u32 v[10:11], null, s13, v2, v[3:4]
	v_mov_b32_e32 v9, v4
	v_lshlrev_b32_e32 v12, 3, v2
	s_mov_b32 s20, s2
	v_lshlrev_b64 v[3:4], 3, v[6:7]
	v_mad_u64_u32 v[6:7], null, v0, s8, 0
	v_lshlrev_b64 v[8:9], 3, v[8:9]
	v_lshlrev_b32_e32 v16, 3, v5
	s_load_dwordx2 s[4:5], s[4:5], 0x40
	s_mov_b32 s21, s9
	s_waitcnt lgkmcnt(0)
	v_add_co_u32 v3, vcc_lo, s0, v3
	v_add_co_ci_u32_e64 v4, null, s1, v4, vcc_lo
	s_cmp_eq_u32 s15, 0
	v_add_co_u32 v12, vcc_lo, v3, v12
	v_add_co_ci_u32_e64 v13, null, 0, v4, vcc_lo
	v_add_co_u32 v14, vcc_lo, s0, v8
	v_mad_u64_u32 v[3:4], null, v10, s20, s[10:11]
	v_add_co_ci_u32_e64 v15, null, s1, v9, vcc_lo
	v_mad_u64_u32 v[8:9], null, s12, v2, v[11:12]
	v_add_co_u32 v14, vcc_lo, v14, v16
	v_mov_b32_e32 v2, v4
	v_add_co_ci_u32_e64 v4, null, 0, v15, vcc_lo
	s_cselect_b32 vcc_lo, -1, 0
	v_mad_u64_u32 v[9:10], null, v1, s8, v[7:8]
	v_mad_u64_u32 v[10:11], null, v8, s20, v[2:3]
	v_add_co_u32 v8, s0, v3, v5
	v_cndmask_b32_e32 v11, v13, v4, vcc_lo
	v_add_nc_u32_e32 v2, s3, v5
	v_mov_b32_e32 v7, v9
	s_lshl_b64 s[10:11], s[20:21], 5
	v_add_co_ci_u32_e64 v9, null, 0, v10, s0
	s_lshl_b64 s[12:13], s[20:21], 4
	v_lshlrev_b64 v[3:4], 3, v[6:7]
	v_cndmask_b32_e32 v7, v12, v14, vcc_lo
	v_lshlrev_b64 v[5:6], 3, v[8:9]
	v_add_co_u32 v3, vcc_lo, v7, v3
	v_lshlrev_b64 v[7:8], 2, v[8:9]
	v_lshlrev_b64 v[9:10], 2, v[0:1]
	v_add_co_ci_u32_e64 v4, null, v11, v4, vcc_lo
	v_add_co_u32 v5, vcc_lo, s18, v5
	v_add_co_ci_u32_e64 v6, null, s19, v6, vcc_lo
	v_add_co_u32 v7, vcc_lo, s4, v7
	;; [unrolled: 2-line block ×3, first 2 shown]
	v_add_co_ci_u32_e64 v10, null, s17, v10, vcc_lo
	s_lshl_b64 s[4:5], s[8:9], 5
	s_inst_prefetch 0x1
	.p2align	6
.LBB229_5:                              ; =>This Inner Loop Header: Depth=1
	global_load_dword v13, v[9:10], off
	global_load_dwordx2 v[11:12], v[3:4], off
	v_add_co_u32 v0, vcc_lo, v0, 4
	v_add_co_ci_u32_e64 v1, null, 0, v1, vcc_lo
	v_add_co_u32 v3, vcc_lo, v3, s4
	v_add_co_ci_u32_e64 v4, null, s5, v4, vcc_lo
	;; [unrolled: 2-line block ×3, first 2 shown]
	v_cmp_le_i64_e32 vcc_lo, s[6:7], v[0:1]
	s_or_b32 s9, vcc_lo, s9
	s_waitcnt vmcnt(1)
	v_subrev_nc_u32_e32 v13, s14, v13
	s_waitcnt vmcnt(0)
	global_store_dwordx2 v[5:6], v[11:12], off
	v_add_co_u32 v5, s0, v5, s10
	v_add_co_ci_u32_e64 v6, null, s11, v6, s0
	v_mad_u64_u32 v[11:12], null, v13, s2, v[2:3]
	global_store_dword v[7:8], v11, off
	v_add_co_u32 v7, s0, v7, s12
	v_add_co_ci_u32_e64 v8, null, s13, v8, s0
	s_andn2_b32 exec_lo, exec_lo, s9
	s_cbranch_execnz .LBB229_5
.LBB229_6:
	s_inst_prefetch 0x2
	s_endpgm
	.section	.rodata,"a",@progbits
	.p2align	6, 0x0
	.amdhsa_kernel _ZN9rocsparseL33bsr2csr_block_per_row_8_32_kernelILj1024ELj16EdliEEv20rocsparse_direction_T3_S2_21rocsparse_index_base_PKT1_PKT2_PKS2_S2_S3_PS4_PS7_PS2_
		.amdhsa_group_segment_fixed_size 0
		.amdhsa_private_segment_fixed_size 0
		.amdhsa_kernarg_size 72
		.amdhsa_user_sgpr_count 6
		.amdhsa_user_sgpr_private_segment_buffer 1
		.amdhsa_user_sgpr_dispatch_ptr 0
		.amdhsa_user_sgpr_queue_ptr 0
		.amdhsa_user_sgpr_kernarg_segment_ptr 1
		.amdhsa_user_sgpr_dispatch_id 0
		.amdhsa_user_sgpr_flat_scratch_init 0
		.amdhsa_user_sgpr_private_segment_size 0
		.amdhsa_wavefront_size32 1
		.amdhsa_uses_dynamic_stack 0
		.amdhsa_system_sgpr_private_segment_wavefront_offset 0
		.amdhsa_system_sgpr_workgroup_id_x 1
		.amdhsa_system_sgpr_workgroup_id_y 0
		.amdhsa_system_sgpr_workgroup_id_z 0
		.amdhsa_system_sgpr_workgroup_info 0
		.amdhsa_system_vgpr_workitem_id 0
		.amdhsa_next_free_vgpr 17
		.amdhsa_next_free_sgpr 22
		.amdhsa_reserve_vcc 1
		.amdhsa_reserve_flat_scratch 0
		.amdhsa_float_round_mode_32 0
		.amdhsa_float_round_mode_16_64 0
		.amdhsa_float_denorm_mode_32 3
		.amdhsa_float_denorm_mode_16_64 3
		.amdhsa_dx10_clamp 1
		.amdhsa_ieee_mode 1
		.amdhsa_fp16_overflow 0
		.amdhsa_workgroup_processor_mode 1
		.amdhsa_memory_ordered 1
		.amdhsa_forward_progress 1
		.amdhsa_shared_vgpr_count 0
		.amdhsa_exception_fp_ieee_invalid_op 0
		.amdhsa_exception_fp_denorm_src 0
		.amdhsa_exception_fp_ieee_div_zero 0
		.amdhsa_exception_fp_ieee_overflow 0
		.amdhsa_exception_fp_ieee_underflow 0
		.amdhsa_exception_fp_ieee_inexact 0
		.amdhsa_exception_int_div_zero 0
	.end_amdhsa_kernel
	.section	.text._ZN9rocsparseL33bsr2csr_block_per_row_8_32_kernelILj1024ELj16EdliEEv20rocsparse_direction_T3_S2_21rocsparse_index_base_PKT1_PKT2_PKS2_S2_S3_PS4_PS7_PS2_,"axG",@progbits,_ZN9rocsparseL33bsr2csr_block_per_row_8_32_kernelILj1024ELj16EdliEEv20rocsparse_direction_T3_S2_21rocsparse_index_base_PKT1_PKT2_PKS2_S2_S3_PS4_PS7_PS2_,comdat
.Lfunc_end229:
	.size	_ZN9rocsparseL33bsr2csr_block_per_row_8_32_kernelILj1024ELj16EdliEEv20rocsparse_direction_T3_S2_21rocsparse_index_base_PKT1_PKT2_PKS2_S2_S3_PS4_PS7_PS2_, .Lfunc_end229-_ZN9rocsparseL33bsr2csr_block_per_row_8_32_kernelILj1024ELj16EdliEEv20rocsparse_direction_T3_S2_21rocsparse_index_base_PKT1_PKT2_PKS2_S2_S3_PS4_PS7_PS2_
                                        ; -- End function
	.set _ZN9rocsparseL33bsr2csr_block_per_row_8_32_kernelILj1024ELj16EdliEEv20rocsparse_direction_T3_S2_21rocsparse_index_base_PKT1_PKT2_PKS2_S2_S3_PS4_PS7_PS2_.num_vgpr, 17
	.set _ZN9rocsparseL33bsr2csr_block_per_row_8_32_kernelILj1024ELj16EdliEEv20rocsparse_direction_T3_S2_21rocsparse_index_base_PKT1_PKT2_PKS2_S2_S3_PS4_PS7_PS2_.num_agpr, 0
	.set _ZN9rocsparseL33bsr2csr_block_per_row_8_32_kernelILj1024ELj16EdliEEv20rocsparse_direction_T3_S2_21rocsparse_index_base_PKT1_PKT2_PKS2_S2_S3_PS4_PS7_PS2_.numbered_sgpr, 22
	.set _ZN9rocsparseL33bsr2csr_block_per_row_8_32_kernelILj1024ELj16EdliEEv20rocsparse_direction_T3_S2_21rocsparse_index_base_PKT1_PKT2_PKS2_S2_S3_PS4_PS7_PS2_.num_named_barrier, 0
	.set _ZN9rocsparseL33bsr2csr_block_per_row_8_32_kernelILj1024ELj16EdliEEv20rocsparse_direction_T3_S2_21rocsparse_index_base_PKT1_PKT2_PKS2_S2_S3_PS4_PS7_PS2_.private_seg_size, 0
	.set _ZN9rocsparseL33bsr2csr_block_per_row_8_32_kernelILj1024ELj16EdliEEv20rocsparse_direction_T3_S2_21rocsparse_index_base_PKT1_PKT2_PKS2_S2_S3_PS4_PS7_PS2_.uses_vcc, 1
	.set _ZN9rocsparseL33bsr2csr_block_per_row_8_32_kernelILj1024ELj16EdliEEv20rocsparse_direction_T3_S2_21rocsparse_index_base_PKT1_PKT2_PKS2_S2_S3_PS4_PS7_PS2_.uses_flat_scratch, 0
	.set _ZN9rocsparseL33bsr2csr_block_per_row_8_32_kernelILj1024ELj16EdliEEv20rocsparse_direction_T3_S2_21rocsparse_index_base_PKT1_PKT2_PKS2_S2_S3_PS4_PS7_PS2_.has_dyn_sized_stack, 0
	.set _ZN9rocsparseL33bsr2csr_block_per_row_8_32_kernelILj1024ELj16EdliEEv20rocsparse_direction_T3_S2_21rocsparse_index_base_PKT1_PKT2_PKS2_S2_S3_PS4_PS7_PS2_.has_recursion, 0
	.set _ZN9rocsparseL33bsr2csr_block_per_row_8_32_kernelILj1024ELj16EdliEEv20rocsparse_direction_T3_S2_21rocsparse_index_base_PKT1_PKT2_PKS2_S2_S3_PS4_PS7_PS2_.has_indirect_call, 0
	.section	.AMDGPU.csdata,"",@progbits
; Kernel info:
; codeLenInByte = 860
; TotalNumSgprs: 24
; NumVgprs: 17
; ScratchSize: 0
; MemoryBound: 0
; FloatMode: 240
; IeeeMode: 1
; LDSByteSize: 0 bytes/workgroup (compile time only)
; SGPRBlocks: 0
; VGPRBlocks: 2
; NumSGPRsForWavesPerEU: 24
; NumVGPRsForWavesPerEU: 17
; Occupancy: 16
; WaveLimiterHint : 0
; COMPUTE_PGM_RSRC2:SCRATCH_EN: 0
; COMPUTE_PGM_RSRC2:USER_SGPR: 6
; COMPUTE_PGM_RSRC2:TRAP_HANDLER: 0
; COMPUTE_PGM_RSRC2:TGID_X_EN: 1
; COMPUTE_PGM_RSRC2:TGID_Y_EN: 0
; COMPUTE_PGM_RSRC2:TGID_Z_EN: 0
; COMPUTE_PGM_RSRC2:TIDIG_COMP_CNT: 0
	.section	.text._ZN9rocsparseL33bsr2csr_block_per_row_8_32_kernelILj1024ELj32EdliEEv20rocsparse_direction_T3_S2_21rocsparse_index_base_PKT1_PKT2_PKS2_S2_S3_PS4_PS7_PS2_,"axG",@progbits,_ZN9rocsparseL33bsr2csr_block_per_row_8_32_kernelILj1024ELj32EdliEEv20rocsparse_direction_T3_S2_21rocsparse_index_base_PKT1_PKT2_PKS2_S2_S3_PS4_PS7_PS2_,comdat
	.globl	_ZN9rocsparseL33bsr2csr_block_per_row_8_32_kernelILj1024ELj32EdliEEv20rocsparse_direction_T3_S2_21rocsparse_index_base_PKT1_PKT2_PKS2_S2_S3_PS4_PS7_PS2_ ; -- Begin function _ZN9rocsparseL33bsr2csr_block_per_row_8_32_kernelILj1024ELj32EdliEEv20rocsparse_direction_T3_S2_21rocsparse_index_base_PKT1_PKT2_PKS2_S2_S3_PS4_PS7_PS2_
	.p2align	8
	.type	_ZN9rocsparseL33bsr2csr_block_per_row_8_32_kernelILj1024ELj32EdliEEv20rocsparse_direction_T3_S2_21rocsparse_index_base_PKT1_PKT2_PKS2_S2_S3_PS4_PS7_PS2_,@function
_ZN9rocsparseL33bsr2csr_block_per_row_8_32_kernelILj1024ELj32EdliEEv20rocsparse_direction_T3_S2_21rocsparse_index_base_PKT1_PKT2_PKS2_S2_S3_PS4_PS7_PS2_: ; @_ZN9rocsparseL33bsr2csr_block_per_row_8_32_kernelILj1024ELj32EdliEEv20rocsparse_direction_T3_S2_21rocsparse_index_base_PKT1_PKT2_PKS2_S2_S3_PS4_PS7_PS2_
; %bb.0:
	s_clause 0x2
	s_load_dwordx2 s[0:1], s[4:5], 0x18
	s_load_dwordx2 s[8:9], s[4:5], 0x28
	;; [unrolled: 1-line block ×3, first 2 shown]
	s_ashr_i32 s7, s6, 31
	v_or_b32_e32 v1, s6, v0
	s_lshl_b64 s[2:3], s[6:7], 3
	s_waitcnt lgkmcnt(0)
	s_add_u32 s0, s0, s2
	s_addc_u32 s1, s1, s3
	s_mov_b32 s2, exec_lo
	v_cmpx_eq_u32_e32 0, v1
	s_cbranch_execz .LBB230_2
; %bb.1:
	v_mov_b32_e32 v1, s9
	v_mov_b32_e32 v2, 0
	global_store_dwordx2 v2, v[1:2], s[16:17]
.LBB230_2:
	s_or_b32 exec_lo, exec_lo, s2
	v_and_b32_e32 v3, 31, v0
	v_lshrrev_b32_e32 v0, 5, v0
	s_mov_b32 s2, exec_lo
	v_max_i32_e32 v1, v0, v3
	v_cmpx_gt_i32_e64 s8, v1
	s_cbranch_execz .LBB230_6
; %bb.3:
	s_load_dwordx4 s[0:3], s[0:1], 0x0
	s_load_dword s10, s[4:5], 0xc
	v_mad_u64_u32 v[4:5], null, s8, s6, v[0:1]
	s_mul_i32 s14, s8, s8
	v_ashrrev_i32_e32 v5, 31, v4
	v_lshlrev_b64 v[4:5], 3, v[4:5]
	v_add_co_u32 v4, vcc_lo, s16, v4
	s_waitcnt lgkmcnt(0)
	s_sub_u32 s6, s0, s10
	s_subb_u32 s7, s1, 0
	s_mul_hi_u32 s11, s6, s14
	s_mul_i32 s15, s7, s14
	s_sub_u32 s12, s2, s10
	s_subb_u32 s13, s3, 0
	s_add_i32 s19, s11, s15
	s_sub_u32 s11, s12, s6
	s_mul_i32 s18, s6, s14
	s_mul_i32 s15, s11, s8
	s_subb_u32 s20, s13, s7
	v_mad_u64_u32 v[1:2], null, s15, v0, s[18:19]
	s_mul_hi_u32 s11, s11, s8
	s_mul_i32 s20, s20, s8
	v_cmp_ge_i64_e64 s2, s[0:1], s[2:3]
	s_add_i32 s11, s11, s20
	s_add_u32 s3, s15, s9
	v_add_co_ci_u32_e64 v5, null, s17, v5, vcc_lo
	v_mad_u64_u32 v[6:7], null, s11, v0, v[2:3]
	s_addc_u32 s11, s11, 0
	v_add_co_u32 v7, vcc_lo, s3, v1
	v_add_co_ci_u32_e64 v8, null, s11, v6, vcc_lo
	s_mov_b32 s11, 0
	s_and_b32 vcc_lo, exec_lo, s2
	global_store_dwordx2 v[4:5], v[7:8], off offset:8
	s_cbranch_vccnz .LBB230_6
; %bb.4:
	s_clause 0x3
	s_load_dwordx2 s[16:17], s[4:5], 0x20
	s_load_dwordx2 s[20:21], s[4:5], 0x30
	s_load_dword s26, s[4:5], 0x0
	s_load_dwordx2 s[2:3], s[4:5], 0x10
	v_mul_lo_u32 v4, s8, v3
	v_mov_b32_e32 v5, 0
	v_mov_b32_e32 v2, v6
	v_lshlrev_b32_e32 v8, 3, v3
	s_load_dwordx2 s[22:23], s[4:5], 0x40
	s_mov_b32 s15, s11
	s_mov_b32 s24, s8
	;; [unrolled: 1-line block ×3, first 2 shown]
	v_lshlrev_b64 v[6:7], 3, v[4:5]
	v_mul_lo_u32 v4, s8, v0
	v_lshlrev_b32_e32 v0, 3, v0
	v_lshlrev_b64 v[4:5], 3, v[4:5]
	s_waitcnt lgkmcnt(0)
	s_cmp_eq_u32 s26, 0
	v_add_co_u32 v6, vcc_lo, s2, v6
	v_add_co_ci_u32_e64 v7, null, s3, v7, vcc_lo
	v_add_co_u32 v4, vcc_lo, s2, v4
	v_add_co_ci_u32_e64 v5, null, s3, v5, vcc_lo
	;; [unrolled: 2-line block ×5, first 2 shown]
	s_cselect_b32 vcc_lo, -1, 0
	s_lshl_b64 s[2:3], s[18:19], 3
	v_cndmask_b32_e32 v1, v0, v7, vcc_lo
	v_cndmask_b32_e32 v2, v6, v8, vcc_lo
	v_lshlrev_b64 v[6:7], 3, v[4:5]
	v_lshlrev_b64 v[8:9], 2, v[4:5]
	v_add_nc_u32_e32 v0, s9, v3
	v_add_co_u32 v1, vcc_lo, v1, s2
	v_add_co_ci_u32_e64 v2, null, s3, v2, vcc_lo
	v_add_co_u32 v3, vcc_lo, s20, v6
	v_add_co_ci_u32_e64 v4, null, s21, v7, vcc_lo
	v_add_co_u32 v5, vcc_lo, s22, v8
	s_lshl_b64 s[0:1], s[0:1], 2
	s_lshl_b64 s[18:19], s[10:11], 2
	;; [unrolled: 1-line block ×5, first 2 shown]
	v_add_co_ci_u32_e64 v6, null, s23, v9, vcc_lo
	s_sub_u32 s0, s0, s18
	s_subb_u32 s1, s1, s19
	s_add_u32 s16, s16, s0
	s_addc_u32 s17, s17, s1
	.p2align	6
.LBB230_5:                              ; =>This Inner Loop Header: Depth=1
	global_load_dwordx2 v[7:8], v[1:2], off
	s_load_dword s0, s[16:17], 0x0
	v_add_co_u32 v1, vcc_lo, v1, s2
	v_add_co_ci_u32_e64 v2, null, s3, v2, vcc_lo
	s_waitcnt lgkmcnt(0)
	s_sub_i32 s0, s0, s10
	s_add_u32 s6, s6, 1
	v_mad_u64_u32 v[9:10], null, s0, s8, v[0:1]
	s_addc_u32 s7, s7, 0
	s_add_u32 s16, s16, 4
	v_cmp_lt_i64_e64 s0, s[6:7], s[12:13]
	s_addc_u32 s17, s17, 0
	global_store_dword v[5:6], v9, off
	v_add_co_u32 v5, vcc_lo, v5, s14
	v_add_co_ci_u32_e64 v6, null, s15, v6, vcc_lo
	s_and_b32 vcc_lo, exec_lo, s0
	s_waitcnt vmcnt(0)
	global_store_dwordx2 v[3:4], v[7:8], off
	v_add_co_u32 v3, s0, v3, s4
	v_add_co_ci_u32_e64 v4, null, s5, v4, s0
	s_cbranch_vccnz .LBB230_5
.LBB230_6:
	s_endpgm
	.section	.rodata,"a",@progbits
	.p2align	6, 0x0
	.amdhsa_kernel _ZN9rocsparseL33bsr2csr_block_per_row_8_32_kernelILj1024ELj32EdliEEv20rocsparse_direction_T3_S2_21rocsparse_index_base_PKT1_PKT2_PKS2_S2_S3_PS4_PS7_PS2_
		.amdhsa_group_segment_fixed_size 0
		.amdhsa_private_segment_fixed_size 0
		.amdhsa_kernarg_size 72
		.amdhsa_user_sgpr_count 6
		.amdhsa_user_sgpr_private_segment_buffer 1
		.amdhsa_user_sgpr_dispatch_ptr 0
		.amdhsa_user_sgpr_queue_ptr 0
		.amdhsa_user_sgpr_kernarg_segment_ptr 1
		.amdhsa_user_sgpr_dispatch_id 0
		.amdhsa_user_sgpr_flat_scratch_init 0
		.amdhsa_user_sgpr_private_segment_size 0
		.amdhsa_wavefront_size32 1
		.amdhsa_uses_dynamic_stack 0
		.amdhsa_system_sgpr_private_segment_wavefront_offset 0
		.amdhsa_system_sgpr_workgroup_id_x 1
		.amdhsa_system_sgpr_workgroup_id_y 0
		.amdhsa_system_sgpr_workgroup_id_z 0
		.amdhsa_system_sgpr_workgroup_info 0
		.amdhsa_system_vgpr_workitem_id 0
		.amdhsa_next_free_vgpr 11
		.amdhsa_next_free_sgpr 27
		.amdhsa_reserve_vcc 1
		.amdhsa_reserve_flat_scratch 0
		.amdhsa_float_round_mode_32 0
		.amdhsa_float_round_mode_16_64 0
		.amdhsa_float_denorm_mode_32 3
		.amdhsa_float_denorm_mode_16_64 3
		.amdhsa_dx10_clamp 1
		.amdhsa_ieee_mode 1
		.amdhsa_fp16_overflow 0
		.amdhsa_workgroup_processor_mode 1
		.amdhsa_memory_ordered 1
		.amdhsa_forward_progress 1
		.amdhsa_shared_vgpr_count 0
		.amdhsa_exception_fp_ieee_invalid_op 0
		.amdhsa_exception_fp_denorm_src 0
		.amdhsa_exception_fp_ieee_div_zero 0
		.amdhsa_exception_fp_ieee_overflow 0
		.amdhsa_exception_fp_ieee_underflow 0
		.amdhsa_exception_fp_ieee_inexact 0
		.amdhsa_exception_int_div_zero 0
	.end_amdhsa_kernel
	.section	.text._ZN9rocsparseL33bsr2csr_block_per_row_8_32_kernelILj1024ELj32EdliEEv20rocsparse_direction_T3_S2_21rocsparse_index_base_PKT1_PKT2_PKS2_S2_S3_PS4_PS7_PS2_,"axG",@progbits,_ZN9rocsparseL33bsr2csr_block_per_row_8_32_kernelILj1024ELj32EdliEEv20rocsparse_direction_T3_S2_21rocsparse_index_base_PKT1_PKT2_PKS2_S2_S3_PS4_PS7_PS2_,comdat
.Lfunc_end230:
	.size	_ZN9rocsparseL33bsr2csr_block_per_row_8_32_kernelILj1024ELj32EdliEEv20rocsparse_direction_T3_S2_21rocsparse_index_base_PKT1_PKT2_PKS2_S2_S3_PS4_PS7_PS2_, .Lfunc_end230-_ZN9rocsparseL33bsr2csr_block_per_row_8_32_kernelILj1024ELj32EdliEEv20rocsparse_direction_T3_S2_21rocsparse_index_base_PKT1_PKT2_PKS2_S2_S3_PS4_PS7_PS2_
                                        ; -- End function
	.set _ZN9rocsparseL33bsr2csr_block_per_row_8_32_kernelILj1024ELj32EdliEEv20rocsparse_direction_T3_S2_21rocsparse_index_base_PKT1_PKT2_PKS2_S2_S3_PS4_PS7_PS2_.num_vgpr, 11
	.set _ZN9rocsparseL33bsr2csr_block_per_row_8_32_kernelILj1024ELj32EdliEEv20rocsparse_direction_T3_S2_21rocsparse_index_base_PKT1_PKT2_PKS2_S2_S3_PS4_PS7_PS2_.num_agpr, 0
	.set _ZN9rocsparseL33bsr2csr_block_per_row_8_32_kernelILj1024ELj32EdliEEv20rocsparse_direction_T3_S2_21rocsparse_index_base_PKT1_PKT2_PKS2_S2_S3_PS4_PS7_PS2_.numbered_sgpr, 27
	.set _ZN9rocsparseL33bsr2csr_block_per_row_8_32_kernelILj1024ELj32EdliEEv20rocsparse_direction_T3_S2_21rocsparse_index_base_PKT1_PKT2_PKS2_S2_S3_PS4_PS7_PS2_.num_named_barrier, 0
	.set _ZN9rocsparseL33bsr2csr_block_per_row_8_32_kernelILj1024ELj32EdliEEv20rocsparse_direction_T3_S2_21rocsparse_index_base_PKT1_PKT2_PKS2_S2_S3_PS4_PS7_PS2_.private_seg_size, 0
	.set _ZN9rocsparseL33bsr2csr_block_per_row_8_32_kernelILj1024ELj32EdliEEv20rocsparse_direction_T3_S2_21rocsparse_index_base_PKT1_PKT2_PKS2_S2_S3_PS4_PS7_PS2_.uses_vcc, 1
	.set _ZN9rocsparseL33bsr2csr_block_per_row_8_32_kernelILj1024ELj32EdliEEv20rocsparse_direction_T3_S2_21rocsparse_index_base_PKT1_PKT2_PKS2_S2_S3_PS4_PS7_PS2_.uses_flat_scratch, 0
	.set _ZN9rocsparseL33bsr2csr_block_per_row_8_32_kernelILj1024ELj32EdliEEv20rocsparse_direction_T3_S2_21rocsparse_index_base_PKT1_PKT2_PKS2_S2_S3_PS4_PS7_PS2_.has_dyn_sized_stack, 0
	.set _ZN9rocsparseL33bsr2csr_block_per_row_8_32_kernelILj1024ELj32EdliEEv20rocsparse_direction_T3_S2_21rocsparse_index_base_PKT1_PKT2_PKS2_S2_S3_PS4_PS7_PS2_.has_recursion, 0
	.set _ZN9rocsparseL33bsr2csr_block_per_row_8_32_kernelILj1024ELj32EdliEEv20rocsparse_direction_T3_S2_21rocsparse_index_base_PKT1_PKT2_PKS2_S2_S3_PS4_PS7_PS2_.has_indirect_call, 0
	.section	.AMDGPU.csdata,"",@progbits
; Kernel info:
; codeLenInByte = 776
; TotalNumSgprs: 29
; NumVgprs: 11
; ScratchSize: 0
; MemoryBound: 0
; FloatMode: 240
; IeeeMode: 1
; LDSByteSize: 0 bytes/workgroup (compile time only)
; SGPRBlocks: 0
; VGPRBlocks: 1
; NumSGPRsForWavesPerEU: 29
; NumVGPRsForWavesPerEU: 11
; Occupancy: 16
; WaveLimiterHint : 0
; COMPUTE_PGM_RSRC2:SCRATCH_EN: 0
; COMPUTE_PGM_RSRC2:USER_SGPR: 6
; COMPUTE_PGM_RSRC2:TRAP_HANDLER: 0
; COMPUTE_PGM_RSRC2:TGID_X_EN: 1
; COMPUTE_PGM_RSRC2:TGID_Y_EN: 0
; COMPUTE_PGM_RSRC2:TGID_Z_EN: 0
; COMPUTE_PGM_RSRC2:TIDIG_COMP_CNT: 0
	.section	.text._ZN9rocsparseL35bsr2csr_block_per_row_33_256_kernelILj1024ELj64ELj32EdliEEv20rocsparse_direction_T4_S2_21rocsparse_index_base_PKT2_PKT3_PKS2_S2_S3_PS4_PS7_PS2_,"axG",@progbits,_ZN9rocsparseL35bsr2csr_block_per_row_33_256_kernelILj1024ELj64ELj32EdliEEv20rocsparse_direction_T4_S2_21rocsparse_index_base_PKT2_PKT3_PKS2_S2_S3_PS4_PS7_PS2_,comdat
	.globl	_ZN9rocsparseL35bsr2csr_block_per_row_33_256_kernelILj1024ELj64ELj32EdliEEv20rocsparse_direction_T4_S2_21rocsparse_index_base_PKT2_PKT3_PKS2_S2_S3_PS4_PS7_PS2_ ; -- Begin function _ZN9rocsparseL35bsr2csr_block_per_row_33_256_kernelILj1024ELj64ELj32EdliEEv20rocsparse_direction_T4_S2_21rocsparse_index_base_PKT2_PKT3_PKS2_S2_S3_PS4_PS7_PS2_
	.p2align	8
	.type	_ZN9rocsparseL35bsr2csr_block_per_row_33_256_kernelILj1024ELj64ELj32EdliEEv20rocsparse_direction_T4_S2_21rocsparse_index_base_PKT2_PKT3_PKS2_S2_S3_PS4_PS7_PS2_,@function
_ZN9rocsparseL35bsr2csr_block_per_row_33_256_kernelILj1024ELj64ELj32EdliEEv20rocsparse_direction_T4_S2_21rocsparse_index_base_PKT2_PKT3_PKS2_S2_S3_PS4_PS7_PS2_: ; @_ZN9rocsparseL35bsr2csr_block_per_row_33_256_kernelILj1024ELj64ELj32EdliEEv20rocsparse_direction_T4_S2_21rocsparse_index_base_PKT2_PKT3_PKS2_S2_S3_PS4_PS7_PS2_
; %bb.0:
	s_load_dwordx2 s[0:1], s[4:5], 0x18
	s_ashr_i32 s7, s6, 31
	s_clause 0x1
	s_load_dwordx2 s[12:13], s[4:5], 0x28
	s_load_dwordx2 s[22:23], s[4:5], 0x38
	s_lshl_b64 s[2:3], s[6:7], 3
	v_or_b32_e32 v1, s6, v0
	s_mov_b32 s15, 0
	s_waitcnt lgkmcnt(0)
	s_add_u32 s0, s0, s2
	s_addc_u32 s1, s1, s3
	s_load_dwordx4 s[8:11], s[0:1], 0x0
	s_mov_b32 s0, exec_lo
	v_cmpx_eq_u32_e32 0, v1
	s_cbranch_execz .LBB231_2
; %bb.1:
	s_mov_b32 s14, s13
	v_mov_b32_e32 v3, 0
	v_mov_b32_e32 v1, s14
	;; [unrolled: 1-line block ×3, first 2 shown]
	global_store_dwordx2 v3, v[1:2], s[22:23]
.LBB231_2:
	s_or_b32 exec_lo, exec_lo, s0
	s_load_dword s14, s[4:5], 0xc
	s_mul_i32 s26, s12, s12
	v_lshrrev_b32_e32 v1, 5, v0
	v_cmp_gt_i32_e64 s1, s12, v1
	s_waitcnt lgkmcnt(0)
	s_sub_u32 s16, s8, s14
	s_subb_u32 s17, s9, 0
	s_mul_hi_u32 s0, s16, s26
	s_mul_i32 s2, s17, s26
	s_sub_u32 s18, s10, s14
	s_subb_u32 s19, s11, 0
	s_add_i32 s21, s0, s2
	s_sub_u32 s35, s18, s16
	s_subb_u32 s34, s19, s17
	s_mul_hi_u32 s0, s35, s12
	s_mul_i32 s2, s34, s12
	s_mul_i32 s20, s16, s26
	s_add_i32 s0, s0, s2
	s_mul_i32 s7, s35, s12
	s_add_u32 s2, s20, s13
	s_addc_u32 s3, s21, 0
	s_add_u32 s24, s2, s7
	s_addc_u32 s25, s3, s0
	s_mul_i32 s3, s12, s6
	s_and_saveexec_b32 s2, s1
	s_cbranch_execz .LBB231_4
; %bb.3:
	v_add_nc_u32_e32 v4, s3, v1
	v_mad_u64_u32 v[2:3], null, s7, v1, s[24:25]
	v_ashrrev_i32_e32 v5, 31, v4
	v_mad_u64_u32 v[6:7], null, s0, v1, v[3:4]
	v_lshlrev_b64 v[4:5], 3, v[4:5]
	v_add_co_u32 v4, vcc_lo, s22, v4
	v_mov_b32_e32 v3, v6
	v_add_co_ci_u32_e64 v5, null, s23, v5, vcc_lo
	global_store_dwordx2 v[4:5], v[2:3], off offset:8
.LBB231_4:
	s_or_b32 exec_lo, exec_lo, s2
	v_or_b32_e32 v12, 32, v1
	v_cmp_gt_i32_e64 s2, s12, v12
	s_and_saveexec_b32 s6, s2
	s_cbranch_execz .LBB231_6
; %bb.5:
	v_mad_u64_u32 v[2:3], null, s7, v12, s[24:25]
	s_ashr_i32 s7, s3, 31
	v_add_co_u32 v4, s3, v1, s3
	v_add_co_ci_u32_e64 v5, null, 0, s7, s3
	v_mad_u64_u32 v[6:7], null, s0, v12, v[3:4]
	v_lshlrev_b64 v[4:5], 3, v[4:5]
	v_add_co_u32 v4, vcc_lo, s22, v4
	v_mov_b32_e32 v3, v6
	v_add_co_ci_u32_e64 v5, null, s23, v5, vcc_lo
	global_store_dwordx2 v[4:5], v[2:3], off offset:264
.LBB231_6:
	s_or_b32 exec_lo, exec_lo, s6
	v_cmp_lt_i64_e64 s0, s[8:9], s[10:11]
	s_and_b32 vcc_lo, exec_lo, s0
	s_cbranch_vccz .LBB231_17
; %bb.7:
	s_clause 0x4
	s_load_dwordx2 s[6:7], s[4:5], 0x20
	s_load_dwordx2 s[22:23], s[4:5], 0x30
	s_load_dword s0, s[4:5], 0x0
	s_load_dwordx2 s[28:29], s[4:5], 0x10
	s_load_dwordx2 s[24:25], s[4:5], 0x40
	v_mul_lo_u32 v4, v1, s12
	v_mov_b32_e32 v5, 0
	v_and_b32_e32 v2, 31, v0
	v_mad_u64_u32 v[13:14], null, v1, s35, 0
	s_mov_b32 s10, s12
	v_mov_b32_e32 v7, v5
	v_mov_b32_e32 v11, v5
	;; [unrolled: 1-line block ×3, first 2 shown]
	v_cmp_gt_i32_e32 vcc_lo, s12, v2
	v_lshlrev_b32_e32 v22, 3, v2
	v_mul_lo_u32 v6, v2, s12
	v_mad_u64_u32 v[16:17], null, v13, s10, 0
	v_lshlrev_b32_e32 v18, 3, v1
	v_or_b32_e32 v3, 32, v2
	s_mov_b32 s27, s15
	s_waitcnt lgkmcnt(0)
	s_cmp_eq_u32 s0, 0
	s_mov_b32 s11, s15
	s_cselect_b32 s0, -1, 0
	s_lshl_b32 s4, s12, 5
	s_and_b32 s30, s1, vcc_lo
	v_add_nc_u32_e32 v8, s4, v4
	v_lshlrev_b64 v[4:5], 3, v[4:5]
	s_and_b32 s31, s2, vcc_lo
	v_add_nc_u32_e32 v10, s4, v6
	v_cmp_gt_i32_e64 s3, s12, v3
	v_lshlrev_b64 v[8:9], 3, v[8:9]
	s_lshl_b64 s[4:5], s[26:27], 3
	v_add_co_u32 v0, vcc_lo, v4, v22
	v_add_co_ci_u32_e64 v5, null, 0, v5, vcc_lo
	v_lshlrev_b64 v[10:11], 3, v[10:11]
	v_add_co_u32 v4, vcc_lo, s28, v0
	v_add_co_ci_u32_e64 v5, null, s29, v5, vcc_lo
	v_add_co_u32 v0, vcc_lo, v8, v22
	v_add_co_ci_u32_e64 v15, null, 0, v9, vcc_lo
	v_lshlrev_b64 v[8:9], 3, v[6:7]
	v_add_co_u32 v6, vcc_lo, s28, v0
	v_mov_b32_e32 v0, v14
	v_mad_u64_u32 v[13:14], null, s35, v12, 0
	v_add_co_ci_u32_e64 v7, null, s29, v15, vcc_lo
	v_mad_u64_u32 v[0:1], null, v1, s34, v[0:1]
	v_mov_b32_e32 v1, v17
	v_add_co_u32 v8, vcc_lo, v18, v8
	v_add_co_ci_u32_e64 v9, null, 0, v9, vcc_lo
	s_lshl_b64 s[8:9], s[8:9], 2
	v_mad_u64_u32 v[0:1], null, v0, s10, v[1:2]
	v_add_co_u32 v8, vcc_lo, s28, v8
	v_add_co_ci_u32_e64 v9, null, s29, v9, vcc_lo
	v_add_co_u32 v10, vcc_lo, v18, v10
	v_mov_b32_e32 v1, v14
	v_mad_u64_u32 v[18:19], null, v13, s10, 0
	v_mov_b32_e32 v17, v0
	v_add_co_ci_u32_e64 v11, null, 0, v11, vcc_lo
	v_mad_u64_u32 v[0:1], null, s34, v12, v[1:2]
	v_lshlrev_b64 v[12:13], 2, v[16:17]
	v_mov_b32_e32 v1, v19
	v_add_co_u32 v10, vcc_lo, s28, v10
	v_add_co_ci_u32_e64 v11, null, s29, v11, vcc_lo
	v_mad_u64_u32 v[0:1], null, v0, s10, v[1:2]
	v_add_co_u32 v1, vcc_lo, s24, v12
	v_add_co_ci_u32_e64 v13, null, s25, v13, vcc_lo
	v_add_co_u32 v12, vcc_lo, v18, s20
	v_add_co_ci_u32_e64 v15, null, s21, v0, vcc_lo
	s_lshl_b64 s[26:27], s[14:15], 2
	v_add_co_u32 v14, vcc_lo, v12, v2
	v_add_co_ci_u32_e64 v15, null, 0, v15, vcc_lo
	s_and_b32 s1, s1, s3
	s_and_b32 s33, s2, s3
	s_lshl_b64 s[2:3], s[20:21], 3
	s_sub_u32 s8, s8, s26
	v_lshlrev_b32_e32 v19, 2, v2
	v_lshlrev_b64 v[20:21], 3, v[14:15]
	s_subb_u32 s9, s9, s27
	s_add_u32 s6, s6, s8
	s_addc_u32 s7, s7, s9
	s_lshl_b64 s[8:9], s[20:21], 2
	v_add_co_u32 v12, vcc_lo, 0x80, v1
	v_add_co_u32 v14, s8, s8, v19
	v_mov_b32_e32 v19, v0
	v_add_co_ci_u32_e64 v13, null, 0, v13, vcc_lo
	v_add_co_u32 v0, vcc_lo, s22, v20
	v_lshlrev_b64 v[16:17], 3, v[16:17]
	v_add_co_ci_u32_e64 v1, null, s23, v21, vcc_lo
	v_lshlrev_b64 v[18:19], 2, v[18:19]
	v_add_co_u32 v0, vcc_lo, 0x100, v0
	v_add_co_ci_u32_e64 v1, null, 0, v1, vcc_lo
	v_add_co_u32 v20, vcc_lo, v16, v22
	v_add_co_ci_u32_e64 v21, null, 0, v17, vcc_lo
	;; [unrolled: 2-line block ×3, first 2 shown]
	v_add_co_u32 v18, vcc_lo, s2, v20
	v_add_co_ci_u32_e64 v15, null, s9, 0, s8
	v_add_co_ci_u32_e64 v19, null, s3, v21, vcc_lo
	s_lshl_b64 s[8:9], s[10:11], 2
	s_lshl_b64 s[10:11], s[10:11], 3
	s_add_u32 s15, s22, 0x100
	s_addc_u32 s20, s23, 0
	s_branch .LBB231_9
.LBB231_8:                              ;   in Loop: Header=BB231_9 Depth=1
	s_or_b32 exec_lo, exec_lo, s21
	v_add_co_u32 v4, vcc_lo, v4, s4
	v_add_co_ci_u32_e64 v5, null, s5, v5, vcc_lo
	v_add_co_u32 v6, vcc_lo, v6, s4
	v_add_co_ci_u32_e64 v7, null, s5, v7, vcc_lo
	v_add_co_u32 v8, vcc_lo, v8, s4
	s_add_u32 s16, s16, 1
	v_add_co_ci_u32_e64 v9, null, s5, v9, vcc_lo
	v_add_co_u32 v10, vcc_lo, v10, s4
	s_addc_u32 s17, s17, 0
	v_add_co_ci_u32_e64 v11, null, s5, v11, vcc_lo
	v_add_co_u32 v14, vcc_lo, v14, s8
	v_cmp_ge_i64_e64 s21, s[16:17], s[18:19]
	v_add_co_ci_u32_e64 v15, null, s9, v15, vcc_lo
	v_add_co_u32 v0, vcc_lo, v0, s10
	s_add_u32 s6, s6, 4
	v_add_co_ci_u32_e64 v1, null, s11, v1, vcc_lo
	s_addc_u32 s7, s7, 0
	s_add_u32 s15, s15, s10
	s_addc_u32 s20, s20, s11
	s_and_b32 vcc_lo, exec_lo, s21
	s_cbranch_vccnz .LBB231_17
.LBB231_9:                              ; =>This Inner Loop Header: Depth=1
	s_load_dword s21, s[6:7], 0x0
	s_waitcnt lgkmcnt(0)
	s_sub_i32 s21, s21, s14
	s_mul_i32 s21, s21, s12
	s_add_i32 s21, s21, s13
	v_add_nc_u32_e32 v20, s21, v2
	s_and_saveexec_b32 s22, s30
	s_cbranch_execnz .LBB231_13
; %bb.10:                               ;   in Loop: Header=BB231_9 Depth=1
	s_or_b32 exec_lo, exec_lo, s22
	v_add_nc_u32_e32 v21, s21, v3
	s_and_saveexec_b32 s21, s1
	s_cbranch_execnz .LBB231_14
.LBB231_11:                             ;   in Loop: Header=BB231_9 Depth=1
	s_or_b32 exec_lo, exec_lo, s21
	s_and_saveexec_b32 s21, s31
	s_cbranch_execnz .LBB231_15
.LBB231_12:                             ;   in Loop: Header=BB231_9 Depth=1
	s_or_b32 exec_lo, exec_lo, s21
	s_and_saveexec_b32 s21, s33
	s_cbranch_execz .LBB231_8
	s_branch .LBB231_16
.LBB231_13:                             ;   in Loop: Header=BB231_9 Depth=1
	v_add_co_u32 v21, vcc_lo, v4, s2
	v_add_co_ci_u32_e64 v22, null, s3, v5, vcc_lo
	v_add_co_u32 v23, vcc_lo, v8, s2
	v_add_co_ci_u32_e64 v24, null, s3, v9, vcc_lo
	v_cndmask_b32_e64 v21, v23, v21, s0
	v_add_co_u32 v23, vcc_lo, v12, v14
	v_cndmask_b32_e64 v22, v24, v22, s0
	v_add_co_ci_u32_e64 v24, null, v13, v15, vcc_lo
	v_add_co_u32 v25, vcc_lo, s15, v18
	global_load_dwordx2 v[21:22], v[21:22], off
	v_add_co_ci_u32_e64 v26, null, s20, v19, vcc_lo
	global_store_dword v[23:24], v20, off offset:-128
	s_waitcnt vmcnt(0)
	global_store_dwordx2 v[25:26], v[21:22], off offset:-256
	s_or_b32 exec_lo, exec_lo, s22
	v_add_nc_u32_e32 v21, s21, v3
	s_and_saveexec_b32 s21, s1
	s_cbranch_execz .LBB231_11
.LBB231_14:                             ;   in Loop: Header=BB231_9 Depth=1
	v_add_co_u32 v22, vcc_lo, v4, s2
	v_add_co_ci_u32_e64 v23, null, s3, v5, vcc_lo
	v_add_co_u32 v22, vcc_lo, 0x100, v22
	v_add_co_ci_u32_e64 v23, null, 0, v23, vcc_lo
	v_add_co_u32 v24, vcc_lo, v10, s2
	v_add_co_ci_u32_e64 v25, null, s3, v11, vcc_lo
	v_cndmask_b32_e64 v22, v24, v22, s0
	v_add_co_u32 v24, vcc_lo, v12, v14
	v_cndmask_b32_e64 v23, v25, v23, s0
	v_add_co_ci_u32_e64 v25, null, v13, v15, vcc_lo
	v_add_co_u32 v26, vcc_lo, s15, v18
	global_load_dwordx2 v[22:23], v[22:23], off
	v_add_co_ci_u32_e64 v27, null, s20, v19, vcc_lo
	global_store_dword v[24:25], v21, off
	s_waitcnt vmcnt(0)
	global_store_dwordx2 v[26:27], v[22:23], off
	s_or_b32 exec_lo, exec_lo, s21
	s_and_saveexec_b32 s21, s31
	s_cbranch_execz .LBB231_12
.LBB231_15:                             ;   in Loop: Header=BB231_9 Depth=1
	v_add_co_u32 v22, vcc_lo, v8, s2
	v_add_co_ci_u32_e64 v23, null, s3, v9, vcc_lo
	v_add_co_u32 v24, vcc_lo, v6, s2
	v_add_co_ci_u32_e64 v25, null, s3, v7, vcc_lo
	;; [unrolled: 2-line block ×3, first 2 shown]
	v_cndmask_b32_e64 v22, v22, v24, s0
	v_add_co_u32 v24, vcc_lo, v16, v14
	v_cndmask_b32_e64 v23, v23, v25, s0
	v_add_co_ci_u32_e64 v25, null, v17, v15, vcc_lo
	global_load_dwordx2 v[22:23], v[22:23], off
	global_store_dword v[24:25], v20, off
	s_waitcnt vmcnt(0)
	global_store_dwordx2 v[0:1], v[22:23], off offset:-256
	s_or_b32 exec_lo, exec_lo, s21
	s_and_saveexec_b32 s21, s33
	s_cbranch_execz .LBB231_8
.LBB231_16:                             ;   in Loop: Header=BB231_9 Depth=1
	v_add_co_u32 v20, vcc_lo, v6, s2
	v_add_co_ci_u32_e64 v22, null, s3, v7, vcc_lo
	v_add_co_u32 v24, vcc_lo, v10, s2
	v_add_co_ci_u32_e64 v23, null, s3, v11, vcc_lo
	v_cndmask_b32_e64 v23, v23, v22, s0
	v_cndmask_b32_e64 v22, v24, v20, s0
	v_add_co_u32 v24, vcc_lo, v16, v14
	v_add_co_ci_u32_e64 v25, null, v17, v15, vcc_lo
	global_load_dwordx2 v[22:23], v[22:23], off offset:256
	global_store_dword v[24:25], v21, off offset:128
	s_waitcnt vmcnt(0)
	global_store_dwordx2 v[0:1], v[22:23], off
	s_branch .LBB231_8
.LBB231_17:
	s_endpgm
	.section	.rodata,"a",@progbits
	.p2align	6, 0x0
	.amdhsa_kernel _ZN9rocsparseL35bsr2csr_block_per_row_33_256_kernelILj1024ELj64ELj32EdliEEv20rocsparse_direction_T4_S2_21rocsparse_index_base_PKT2_PKT3_PKS2_S2_S3_PS4_PS7_PS2_
		.amdhsa_group_segment_fixed_size 0
		.amdhsa_private_segment_fixed_size 0
		.amdhsa_kernarg_size 72
		.amdhsa_user_sgpr_count 6
		.amdhsa_user_sgpr_private_segment_buffer 1
		.amdhsa_user_sgpr_dispatch_ptr 0
		.amdhsa_user_sgpr_queue_ptr 0
		.amdhsa_user_sgpr_kernarg_segment_ptr 1
		.amdhsa_user_sgpr_dispatch_id 0
		.amdhsa_user_sgpr_flat_scratch_init 0
		.amdhsa_user_sgpr_private_segment_size 0
		.amdhsa_wavefront_size32 1
		.amdhsa_uses_dynamic_stack 0
		.amdhsa_system_sgpr_private_segment_wavefront_offset 0
		.amdhsa_system_sgpr_workgroup_id_x 1
		.amdhsa_system_sgpr_workgroup_id_y 0
		.amdhsa_system_sgpr_workgroup_id_z 0
		.amdhsa_system_sgpr_workgroup_info 0
		.amdhsa_system_vgpr_workitem_id 0
		.amdhsa_next_free_vgpr 28
		.amdhsa_next_free_sgpr 36
		.amdhsa_reserve_vcc 1
		.amdhsa_reserve_flat_scratch 0
		.amdhsa_float_round_mode_32 0
		.amdhsa_float_round_mode_16_64 0
		.amdhsa_float_denorm_mode_32 3
		.amdhsa_float_denorm_mode_16_64 3
		.amdhsa_dx10_clamp 1
		.amdhsa_ieee_mode 1
		.amdhsa_fp16_overflow 0
		.amdhsa_workgroup_processor_mode 1
		.amdhsa_memory_ordered 1
		.amdhsa_forward_progress 1
		.amdhsa_shared_vgpr_count 0
		.amdhsa_exception_fp_ieee_invalid_op 0
		.amdhsa_exception_fp_denorm_src 0
		.amdhsa_exception_fp_ieee_div_zero 0
		.amdhsa_exception_fp_ieee_overflow 0
		.amdhsa_exception_fp_ieee_underflow 0
		.amdhsa_exception_fp_ieee_inexact 0
		.amdhsa_exception_int_div_zero 0
	.end_amdhsa_kernel
	.section	.text._ZN9rocsparseL35bsr2csr_block_per_row_33_256_kernelILj1024ELj64ELj32EdliEEv20rocsparse_direction_T4_S2_21rocsparse_index_base_PKT2_PKT3_PKS2_S2_S3_PS4_PS7_PS2_,"axG",@progbits,_ZN9rocsparseL35bsr2csr_block_per_row_33_256_kernelILj1024ELj64ELj32EdliEEv20rocsparse_direction_T4_S2_21rocsparse_index_base_PKT2_PKT3_PKS2_S2_S3_PS4_PS7_PS2_,comdat
.Lfunc_end231:
	.size	_ZN9rocsparseL35bsr2csr_block_per_row_33_256_kernelILj1024ELj64ELj32EdliEEv20rocsparse_direction_T4_S2_21rocsparse_index_base_PKT2_PKT3_PKS2_S2_S3_PS4_PS7_PS2_, .Lfunc_end231-_ZN9rocsparseL35bsr2csr_block_per_row_33_256_kernelILj1024ELj64ELj32EdliEEv20rocsparse_direction_T4_S2_21rocsparse_index_base_PKT2_PKT3_PKS2_S2_S3_PS4_PS7_PS2_
                                        ; -- End function
	.set _ZN9rocsparseL35bsr2csr_block_per_row_33_256_kernelILj1024ELj64ELj32EdliEEv20rocsparse_direction_T4_S2_21rocsparse_index_base_PKT2_PKT3_PKS2_S2_S3_PS4_PS7_PS2_.num_vgpr, 28
	.set _ZN9rocsparseL35bsr2csr_block_per_row_33_256_kernelILj1024ELj64ELj32EdliEEv20rocsparse_direction_T4_S2_21rocsparse_index_base_PKT2_PKT3_PKS2_S2_S3_PS4_PS7_PS2_.num_agpr, 0
	.set _ZN9rocsparseL35bsr2csr_block_per_row_33_256_kernelILj1024ELj64ELj32EdliEEv20rocsparse_direction_T4_S2_21rocsparse_index_base_PKT2_PKT3_PKS2_S2_S3_PS4_PS7_PS2_.numbered_sgpr, 36
	.set _ZN9rocsparseL35bsr2csr_block_per_row_33_256_kernelILj1024ELj64ELj32EdliEEv20rocsparse_direction_T4_S2_21rocsparse_index_base_PKT2_PKT3_PKS2_S2_S3_PS4_PS7_PS2_.num_named_barrier, 0
	.set _ZN9rocsparseL35bsr2csr_block_per_row_33_256_kernelILj1024ELj64ELj32EdliEEv20rocsparse_direction_T4_S2_21rocsparse_index_base_PKT2_PKT3_PKS2_S2_S3_PS4_PS7_PS2_.private_seg_size, 0
	.set _ZN9rocsparseL35bsr2csr_block_per_row_33_256_kernelILj1024ELj64ELj32EdliEEv20rocsparse_direction_T4_S2_21rocsparse_index_base_PKT2_PKT3_PKS2_S2_S3_PS4_PS7_PS2_.uses_vcc, 1
	.set _ZN9rocsparseL35bsr2csr_block_per_row_33_256_kernelILj1024ELj64ELj32EdliEEv20rocsparse_direction_T4_S2_21rocsparse_index_base_PKT2_PKT3_PKS2_S2_S3_PS4_PS7_PS2_.uses_flat_scratch, 0
	.set _ZN9rocsparseL35bsr2csr_block_per_row_33_256_kernelILj1024ELj64ELj32EdliEEv20rocsparse_direction_T4_S2_21rocsparse_index_base_PKT2_PKT3_PKS2_S2_S3_PS4_PS7_PS2_.has_dyn_sized_stack, 0
	.set _ZN9rocsparseL35bsr2csr_block_per_row_33_256_kernelILj1024ELj64ELj32EdliEEv20rocsparse_direction_T4_S2_21rocsparse_index_base_PKT2_PKT3_PKS2_S2_S3_PS4_PS7_PS2_.has_recursion, 0
	.set _ZN9rocsparseL35bsr2csr_block_per_row_33_256_kernelILj1024ELj64ELj32EdliEEv20rocsparse_direction_T4_S2_21rocsparse_index_base_PKT2_PKT3_PKS2_S2_S3_PS4_PS7_PS2_.has_indirect_call, 0
	.section	.AMDGPU.csdata,"",@progbits
; Kernel info:
; codeLenInByte = 1768
; TotalNumSgprs: 38
; NumVgprs: 28
; ScratchSize: 0
; MemoryBound: 0
; FloatMode: 240
; IeeeMode: 1
; LDSByteSize: 0 bytes/workgroup (compile time only)
; SGPRBlocks: 0
; VGPRBlocks: 3
; NumSGPRsForWavesPerEU: 38
; NumVGPRsForWavesPerEU: 28
; Occupancy: 16
; WaveLimiterHint : 1
; COMPUTE_PGM_RSRC2:SCRATCH_EN: 0
; COMPUTE_PGM_RSRC2:USER_SGPR: 6
; COMPUTE_PGM_RSRC2:TRAP_HANDLER: 0
; COMPUTE_PGM_RSRC2:TGID_X_EN: 1
; COMPUTE_PGM_RSRC2:TGID_Y_EN: 0
; COMPUTE_PGM_RSRC2:TGID_Z_EN: 0
; COMPUTE_PGM_RSRC2:TIDIG_COMP_CNT: 0
	.section	.text._ZN9rocsparseL35bsr2csr_block_per_row_33_256_kernelILj1024ELj128ELj32EdliEEv20rocsparse_direction_T4_S2_21rocsparse_index_base_PKT2_PKT3_PKS2_S2_S3_PS4_PS7_PS2_,"axG",@progbits,_ZN9rocsparseL35bsr2csr_block_per_row_33_256_kernelILj1024ELj128ELj32EdliEEv20rocsparse_direction_T4_S2_21rocsparse_index_base_PKT2_PKT3_PKS2_S2_S3_PS4_PS7_PS2_,comdat
	.globl	_ZN9rocsparseL35bsr2csr_block_per_row_33_256_kernelILj1024ELj128ELj32EdliEEv20rocsparse_direction_T4_S2_21rocsparse_index_base_PKT2_PKT3_PKS2_S2_S3_PS4_PS7_PS2_ ; -- Begin function _ZN9rocsparseL35bsr2csr_block_per_row_33_256_kernelILj1024ELj128ELj32EdliEEv20rocsparse_direction_T4_S2_21rocsparse_index_base_PKT2_PKT3_PKS2_S2_S3_PS4_PS7_PS2_
	.p2align	8
	.type	_ZN9rocsparseL35bsr2csr_block_per_row_33_256_kernelILj1024ELj128ELj32EdliEEv20rocsparse_direction_T4_S2_21rocsparse_index_base_PKT2_PKT3_PKS2_S2_S3_PS4_PS7_PS2_,@function
_ZN9rocsparseL35bsr2csr_block_per_row_33_256_kernelILj1024ELj128ELj32EdliEEv20rocsparse_direction_T4_S2_21rocsparse_index_base_PKT2_PKT3_PKS2_S2_S3_PS4_PS7_PS2_: ; @_ZN9rocsparseL35bsr2csr_block_per_row_33_256_kernelILj1024ELj128ELj32EdliEEv20rocsparse_direction_T4_S2_21rocsparse_index_base_PKT2_PKT3_PKS2_S2_S3_PS4_PS7_PS2_
; %bb.0:
	s_load_dwordx2 s[0:1], s[4:5], 0x18
	s_ashr_i32 s7, s6, 31
	s_clause 0x1
	s_load_dwordx2 s[12:13], s[4:5], 0x28
	s_load_dwordx2 s[20:21], s[4:5], 0x38
	s_lshl_b64 s[2:3], s[6:7], 3
	v_or_b32_e32 v1, s6, v0
	s_mov_b32 s15, 0
	s_waitcnt lgkmcnt(0)
	s_add_u32 s0, s0, s2
	s_addc_u32 s1, s1, s3
	s_load_dwordx4 s[8:11], s[0:1], 0x0
	s_mov_b32 s0, exec_lo
	v_cmpx_eq_u32_e32 0, v1
	s_cbranch_execz .LBB232_2
; %bb.1:
	s_mov_b32 s14, s13
	v_mov_b32_e32 v3, 0
	v_mov_b32_e32 v1, s14
	;; [unrolled: 1-line block ×3, first 2 shown]
	global_store_dwordx2 v3, v[1:2], s[20:21]
.LBB232_2:
	s_or_b32 exec_lo, exec_lo, s0
	s_load_dword s14, s[4:5], 0xc
	s_mul_i32 s24, s12, s12
	v_lshrrev_b32_e32 v1, 5, v0
	s_mul_i32 s7, s12, s6
	v_cmp_gt_i32_e64 s1, s12, v1
	s_waitcnt lgkmcnt(0)
	s_sub_u32 s16, s8, s14
	s_subb_u32 s17, s9, 0
	s_mul_hi_u32 s0, s16, s24
	s_mul_i32 s2, s17, s24
	s_sub_u32 s18, s10, s14
	s_subb_u32 s19, s11, 0
	s_add_i32 s23, s0, s2
	s_sub_u32 s49, s18, s16
	s_subb_u32 s48, s19, s17
	s_mul_hi_u32 s0, s49, s12
	s_mul_i32 s2, s48, s12
	s_mul_i32 s22, s16, s24
	s_add_i32 s0, s0, s2
	s_mul_i32 s25, s49, s12
	s_add_u32 s2, s22, s13
	s_addc_u32 s3, s23, 0
	s_add_u32 s26, s2, s25
	s_addc_u32 s27, s3, s0
	s_and_saveexec_b32 s2, s1
	s_cbranch_execz .LBB232_4
; %bb.3:
	v_add_nc_u32_e32 v4, s7, v1
	v_mad_u64_u32 v[2:3], null, s25, v1, s[26:27]
	v_ashrrev_i32_e32 v5, 31, v4
	v_mad_u64_u32 v[6:7], null, s0, v1, v[3:4]
	v_lshlrev_b64 v[4:5], 3, v[4:5]
	v_add_co_u32 v4, vcc_lo, s20, v4
	v_mov_b32_e32 v3, v6
	v_add_co_ci_u32_e64 v5, null, s21, v5, vcc_lo
	global_store_dwordx2 v[4:5], v[2:3], off offset:8
.LBB232_4:
	s_or_b32 exec_lo, exec_lo, s2
	v_or_b32_e32 v4, 32, v1
	v_cmp_gt_i32_e64 s2, s12, v4
	s_and_saveexec_b32 s3, s2
	s_cbranch_execz .LBB232_6
; %bb.5:
	v_mad_u64_u32 v[2:3], null, s25, v4, s[26:27]
	s_ashr_i32 s6, s7, 31
	v_add_co_u32 v5, s28, v1, s7
	v_add_co_ci_u32_e64 v6, null, 0, s6, s28
	v_mad_u64_u32 v[7:8], null, s0, v4, v[3:4]
	v_lshlrev_b64 v[5:6], 3, v[5:6]
	v_add_co_u32 v5, vcc_lo, s20, v5
	v_mov_b32_e32 v3, v7
	v_add_co_ci_u32_e64 v6, null, s21, v6, vcc_lo
	global_store_dwordx2 v[5:6], v[2:3], off offset:264
.LBB232_6:
	s_or_b32 exec_lo, exec_lo, s3
	v_or_b32_e32 v5, 64, v1
	v_cmp_gt_i32_e64 s3, s12, v5
	s_and_saveexec_b32 s6, s3
	s_cbranch_execz .LBB232_8
; %bb.7:
	v_mad_u64_u32 v[2:3], null, s25, v5, s[26:27]
	s_ashr_i32 s28, s7, 31
	v_add_co_u32 v6, s29, v1, s7
	v_add_co_ci_u32_e64 v7, null, 0, s28, s29
	v_mad_u64_u32 v[8:9], null, s0, v5, v[3:4]
	v_lshlrev_b64 v[6:7], 3, v[6:7]
	v_add_co_u32 v6, vcc_lo, s20, v6
	v_mov_b32_e32 v3, v8
	v_add_co_ci_u32_e64 v7, null, s21, v7, vcc_lo
	global_store_dwordx2 v[6:7], v[2:3], off offset:520
.LBB232_8:
	;; [unrolled: 17-line block ×3, first 2 shown]
	s_or_b32 exec_lo, exec_lo, s28
	v_cmp_lt_i64_e64 s0, s[8:9], s[10:11]
	s_and_b32 vcc_lo, exec_lo, s0
	s_cbranch_vccz .LBB232_45
; %bb.11:
	s_clause 0x4
	s_load_dwordx2 s[26:27], s[4:5], 0x20
	s_load_dwordx2 s[10:11], s[4:5], 0x30
	s_load_dword s0, s[4:5], 0x0
	s_load_dwordx2 s[46:47], s[4:5], 0x10
	s_load_dwordx2 s[20:21], s[4:5], 0x40
	v_and_b32_e32 v16, 31, v0
	v_mul_lo_u32 v2, v1, s12
	v_mov_b32_e32 v3, 0
	v_lshlrev_b32_e32 v15, 3, v1
	s_mov_b32 s28, s12
	v_mul_lo_u32 v7, v16, s12
	v_cmp_gt_i32_e32 vcc_lo, s12, v16
	v_mov_b32_e32 v8, v3
	v_mov_b32_e32 v10, v3
	;; [unrolled: 1-line block ×7, first 2 shown]
	v_lshlrev_b32_e32 v0, 3, v16
	v_or_b32_e32 v17, 32, v16
	v_or_b32_e32 v18, 64, v16
	s_waitcnt lgkmcnt(0)
	s_cmp_eq_u32 s0, 0
	v_or_b32_e32 v19, 0x60, v16
	s_cselect_b32 s0, -1, 0
	s_lshl_b32 s42, s12, 5
	s_and_b32 s30, s1, vcc_lo
	v_add_nc_u32_e32 v9, s42, v7
	v_add_nc_u32_e32 v22, s42, v2
	v_lshlrev_b64 v[2:3], 3, v[2:3]
	s_and_b32 s34, s2, vcc_lo
	s_and_b32 s38, s3, vcc_lo
	v_add_nc_u32_e32 v11, s42, v9
	v_add_nc_u32_e32 v24, s42, v22
	v_cmp_gt_i32_e64 s4, s12, v17
	v_cmp_gt_i32_e64 s5, s12, v18
	;; [unrolled: 1-line block ×3, first 2 shown]
	v_add_nc_u32_e32 v13, s42, v11
	v_add_nc_u32_e32 v26, s42, v24
	s_and_b32 s42, s6, vcc_lo
	v_add_co_u32 v20, vcc_lo, v2, v0
	v_add_co_ci_u32_e64 v21, null, 0, v3, vcc_lo
	v_lshlrev_b64 v[2:3], 3, v[22:23]
	v_lshlrev_b64 v[24:25], 3, v[24:25]
	s_and_b32 s35, s2, s4
	s_and_b32 s36, s2, s5
	;; [unrolled: 1-line block ×4, first 2 shown]
	v_add_co_u32 v22, vcc_lo, v2, v0
	v_add_co_ci_u32_e64 v23, null, 0, v3, vcc_lo
	v_lshlrev_b64 v[2:3], 3, v[26:27]
	v_add_co_u32 v24, vcc_lo, v24, v0
	v_add_co_ci_u32_e64 v25, null, 0, v25, vcc_lo
	s_and_b32 s40, s3, s5
	v_add_co_u32 v26, vcc_lo, v2, v0
	v_add_co_ci_u32_e64 v27, null, 0, v3, vcc_lo
	v_lshlrev_b64 v[2:3], 3, v[7:8]
	v_lshlrev_b64 v[7:8], 3, v[9:10]
	v_mad_u64_u32 v[9:10], null, v1, s49, 0
	s_and_b32 s41, s3, s7
	s_lshl_b64 s[2:3], s[22:23], 3
	v_add_co_u32 v28, vcc_lo, v15, v2
	v_add_co_ci_u32_e64 v29, null, 0, v3, vcc_lo
	v_add_co_u32 v30, vcc_lo, v15, v7
	v_add_co_ci_u32_e64 v31, null, 0, v8, vcc_lo
	v_lshlrev_b64 v[2:3], 3, v[11:12]
	v_mad_u64_u32 v[7:8], null, v9, s28, s[22:23]
	v_mov_b32_e32 v0, v10
	v_lshlrev_b64 v[9:10], 3, v[13:14]
	v_mad_u64_u32 v[12:13], null, s49, v5, 0
	v_add_co_u32 v32, vcc_lo, v15, v2
	v_mad_u64_u32 v[0:1], null, v1, s48, v[0:1]
	v_add_co_ci_u32_e64 v33, null, 0, v3, vcc_lo
	v_mov_b32_e32 v1, v8
	v_add_co_u32 v34, vcc_lo, v15, v9
	v_mad_u64_u32 v[8:9], null, s49, v6, 0
	v_add_co_ci_u32_e64 v35, null, 0, v10, vcc_lo
	v_mad_u64_u32 v[0:1], null, v0, s28, v[1:2]
	v_add_co_u32 v2, vcc_lo, v7, v16
	v_mov_b32_e32 v7, v9
	v_mad_u64_u32 v[8:9], null, v8, s28, s[22:23]
	v_mad_u64_u32 v[10:11], null, s49, v4, 0
	v_add_co_ci_u32_e64 v3, null, 0, v0, vcc_lo
	s_and_b32 s31, s1, s4
	s_and_b32 s33, s1, s5
	v_mad_u64_u32 v[6:7], null, s48, v6, v[7:8]
	v_mad_u64_u32 v[14:15], null, v10, s28, s[22:23]
	v_mov_b32_e32 v7, v9
	v_mad_u64_u32 v[9:10], null, s48, v4, v[11:12]
	v_mov_b32_e32 v4, v13
	v_mad_u64_u32 v[10:11], null, v12, s28, s[22:23]
	v_mad_u64_u32 v[6:7], null, v6, s28, v[7:8]
	;; [unrolled: 1-line block ×3, first 2 shown]
	v_mov_b32_e32 v12, v15
	v_add_co_u32 v7, vcc_lo, v8, v16
	v_mov_b32_e32 v5, v11
	v_add_co_ci_u32_e64 v8, null, 0, v6, vcc_lo
	v_mad_u64_u32 v[12:13], null, v9, s28, v[12:13]
	v_mad_u64_u32 v[4:5], null, v4, s28, v[5:6]
	v_add_co_u32 v11, vcc_lo, v14, v16
	s_and_b32 s1, s1, s7
	s_and_b32 s43, s6, s4
	v_add_co_ci_u32_e64 v12, null, 0, v12, vcc_lo
	v_add_co_u32 v14, vcc_lo, v10, v16
	v_add_co_ci_u32_e64 v15, null, 0, v4, vcc_lo
	s_and_b32 s44, s6, s5
	s_and_b32 s45, s6, s7
	s_mov_b32 s25, s15
	s_add_u32 s46, s46, s2
	s_addc_u32 s47, s47, s3
	s_lshl_b64 s[4:5], s[8:9], 2
	s_lshl_b64 s[6:7], s[14:15], 2
	;; [unrolled: 1-line block ×3, first 2 shown]
	v_lshlrev_b64 v[0:1], 2, v[2:3]
	v_lshlrev_b64 v[2:3], 3, v[2:3]
	;; [unrolled: 1-line block ×8, first 2 shown]
	s_sub_u32 s4, s4, s6
	s_mov_b32 s29, s15
	s_subb_u32 s5, s5, s7
	s_add_u32 s4, s26, s4
	s_addc_u32 s5, s27, s5
	s_lshl_b64 s[6:7], s[28:29], 2
	s_lshl_b64 s[8:9], s[28:29], 3
	s_branch .LBB232_13
.LBB232_12:                             ;   in Loop: Header=BB232_13 Depth=1
	s_or_b32 exec_lo, exec_lo, s15
	s_add_u32 s16, s16, 1
	s_addc_u32 s17, s17, 0
	s_add_u32 s46, s46, s2
	s_addc_u32 s47, s47, s3
	v_cmp_ge_i64_e64 s15, s[16:17], s[18:19]
	s_add_u32 s4, s4, 4
	s_addc_u32 s5, s5, 0
	s_add_u32 s20, s20, s6
	s_addc_u32 s21, s21, s7
	;; [unrolled: 2-line block ×3, first 2 shown]
	s_and_b32 vcc_lo, exec_lo, s15
	s_cbranch_vccnz .LBB232_45
.LBB232_13:                             ; =>This Inner Loop Header: Depth=1
	s_load_dword s15, s[4:5], 0x0
	s_waitcnt lgkmcnt(0)
	s_sub_i32 s15, s15, s14
	s_mul_i32 s15, s15, s12
	s_add_i32 s15, s15, s13
	v_add_nc_u32_e32 v39, s15, v16
	s_and_saveexec_b32 s22, s30
	s_cbranch_execnz .LBB232_29
; %bb.14:                               ;   in Loop: Header=BB232_13 Depth=1
	s_or_b32 exec_lo, exec_lo, s22
	v_add_nc_u32_e32 v38, s15, v17
	s_and_saveexec_b32 s22, s31
	s_cbranch_execnz .LBB232_30
.LBB232_15:                             ;   in Loop: Header=BB232_13 Depth=1
	s_or_b32 exec_lo, exec_lo, s22
	v_add_nc_u32_e32 v36, s15, v18
	s_and_saveexec_b32 s22, s33
	s_cbranch_execnz .LBB232_31
.LBB232_16:                             ;   in Loop: Header=BB232_13 Depth=1
	s_or_b32 exec_lo, exec_lo, s22
	v_add_nc_u32_e32 v37, s15, v19
	s_and_saveexec_b32 s15, s1
	s_cbranch_execnz .LBB232_32
.LBB232_17:                             ;   in Loop: Header=BB232_13 Depth=1
	s_or_b32 exec_lo, exec_lo, s15
	s_and_saveexec_b32 s15, s34
	s_cbranch_execnz .LBB232_33
.LBB232_18:                             ;   in Loop: Header=BB232_13 Depth=1
	s_or_b32 exec_lo, exec_lo, s15
	s_and_saveexec_b32 s15, s35
	s_cbranch_execnz .LBB232_34
.LBB232_19:                             ;   in Loop: Header=BB232_13 Depth=1
	s_or_b32 exec_lo, exec_lo, s15
	s_and_saveexec_b32 s15, s36
	s_cbranch_execnz .LBB232_35
.LBB232_20:                             ;   in Loop: Header=BB232_13 Depth=1
	s_or_b32 exec_lo, exec_lo, s15
	s_and_saveexec_b32 s15, s37
	s_cbranch_execnz .LBB232_36
.LBB232_21:                             ;   in Loop: Header=BB232_13 Depth=1
	s_or_b32 exec_lo, exec_lo, s15
	s_and_saveexec_b32 s15, s38
	s_cbranch_execnz .LBB232_37
.LBB232_22:                             ;   in Loop: Header=BB232_13 Depth=1
	s_or_b32 exec_lo, exec_lo, s15
	s_and_saveexec_b32 s15, s39
	s_cbranch_execnz .LBB232_38
.LBB232_23:                             ;   in Loop: Header=BB232_13 Depth=1
	s_or_b32 exec_lo, exec_lo, s15
	s_and_saveexec_b32 s15, s40
	s_cbranch_execnz .LBB232_39
.LBB232_24:                             ;   in Loop: Header=BB232_13 Depth=1
	s_or_b32 exec_lo, exec_lo, s15
	s_and_saveexec_b32 s15, s41
	s_cbranch_execnz .LBB232_40
.LBB232_25:                             ;   in Loop: Header=BB232_13 Depth=1
	s_or_b32 exec_lo, exec_lo, s15
	s_and_saveexec_b32 s15, s42
	s_cbranch_execnz .LBB232_41
.LBB232_26:                             ;   in Loop: Header=BB232_13 Depth=1
	s_or_b32 exec_lo, exec_lo, s15
	s_and_saveexec_b32 s15, s43
	s_cbranch_execnz .LBB232_42
.LBB232_27:                             ;   in Loop: Header=BB232_13 Depth=1
	s_or_b32 exec_lo, exec_lo, s15
	s_and_saveexec_b32 s15, s44
	s_cbranch_execnz .LBB232_43
.LBB232_28:                             ;   in Loop: Header=BB232_13 Depth=1
	s_or_b32 exec_lo, exec_lo, s15
	s_and_saveexec_b32 s15, s45
	s_cbranch_execz .LBB232_12
	s_branch .LBB232_44
.LBB232_29:                             ;   in Loop: Header=BB232_13 Depth=1
	v_add_co_u32 v36, vcc_lo, s46, v20
	v_add_co_ci_u32_e64 v37, null, s47, v21, vcc_lo
	v_add_co_u32 v38, vcc_lo, s46, v28
	v_add_co_ci_u32_e64 v40, null, s47, v29, vcc_lo
	v_cndmask_b32_e64 v36, v38, v36, s0
	v_cndmask_b32_e64 v37, v40, v37, s0
	v_add_co_u32 v40, vcc_lo, s20, v0
	v_add_co_ci_u32_e64 v41, null, s21, v1, vcc_lo
	global_load_dwordx2 v[36:37], v[36:37], off
	v_add_co_u32 v42, vcc_lo, s10, v2
	v_add_co_ci_u32_e64 v43, null, s11, v3, vcc_lo
	global_store_dword v[40:41], v39, off
	s_waitcnt vmcnt(0)
	global_store_dwordx2 v[42:43], v[36:37], off
	s_or_b32 exec_lo, exec_lo, s22
	v_add_nc_u32_e32 v38, s15, v17
	s_and_saveexec_b32 s22, s31
	s_cbranch_execz .LBB232_15
.LBB232_30:                             ;   in Loop: Header=BB232_13 Depth=1
	v_add_co_u32 v36, vcc_lo, s46, v20
	v_add_co_ci_u32_e64 v37, null, s47, v21, vcc_lo
	v_add_co_u32 v36, vcc_lo, 0x100, v36
	v_add_co_ci_u32_e64 v37, null, 0, v37, vcc_lo
	;; [unrolled: 2-line block ×3, first 2 shown]
	v_cndmask_b32_e64 v36, v40, v36, s0
	v_add_co_u32 v40, vcc_lo, s20, v0
	v_cndmask_b32_e64 v37, v41, v37, s0
	v_add_co_ci_u32_e64 v41, null, s21, v1, vcc_lo
	v_add_co_u32 v42, vcc_lo, s10, v2
	global_load_dwordx2 v[36:37], v[36:37], off
	v_add_co_ci_u32_e64 v43, null, s11, v3, vcc_lo
	global_store_dword v[40:41], v38, off offset:128
	s_waitcnt vmcnt(0)
	global_store_dwordx2 v[42:43], v[36:37], off offset:256
	s_or_b32 exec_lo, exec_lo, s22
	v_add_nc_u32_e32 v36, s15, v18
	s_and_saveexec_b32 s22, s33
	s_cbranch_execz .LBB232_16
.LBB232_31:                             ;   in Loop: Header=BB232_13 Depth=1
	v_add_co_u32 v37, vcc_lo, s46, v20
	v_add_co_ci_u32_e64 v40, null, s47, v21, vcc_lo
	v_add_co_u32 v37, vcc_lo, 0x200, v37
	v_add_co_ci_u32_e64 v40, null, 0, v40, vcc_lo
	;; [unrolled: 2-line block ×3, first 2 shown]
	v_cndmask_b32_e64 v41, v41, v40, s0
	v_cndmask_b32_e64 v40, v42, v37, s0
	v_add_co_u32 v42, vcc_lo, s20, v0
	v_add_co_ci_u32_e64 v43, null, s21, v1, vcc_lo
	global_load_dwordx2 v[40:41], v[40:41], off
	v_add_co_u32 v44, vcc_lo, s10, v2
	v_add_co_ci_u32_e64 v45, null, s11, v3, vcc_lo
	global_store_dword v[42:43], v36, off offset:256
	s_waitcnt vmcnt(0)
	global_store_dwordx2 v[44:45], v[40:41], off offset:512
	s_or_b32 exec_lo, exec_lo, s22
	v_add_nc_u32_e32 v37, s15, v19
	s_and_saveexec_b32 s15, s1
	s_cbranch_execz .LBB232_17
.LBB232_32:                             ;   in Loop: Header=BB232_13 Depth=1
	v_add_co_u32 v40, vcc_lo, s46, v20
	v_add_co_ci_u32_e64 v41, null, s47, v21, vcc_lo
	v_add_co_u32 v40, vcc_lo, 0x300, v40
	v_add_co_ci_u32_e64 v41, null, 0, v41, vcc_lo
	;; [unrolled: 2-line block ×3, first 2 shown]
	v_cndmask_b32_e64 v40, v42, v40, s0
	v_add_co_u32 v42, vcc_lo, s20, v0
	v_cndmask_b32_e64 v41, v43, v41, s0
	v_add_co_ci_u32_e64 v43, null, s21, v1, vcc_lo
	v_add_co_u32 v44, vcc_lo, s10, v2
	global_load_dwordx2 v[40:41], v[40:41], off
	v_add_co_ci_u32_e64 v45, null, s11, v3, vcc_lo
	global_store_dword v[42:43], v37, off offset:384
	s_waitcnt vmcnt(0)
	global_store_dwordx2 v[44:45], v[40:41], off offset:768
	s_or_b32 exec_lo, exec_lo, s15
	s_and_saveexec_b32 s15, s34
	s_cbranch_execz .LBB232_18
.LBB232_33:                             ;   in Loop: Header=BB232_13 Depth=1
	v_add_co_u32 v40, vcc_lo, s46, v28
	v_add_co_ci_u32_e64 v41, null, s47, v29, vcc_lo
	v_add_co_u32 v42, vcc_lo, s46, v22
	v_add_co_ci_u32_e64 v43, null, s47, v23, vcc_lo
	;; [unrolled: 2-line block ×3, first 2 shown]
	v_cndmask_b32_e64 v40, v40, v42, s0
	v_add_co_u32 v42, vcc_lo, s20, v8
	v_cndmask_b32_e64 v41, v41, v43, s0
	v_add_co_ci_u32_e64 v43, null, s21, v9, vcc_lo
	v_add_co_u32 v44, vcc_lo, s10, v10
	global_load_dwordx2 v[40:41], v[40:41], off
	v_add_co_ci_u32_e64 v45, null, s11, v11, vcc_lo
	global_store_dword v[42:43], v39, off
	s_waitcnt vmcnt(0)
	global_store_dwordx2 v[44:45], v[40:41], off
	s_or_b32 exec_lo, exec_lo, s15
	s_and_saveexec_b32 s15, s35
	s_cbranch_execz .LBB232_19
.LBB232_34:                             ;   in Loop: Header=BB232_13 Depth=1
	v_add_co_u32 v40, vcc_lo, s46, v22
	v_add_co_ci_u32_e64 v41, null, s47, v23, vcc_lo
	v_add_co_u32 v42, vcc_lo, s46, v30
	v_add_co_ci_u32_e64 v43, null, s47, v31, vcc_lo
	v_cndmask_b32_e64 v40, v42, v40, s0
	v_add_co_u32 v42, vcc_lo, s20, v8
	v_cndmask_b32_e64 v41, v43, v41, s0
	v_add_co_ci_u32_e64 v43, null, s21, v9, vcc_lo
	v_add_co_u32 v44, vcc_lo, s10, v10
	global_load_dwordx2 v[40:41], v[40:41], off offset:256
	v_add_co_ci_u32_e64 v45, null, s11, v11, vcc_lo
	global_store_dword v[42:43], v38, off offset:128
	s_waitcnt vmcnt(0)
	global_store_dwordx2 v[44:45], v[40:41], off offset:256
	s_or_b32 exec_lo, exec_lo, s15
	s_and_saveexec_b32 s15, s36
	s_cbranch_execz .LBB232_20
.LBB232_35:                             ;   in Loop: Header=BB232_13 Depth=1
	v_add_co_u32 v40, vcc_lo, s46, v22
	v_add_co_ci_u32_e64 v41, null, s47, v23, vcc_lo
	v_add_co_u32 v42, vcc_lo, s46, v32
	v_add_co_ci_u32_e64 v43, null, s47, v33, vcc_lo
	;; [unrolled: 2-line block ×4, first 2 shown]
	v_cndmask_b32_e64 v40, v42, v40, s0
	v_add_co_u32 v42, vcc_lo, s20, v8
	v_cndmask_b32_e64 v41, v43, v41, s0
	v_add_co_ci_u32_e64 v43, null, s21, v9, vcc_lo
	v_add_co_u32 v44, vcc_lo, s10, v10
	global_load_dwordx2 v[40:41], v[40:41], off
	v_add_co_ci_u32_e64 v45, null, s11, v11, vcc_lo
	global_store_dword v[42:43], v36, off offset:256
	s_waitcnt vmcnt(0)
	global_store_dwordx2 v[44:45], v[40:41], off offset:512
	s_or_b32 exec_lo, exec_lo, s15
	s_and_saveexec_b32 s15, s37
	s_cbranch_execz .LBB232_21
.LBB232_36:                             ;   in Loop: Header=BB232_13 Depth=1
	v_add_co_u32 v40, vcc_lo, s46, v22
	v_add_co_ci_u32_e64 v41, null, s47, v23, vcc_lo
	v_add_co_u32 v42, vcc_lo, s46, v34
	v_add_co_ci_u32_e64 v43, null, s47, v35, vcc_lo
	;; [unrolled: 2-line block ×4, first 2 shown]
	v_cndmask_b32_e64 v40, v42, v40, s0
	v_add_co_u32 v42, vcc_lo, s20, v8
	v_cndmask_b32_e64 v41, v43, v41, s0
	v_add_co_ci_u32_e64 v43, null, s21, v9, vcc_lo
	v_add_co_u32 v44, vcc_lo, s10, v10
	global_load_dwordx2 v[40:41], v[40:41], off
	v_add_co_ci_u32_e64 v45, null, s11, v11, vcc_lo
	global_store_dword v[42:43], v37, off offset:384
	s_waitcnt vmcnt(0)
	global_store_dwordx2 v[44:45], v[40:41], off offset:768
	s_or_b32 exec_lo, exec_lo, s15
	s_and_saveexec_b32 s15, s38
	s_cbranch_execz .LBB232_22
.LBB232_37:                             ;   in Loop: Header=BB232_13 Depth=1
	v_add_co_u32 v40, vcc_lo, s46, v28
	v_add_co_ci_u32_e64 v41, null, s47, v29, vcc_lo
	v_add_co_u32 v42, vcc_lo, s46, v24
	v_add_co_ci_u32_e64 v43, null, s47, v25, vcc_lo
	;; [unrolled: 2-line block ×3, first 2 shown]
	v_cndmask_b32_e64 v40, v40, v42, s0
	v_add_co_u32 v42, vcc_lo, s20, v14
	v_cndmask_b32_e64 v41, v41, v43, s0
	v_add_co_ci_u32_e64 v43, null, s21, v15, vcc_lo
	v_add_co_u32 v44, vcc_lo, s10, v12
	global_load_dwordx2 v[40:41], v[40:41], off
	v_add_co_ci_u32_e64 v45, null, s11, v13, vcc_lo
	global_store_dword v[42:43], v39, off
	s_waitcnt vmcnt(0)
	global_store_dwordx2 v[44:45], v[40:41], off
	s_or_b32 exec_lo, exec_lo, s15
	s_and_saveexec_b32 s15, s39
	s_cbranch_execz .LBB232_23
.LBB232_38:                             ;   in Loop: Header=BB232_13 Depth=1
	v_add_co_u32 v40, vcc_lo, s46, v24
	v_add_co_ci_u32_e64 v41, null, s47, v25, vcc_lo
	v_add_co_u32 v42, vcc_lo, s46, v30
	v_add_co_ci_u32_e64 v43, null, s47, v31, vcc_lo
	;; [unrolled: 2-line block ×4, first 2 shown]
	v_cndmask_b32_e64 v40, v42, v40, s0
	v_add_co_u32 v42, vcc_lo, s20, v14
	v_cndmask_b32_e64 v41, v43, v41, s0
	v_add_co_ci_u32_e64 v43, null, s21, v15, vcc_lo
	v_add_co_u32 v44, vcc_lo, s10, v12
	global_load_dwordx2 v[40:41], v[40:41], off
	v_add_co_ci_u32_e64 v45, null, s11, v13, vcc_lo
	global_store_dword v[42:43], v38, off offset:128
	s_waitcnt vmcnt(0)
	global_store_dwordx2 v[44:45], v[40:41], off offset:256
	s_or_b32 exec_lo, exec_lo, s15
	s_and_saveexec_b32 s15, s40
	s_cbranch_execz .LBB232_24
.LBB232_39:                             ;   in Loop: Header=BB232_13 Depth=1
	v_add_co_u32 v40, vcc_lo, s46, v24
	v_add_co_ci_u32_e64 v41, null, s47, v25, vcc_lo
	v_add_co_u32 v42, vcc_lo, s46, v32
	v_add_co_ci_u32_e64 v43, null, s47, v33, vcc_lo
	v_cndmask_b32_e64 v40, v42, v40, s0
	v_add_co_u32 v42, vcc_lo, s20, v14
	v_cndmask_b32_e64 v41, v43, v41, s0
	v_add_co_ci_u32_e64 v43, null, s21, v15, vcc_lo
	v_add_co_u32 v44, vcc_lo, s10, v12
	global_load_dwordx2 v[40:41], v[40:41], off offset:512
	v_add_co_ci_u32_e64 v45, null, s11, v13, vcc_lo
	global_store_dword v[42:43], v36, off offset:256
	s_waitcnt vmcnt(0)
	global_store_dwordx2 v[44:45], v[40:41], off offset:512
	s_or_b32 exec_lo, exec_lo, s15
	s_and_saveexec_b32 s15, s41
	s_cbranch_execz .LBB232_25
.LBB232_40:                             ;   in Loop: Header=BB232_13 Depth=1
	v_add_co_u32 v40, vcc_lo, s46, v24
	v_add_co_ci_u32_e64 v41, null, s47, v25, vcc_lo
	v_add_co_u32 v42, vcc_lo, s46, v34
	v_add_co_ci_u32_e64 v43, null, s47, v35, vcc_lo
	;; [unrolled: 2-line block ×4, first 2 shown]
	v_cndmask_b32_e64 v40, v42, v40, s0
	v_add_co_u32 v42, vcc_lo, s20, v14
	v_cndmask_b32_e64 v41, v43, v41, s0
	v_add_co_ci_u32_e64 v43, null, s21, v15, vcc_lo
	v_add_co_u32 v44, vcc_lo, s10, v12
	global_load_dwordx2 v[40:41], v[40:41], off
	v_add_co_ci_u32_e64 v45, null, s11, v13, vcc_lo
	global_store_dword v[42:43], v37, off offset:384
	s_waitcnt vmcnt(0)
	global_store_dwordx2 v[44:45], v[40:41], off offset:768
	s_or_b32 exec_lo, exec_lo, s15
	s_and_saveexec_b32 s15, s42
	s_cbranch_execz .LBB232_26
.LBB232_41:                             ;   in Loop: Header=BB232_13 Depth=1
	v_add_co_u32 v40, vcc_lo, s46, v28
	v_add_co_ci_u32_e64 v41, null, s47, v29, vcc_lo
	v_add_co_u32 v42, vcc_lo, s46, v26
	v_add_co_ci_u32_e64 v43, null, s47, v27, vcc_lo
	;; [unrolled: 2-line block ×3, first 2 shown]
	v_cndmask_b32_e64 v40, v40, v42, s0
	v_add_co_u32 v42, vcc_lo, s20, v6
	v_cndmask_b32_e64 v41, v41, v43, s0
	v_add_co_ci_u32_e64 v43, null, s21, v7, vcc_lo
	v_add_co_u32 v44, vcc_lo, s10, v4
	global_load_dwordx2 v[40:41], v[40:41], off
	v_add_co_ci_u32_e64 v45, null, s11, v5, vcc_lo
	global_store_dword v[42:43], v39, off
	s_waitcnt vmcnt(0)
	global_store_dwordx2 v[44:45], v[40:41], off
	s_or_b32 exec_lo, exec_lo, s15
	s_and_saveexec_b32 s15, s43
	s_cbranch_execz .LBB232_27
.LBB232_42:                             ;   in Loop: Header=BB232_13 Depth=1
	v_add_co_u32 v39, vcc_lo, s46, v26
	v_add_co_ci_u32_e64 v40, null, s47, v27, vcc_lo
	v_add_co_u32 v41, vcc_lo, s46, v30
	v_add_co_ci_u32_e64 v42, null, s47, v31, vcc_lo
	;; [unrolled: 2-line block ×4, first 2 shown]
	v_cndmask_b32_e64 v39, v41, v39, s0
	v_add_co_u32 v41, vcc_lo, s20, v6
	v_cndmask_b32_e64 v40, v42, v40, s0
	v_add_co_ci_u32_e64 v42, null, s21, v7, vcc_lo
	v_add_co_u32 v43, vcc_lo, s10, v4
	global_load_dwordx2 v[39:40], v[39:40], off
	v_add_co_ci_u32_e64 v44, null, s11, v5, vcc_lo
	global_store_dword v[41:42], v38, off offset:128
	s_waitcnt vmcnt(0)
	global_store_dwordx2 v[43:44], v[39:40], off offset:256
	s_or_b32 exec_lo, exec_lo, s15
	s_and_saveexec_b32 s15, s44
	s_cbranch_execz .LBB232_28
.LBB232_43:                             ;   in Loop: Header=BB232_13 Depth=1
	v_add_co_u32 v38, vcc_lo, s46, v26
	v_add_co_ci_u32_e64 v39, null, s47, v27, vcc_lo
	v_add_co_u32 v40, vcc_lo, s46, v32
	v_add_co_ci_u32_e64 v41, null, s47, v33, vcc_lo
	;; [unrolled: 2-line block ×4, first 2 shown]
	v_cndmask_b32_e64 v38, v40, v38, s0
	v_add_co_u32 v40, vcc_lo, s20, v6
	v_cndmask_b32_e64 v39, v41, v39, s0
	v_add_co_ci_u32_e64 v41, null, s21, v7, vcc_lo
	v_add_co_u32 v42, vcc_lo, s10, v4
	global_load_dwordx2 v[38:39], v[38:39], off
	v_add_co_ci_u32_e64 v43, null, s11, v5, vcc_lo
	global_store_dword v[40:41], v36, off offset:256
	s_waitcnt vmcnt(0)
	global_store_dwordx2 v[42:43], v[38:39], off offset:512
	s_or_b32 exec_lo, exec_lo, s15
	s_and_saveexec_b32 s15, s45
	s_cbranch_execz .LBB232_12
.LBB232_44:                             ;   in Loop: Header=BB232_13 Depth=1
	v_add_co_u32 v36, vcc_lo, s46, v26
	v_add_co_ci_u32_e64 v38, null, s47, v27, vcc_lo
	v_add_co_u32 v40, vcc_lo, s46, v34
	v_add_co_ci_u32_e64 v39, null, s47, v35, vcc_lo
	v_cndmask_b32_e64 v39, v39, v38, s0
	v_cndmask_b32_e64 v38, v40, v36, s0
	v_add_co_u32 v40, vcc_lo, s20, v6
	v_add_co_ci_u32_e64 v41, null, s21, v7, vcc_lo
	global_load_dwordx2 v[38:39], v[38:39], off offset:768
	v_add_co_u32 v42, vcc_lo, s10, v4
	v_add_co_ci_u32_e64 v43, null, s11, v5, vcc_lo
	global_store_dword v[40:41], v37, off offset:384
	s_waitcnt vmcnt(0)
	global_store_dwordx2 v[42:43], v[38:39], off offset:768
	s_branch .LBB232_12
.LBB232_45:
	s_endpgm
	.section	.rodata,"a",@progbits
	.p2align	6, 0x0
	.amdhsa_kernel _ZN9rocsparseL35bsr2csr_block_per_row_33_256_kernelILj1024ELj128ELj32EdliEEv20rocsparse_direction_T4_S2_21rocsparse_index_base_PKT2_PKT3_PKS2_S2_S3_PS4_PS7_PS2_
		.amdhsa_group_segment_fixed_size 0
		.amdhsa_private_segment_fixed_size 0
		.amdhsa_kernarg_size 72
		.amdhsa_user_sgpr_count 6
		.amdhsa_user_sgpr_private_segment_buffer 1
		.amdhsa_user_sgpr_dispatch_ptr 0
		.amdhsa_user_sgpr_queue_ptr 0
		.amdhsa_user_sgpr_kernarg_segment_ptr 1
		.amdhsa_user_sgpr_dispatch_id 0
		.amdhsa_user_sgpr_flat_scratch_init 0
		.amdhsa_user_sgpr_private_segment_size 0
		.amdhsa_wavefront_size32 1
		.amdhsa_uses_dynamic_stack 0
		.amdhsa_system_sgpr_private_segment_wavefront_offset 0
		.amdhsa_system_sgpr_workgroup_id_x 1
		.amdhsa_system_sgpr_workgroup_id_y 0
		.amdhsa_system_sgpr_workgroup_id_z 0
		.amdhsa_system_sgpr_workgroup_info 0
		.amdhsa_system_vgpr_workitem_id 0
		.amdhsa_next_free_vgpr 46
		.amdhsa_next_free_sgpr 50
		.amdhsa_reserve_vcc 1
		.amdhsa_reserve_flat_scratch 0
		.amdhsa_float_round_mode_32 0
		.amdhsa_float_round_mode_16_64 0
		.amdhsa_float_denorm_mode_32 3
		.amdhsa_float_denorm_mode_16_64 3
		.amdhsa_dx10_clamp 1
		.amdhsa_ieee_mode 1
		.amdhsa_fp16_overflow 0
		.amdhsa_workgroup_processor_mode 1
		.amdhsa_memory_ordered 1
		.amdhsa_forward_progress 1
		.amdhsa_shared_vgpr_count 0
		.amdhsa_exception_fp_ieee_invalid_op 0
		.amdhsa_exception_fp_denorm_src 0
		.amdhsa_exception_fp_ieee_div_zero 0
		.amdhsa_exception_fp_ieee_overflow 0
		.amdhsa_exception_fp_ieee_underflow 0
		.amdhsa_exception_fp_ieee_inexact 0
		.amdhsa_exception_int_div_zero 0
	.end_amdhsa_kernel
	.section	.text._ZN9rocsparseL35bsr2csr_block_per_row_33_256_kernelILj1024ELj128ELj32EdliEEv20rocsparse_direction_T4_S2_21rocsparse_index_base_PKT2_PKT3_PKS2_S2_S3_PS4_PS7_PS2_,"axG",@progbits,_ZN9rocsparseL35bsr2csr_block_per_row_33_256_kernelILj1024ELj128ELj32EdliEEv20rocsparse_direction_T4_S2_21rocsparse_index_base_PKT2_PKT3_PKS2_S2_S3_PS4_PS7_PS2_,comdat
.Lfunc_end232:
	.size	_ZN9rocsparseL35bsr2csr_block_per_row_33_256_kernelILj1024ELj128ELj32EdliEEv20rocsparse_direction_T4_S2_21rocsparse_index_base_PKT2_PKT3_PKS2_S2_S3_PS4_PS7_PS2_, .Lfunc_end232-_ZN9rocsparseL35bsr2csr_block_per_row_33_256_kernelILj1024ELj128ELj32EdliEEv20rocsparse_direction_T4_S2_21rocsparse_index_base_PKT2_PKT3_PKS2_S2_S3_PS4_PS7_PS2_
                                        ; -- End function
	.set _ZN9rocsparseL35bsr2csr_block_per_row_33_256_kernelILj1024ELj128ELj32EdliEEv20rocsparse_direction_T4_S2_21rocsparse_index_base_PKT2_PKT3_PKS2_S2_S3_PS4_PS7_PS2_.num_vgpr, 46
	.set _ZN9rocsparseL35bsr2csr_block_per_row_33_256_kernelILj1024ELj128ELj32EdliEEv20rocsparse_direction_T4_S2_21rocsparse_index_base_PKT2_PKT3_PKS2_S2_S3_PS4_PS7_PS2_.num_agpr, 0
	.set _ZN9rocsparseL35bsr2csr_block_per_row_33_256_kernelILj1024ELj128ELj32EdliEEv20rocsparse_direction_T4_S2_21rocsparse_index_base_PKT2_PKT3_PKS2_S2_S3_PS4_PS7_PS2_.numbered_sgpr, 50
	.set _ZN9rocsparseL35bsr2csr_block_per_row_33_256_kernelILj1024ELj128ELj32EdliEEv20rocsparse_direction_T4_S2_21rocsparse_index_base_PKT2_PKT3_PKS2_S2_S3_PS4_PS7_PS2_.num_named_barrier, 0
	.set _ZN9rocsparseL35bsr2csr_block_per_row_33_256_kernelILj1024ELj128ELj32EdliEEv20rocsparse_direction_T4_S2_21rocsparse_index_base_PKT2_PKT3_PKS2_S2_S3_PS4_PS7_PS2_.private_seg_size, 0
	.set _ZN9rocsparseL35bsr2csr_block_per_row_33_256_kernelILj1024ELj128ELj32EdliEEv20rocsparse_direction_T4_S2_21rocsparse_index_base_PKT2_PKT3_PKS2_S2_S3_PS4_PS7_PS2_.uses_vcc, 1
	.set _ZN9rocsparseL35bsr2csr_block_per_row_33_256_kernelILj1024ELj128ELj32EdliEEv20rocsparse_direction_T4_S2_21rocsparse_index_base_PKT2_PKT3_PKS2_S2_S3_PS4_PS7_PS2_.uses_flat_scratch, 0
	.set _ZN9rocsparseL35bsr2csr_block_per_row_33_256_kernelILj1024ELj128ELj32EdliEEv20rocsparse_direction_T4_S2_21rocsparse_index_base_PKT2_PKT3_PKS2_S2_S3_PS4_PS7_PS2_.has_dyn_sized_stack, 0
	.set _ZN9rocsparseL35bsr2csr_block_per_row_33_256_kernelILj1024ELj128ELj32EdliEEv20rocsparse_direction_T4_S2_21rocsparse_index_base_PKT2_PKT3_PKS2_S2_S3_PS4_PS7_PS2_.has_recursion, 0
	.set _ZN9rocsparseL35bsr2csr_block_per_row_33_256_kernelILj1024ELj128ELj32EdliEEv20rocsparse_direction_T4_S2_21rocsparse_index_base_PKT2_PKT3_PKS2_S2_S3_PS4_PS7_PS2_.has_indirect_call, 0
	.section	.AMDGPU.csdata,"",@progbits
; Kernel info:
; codeLenInByte = 3960
; TotalNumSgprs: 52
; NumVgprs: 46
; ScratchSize: 0
; MemoryBound: 0
; FloatMode: 240
; IeeeMode: 1
; LDSByteSize: 0 bytes/workgroup (compile time only)
; SGPRBlocks: 0
; VGPRBlocks: 5
; NumSGPRsForWavesPerEU: 52
; NumVGPRsForWavesPerEU: 46
; Occupancy: 16
; WaveLimiterHint : 1
; COMPUTE_PGM_RSRC2:SCRATCH_EN: 0
; COMPUTE_PGM_RSRC2:USER_SGPR: 6
; COMPUTE_PGM_RSRC2:TRAP_HANDLER: 0
; COMPUTE_PGM_RSRC2:TGID_X_EN: 1
; COMPUTE_PGM_RSRC2:TGID_Y_EN: 0
; COMPUTE_PGM_RSRC2:TGID_Z_EN: 0
; COMPUTE_PGM_RSRC2:TIDIG_COMP_CNT: 0
	.section	.text._ZN9rocsparseL35bsr2csr_block_per_row_33_256_kernelILj1024ELj256ELj32EdliEEv20rocsparse_direction_T4_S2_21rocsparse_index_base_PKT2_PKT3_PKS2_S2_S3_PS4_PS7_PS2_,"axG",@progbits,_ZN9rocsparseL35bsr2csr_block_per_row_33_256_kernelILj1024ELj256ELj32EdliEEv20rocsparse_direction_T4_S2_21rocsparse_index_base_PKT2_PKT3_PKS2_S2_S3_PS4_PS7_PS2_,comdat
	.globl	_ZN9rocsparseL35bsr2csr_block_per_row_33_256_kernelILj1024ELj256ELj32EdliEEv20rocsparse_direction_T4_S2_21rocsparse_index_base_PKT2_PKT3_PKS2_S2_S3_PS4_PS7_PS2_ ; -- Begin function _ZN9rocsparseL35bsr2csr_block_per_row_33_256_kernelILj1024ELj256ELj32EdliEEv20rocsparse_direction_T4_S2_21rocsparse_index_base_PKT2_PKT3_PKS2_S2_S3_PS4_PS7_PS2_
	.p2align	8
	.type	_ZN9rocsparseL35bsr2csr_block_per_row_33_256_kernelILj1024ELj256ELj32EdliEEv20rocsparse_direction_T4_S2_21rocsparse_index_base_PKT2_PKT3_PKS2_S2_S3_PS4_PS7_PS2_,@function
_ZN9rocsparseL35bsr2csr_block_per_row_33_256_kernelILj1024ELj256ELj32EdliEEv20rocsparse_direction_T4_S2_21rocsparse_index_base_PKT2_PKT3_PKS2_S2_S3_PS4_PS7_PS2_: ; @_ZN9rocsparseL35bsr2csr_block_per_row_33_256_kernelILj1024ELj256ELj32EdliEEv20rocsparse_direction_T4_S2_21rocsparse_index_base_PKT2_PKT3_PKS2_S2_S3_PS4_PS7_PS2_
; %bb.0:
	s_load_dwordx2 s[0:1], s[4:5], 0x18
	s_ashr_i32 s7, s6, 31
	s_clause 0x1
	s_load_dwordx2 s[16:17], s[4:5], 0x28
	s_load_dwordx2 s[24:25], s[4:5], 0x38
	s_lshl_b64 s[2:3], s[6:7], 3
	v_or_b32_e32 v1, s6, v0
	s_waitcnt lgkmcnt(0)
	s_add_u32 s0, s0, s2
	s_addc_u32 s1, s1, s3
	s_mov_b32 s2, exec_lo
	s_load_dwordx4 s[12:15], s[0:1], 0x0
	s_mov_b32 s1, 0
	v_cmpx_eq_u32_e32 0, v1
	s_cbranch_execz .LBB233_2
; %bb.1:
	s_mov_b32 s0, s17
	v_mov_b32_e32 v2, s1
	v_mov_b32_e32 v3, 0
	;; [unrolled: 1-line block ×3, first 2 shown]
	global_store_dwordx2 v3, v[1:2], s[24:25]
.LBB233_2:
	s_or_b32 exec_lo, exec_lo, s2
	s_load_dword s33, s[4:5], 0xc
	s_mul_i32 s34, s16, s16
	v_lshrrev_b32_e32 v43, 5, v0
	s_mul_i32 s11, s16, s6
	v_cmp_gt_i32_e64 s2, s16, v43
	s_waitcnt lgkmcnt(0)
	s_sub_u32 s18, s12, s33
	s_subb_u32 s19, s13, 0
	s_mul_hi_u32 s0, s18, s34
	s_mul_i32 s1, s19, s34
	s_sub_u32 s20, s14, s33
	s_subb_u32 s21, s15, 0
	s_add_i32 s23, s0, s1
	s_sub_u32 s58, s20, s18
	s_subb_u32 s64, s21, s19
	s_mul_hi_u32 s0, s58, s16
	s_mul_i32 s1, s64, s16
	s_mul_i32 s22, s18, s34
	s_add_i32 s0, s0, s1
	s_mul_i32 s28, s58, s16
	s_add_u32 s1, s22, s17
	s_addc_u32 s3, s23, 0
	s_add_u32 s26, s1, s28
	s_addc_u32 s27, s3, s0
	s_and_saveexec_b32 s1, s2
	s_cbranch_execz .LBB233_4
; %bb.3:
	v_add_nc_u32_e32 v3, s11, v43
	v_mad_u64_u32 v[1:2], null, s28, v43, s[26:27]
	v_ashrrev_i32_e32 v4, 31, v3
	v_mad_u64_u32 v[5:6], null, s0, v43, v[2:3]
	v_lshlrev_b64 v[3:4], 3, v[3:4]
	v_add_co_u32 v3, vcc_lo, s24, v3
	v_mov_b32_e32 v2, v5
	v_add_co_ci_u32_e64 v4, null, s25, v4, vcc_lo
	global_store_dwordx2 v[3:4], v[1:2], off offset:8
.LBB233_4:
	s_or_b32 exec_lo, exec_lo, s1
	v_or_b32_e32 v4, 32, v43
	v_cmp_gt_i32_e64 s8, s16, v4
	s_and_saveexec_b32 s1, s8
	s_cbranch_execz .LBB233_6
; %bb.5:
	s_ashr_i32 s3, s11, 31
	v_add_co_u32 v5, s6, v43, s11
	v_add_co_ci_u32_e64 v6, null, 0, s3, s6
	v_mad_u64_u32 v[1:2], null, s28, v4, s[26:27]
	v_lshlrev_b64 v[5:6], 3, v[5:6]
	v_mad_u64_u32 v[2:3], null, s0, v4, v[2:3]
	v_add_co_u32 v5, vcc_lo, s24, v5
	v_add_co_ci_u32_e64 v6, null, s25, v6, vcc_lo
	global_store_dwordx2 v[5:6], v[1:2], off offset:264
.LBB233_6:
	s_or_b32 exec_lo, exec_lo, s1
	v_or_b32_e32 v5, 64, v43
	v_cmp_gt_i32_e64 s6, s16, v5
	s_and_saveexec_b32 s1, s6
	s_cbranch_execz .LBB233_8
; %bb.7:
	s_ashr_i32 s3, s11, 31
	v_add_co_u32 v6, s7, v43, s11
	v_add_co_ci_u32_e64 v7, null, 0, s3, s7
	v_mad_u64_u32 v[1:2], null, s28, v5, s[26:27]
	v_lshlrev_b64 v[6:7], 3, v[6:7]
	v_mad_u64_u32 v[2:3], null, s0, v5, v[2:3]
	v_add_co_u32 v6, vcc_lo, s24, v6
	v_add_co_ci_u32_e64 v7, null, s25, v7, vcc_lo
	global_store_dwordx2 v[6:7], v[1:2], off offset:520
.LBB233_8:
	;; [unrolled: 16-line block ×6, first 2 shown]
	s_or_b32 exec_lo, exec_lo, s9
	v_or_b32_e32 v14, 0xe0, v43
	v_cmp_gt_i32_e64 s9, s16, v14
	s_and_saveexec_b32 s29, s9
	s_cbranch_execz .LBB233_18
; %bb.17:
	v_mad_u64_u32 v[1:2], null, s28, v14, s[26:27]
	s_ashr_i32 s26, s11, 31
	v_add_co_u32 v7, s11, v43, s11
	v_add_co_ci_u32_e64 v8, null, 0, s26, s11
	v_mad_u64_u32 v[2:3], null, s0, v14, v[2:3]
	v_lshlrev_b64 v[7:8], 3, v[7:8]
	v_add_co_u32 v7, vcc_lo, s24, v7
	v_add_co_ci_u32_e64 v8, null, s25, v8, vcc_lo
	global_store_dwordx2 v[7:8], v[1:2], off offset:1800
.LBB233_18:
	s_or_b32 exec_lo, exec_lo, s29
	v_cmp_lt_i64_e64 s0, s[12:13], s[14:15]
	s_and_b32 vcc_lo, exec_lo, s0
	s_cbranch_vccz .LBB233_149
; %bb.19:
	v_and_b32_e32 v46, 31, v0
	v_mad_u64_u32 v[0:1], null, s58, v43, 0
	v_mad_u64_u32 v[2:3], null, s58, v4, 0
	s_clause 0x4
	s_load_dword s0, s[4:5], 0x0
	s_load_dwordx2 s[24:25], s[4:5], 0x20
	s_load_dwordx2 s[26:27], s[4:5], 0x30
	;; [unrolled: 1-line block ×4, first 2 shown]
	v_mul_lo_u32 v15, v43, s16
	v_mul_lo_u32 v27, v46, s16
	v_mad_u64_u32 v[9:10], null, s58, v13, 0
	v_mov_b32_e32 v28, 0
	v_mad_u64_u32 v[7:8], null, s64, v43, v[1:2]
	v_or_b32_e32 v47, 32, v46
	v_or_b32_e32 v48, 64, v46
	;; [unrolled: 1-line block ×6, first 2 shown]
	v_mov_b32_e32 v1, v7
	v_mad_u64_u32 v[7:8], null, s64, v4, v[3:4]
	v_mad_u64_u32 v[3:4], null, s58, v5, 0
	s_waitcnt lgkmcnt(0)
	s_cmp_eq_u32 s0, 0
	v_or_b32_e32 v53, 0xe0, v46
	s_cselect_b32 s0, -1, 0
	s_lshl_b32 s86, s16, 5
	v_mov_b32_e32 v54, v7
	v_add_nc_u32_e32 v29, s86, v27
	v_mad_u64_u32 v[7:8], null, s64, v5, v[4:5]
	v_mad_u64_u32 v[4:5], null, s58, v6, 0
	v_add_nc_u32_e32 v17, s86, v15
	v_add_nc_u32_e32 v31, s86, v29
	v_mov_b32_e32 v30, v28
	v_mov_b32_e32 v32, v28
	;; [unrolled: 1-line block ×3, first 2 shown]
	v_mad_u64_u32 v[7:8], null, s58, v12, 0
	v_mad_u64_u32 v[21:22], null, s64, v6, v[5:6]
	;; [unrolled: 1-line block ×3, first 2 shown]
	v_add_nc_u32_e32 v19, s86, v17
	v_add_nc_u32_e32 v33, s86, v31
	v_mov_b32_e32 v34, v28
	v_mov_b32_e32 v36, v28
	;; [unrolled: 1-line block ×3, first 2 shown]
	v_add_nc_u32_e32 v21, s86, v19
	v_mad_u64_u32 v[23:24], null, s64, v11, v[6:7]
	v_mov_b32_e32 v6, v10
	v_add_nc_u32_e32 v35, s86, v33
	v_mad_u64_u32 v[24:25], null, s64, v12, v[8:9]
	v_mad_u64_u32 v[10:11], null, s58, v14, 0
	;; [unrolled: 1-line block ×3, first 2 shown]
	v_mov_b32_e32 v6, v23
	v_add_nc_u32_e32 v23, s86, v21
	v_add_nc_u32_e32 v37, s86, v35
	v_mov_b32_e32 v38, v28
	v_mov_b32_e32 v40, v28
	;; [unrolled: 1-line block ×3, first 2 shown]
	v_add_nc_u32_e32 v25, s86, v23
	v_add_nc_u32_e32 v39, s86, v37
	v_mov_b32_e32 v57, v12
	v_mad_u64_u32 v[11:12], null, s64, v14, v[11:12]
	v_add_nc_u32_e32 v44, s86, v25
	v_mov_b32_e32 v16, v28
	v_add_nc_u32_e32 v41, s86, v39
	v_mov_b32_e32 v18, v28
	v_mov_b32_e32 v20, v28
	;; [unrolled: 1-line block ×7, first 2 shown]
	v_add_nc_u32_e32 v59, s86, v44
	v_mov_b32_e32 v60, v28
	v_cmp_gt_i32_e32 vcc_lo, s16, v46
	v_cmp_gt_i32_e64 s11, s16, v47
	v_cmp_gt_i32_e64 s12, s16, v48
	;; [unrolled: 1-line block ×7, first 2 shown]
	v_mov_b32_e32 v58, v11
	v_lshlrev_b64 v[11:12], 3, v[15:16]
	v_lshlrev_b64 v[13:14], 3, v[17:18]
	;; [unrolled: 1-line block ×16, first 2 shown]
	v_lshlrev_b32_e32 v59, 3, v43
	s_and_b32 s35, s2, vcc_lo
	s_and_b32 s36, s2, s11
	s_and_b32 s37, s2, s12
	s_and_b32 s38, s2, s13
	s_and_b32 s39, s2, s14
	s_and_b32 s40, s2, s15
	s_and_b32 s41, s2, s4
	s_and_b32 s42, s2, s5
	s_and_b32 s43, s8, vcc_lo
	s_and_b32 s44, s8, s11
	s_and_b32 s45, s8, s12
	s_and_b32 s46, s8, s13
	s_and_b32 s47, s8, s14
	s_and_b32 s48, s8, s15
	s_and_b32 s49, s8, s4
	s_and_b32 s8, s8, s5
	s_and_b32 s50, s6, vcc_lo
	s_and_b32 s51, s6, s11
	s_and_b32 s52, s6, s12
	s_and_b32 s53, s6, s13
	s_and_b32 s54, s6, s14
	s_and_b32 s55, s6, s15
	s_and_b32 s56, s6, s4
	s_and_b32 s6, s6, s5
	s_and_b32 s57, s1, vcc_lo
	s_and_b32 s58, s1, s11
	s_and_b32 s59, s1, s12
	s_and_b32 s60, s1, s13
	s_and_b32 s61, s1, s14
	s_and_b32 s62, s1, s15
	s_and_b32 s63, s1, s4
	s_and_b32 s1, s1, s5
	s_and_b32 s64, s3, vcc_lo
	s_and_b32 s65, s3, s11
	s_and_b32 s66, s3, s12
	s_and_b32 s67, s3, s13
	s_and_b32 s68, s3, s14
	s_and_b32 s69, s3, s15
	s_and_b32 s70, s3, s4
	s_and_b32 s71, s3, s5
	s_and_b32 s72, s7, vcc_lo
	s_and_b32 s73, s7, s11
	s_and_b32 s74, s7, s12
	s_and_b32 s75, s7, s13
	s_and_b32 s76, s7, s14
	s_and_b32 s77, s7, s15
	s_and_b32 s78, s7, s4
	s_and_b32 s7, s7, s5
	s_and_b32 s79, s10, vcc_lo
	s_and_b32 s80, s10, s11
	s_and_b32 s81, s10, s12
	s_and_b32 s82, s10, s13
	s_and_b32 s83, s10, s14
	s_and_b32 s84, s10, s15
	s_and_b32 s85, s10, s4
	s_and_b32 s10, s10, s5
	s_and_b32 s86, s9, vcc_lo
	s_and_b32 s11, s9, s11
	s_and_b32 s12, s9, s12
	s_and_b32 s13, s9, s13
	s_and_b32 s14, s9, s14
	s_and_b32 s15, s9, s15
	s_and_b32 s4, s9, s4
	s_and_b32 s5, s9, s5
	s_mov_b64 s[2:3], s[18:19]
	s_branch .LBB233_21
.LBB233_20:                             ;   in Loop: Header=BB233_21 Depth=1
	s_or_b32 exec_lo, exec_lo, s9
	s_add_u32 s2, s2, 1
	s_addc_u32 s3, s3, 0
	v_cmp_ge_i64_e64 s9, s[2:3], s[20:21]
	s_and_b32 vcc_lo, exec_lo, s9
	s_cbranch_vccnz .LBB233_149
.LBB233_21:                             ; =>This Inner Loop Header: Depth=1
	s_lshl_b64 s[88:89], s[2:3], 2
	s_mul_hi_u32 s90, s2, s34
	s_add_u32 s88, s24, s88
	s_addc_u32 s89, s25, s89
	v_lshlrev_b32_e32 v62, 3, v46
	s_load_dword s9, s[88:89], 0x0
	s_mul_i32 s89, s3, s34
	s_mul_i32 s88, s2, s34
	s_waitcnt lgkmcnt(0)
	s_sub_i32 s91, s9, s33
	s_sub_u32 s9, s2, s18
	s_subb_u32 s87, s3, s19
	v_add_co_u32 v43, vcc_lo, v0, s9
	s_add_i32 s89, s90, s89
	v_add_co_ci_u32_e64 v45, null, s87, v1, vcc_lo
	v_mad_u64_u32 v[43:44], null, v43, s16, s[22:23]
	s_mul_i32 s90, s91, s16
	s_lshl_b64 s[88:89], s[88:89], 3
	s_add_i32 s90, s90, s17
	s_add_u32 s88, s28, s88
	s_addc_u32 s89, s29, s89
	v_add_co_u32 v60, s91, s88, v59
	v_mad_u64_u32 v[44:45], null, v45, s16, v[44:45]
	v_add_co_u32 v45, vcc_lo, s88, v11
	v_add_nc_u32_e32 v68, s90, v46
	v_add_co_ci_u32_e64 v61, null, s89, 0, s91
	v_add_co_ci_u32_e64 v71, null, s89, v12, vcc_lo
	s_and_saveexec_b32 s91, s35
	s_cbranch_execnz .LBB233_92
; %bb.22:                               ;   in Loop: Header=BB233_21 Depth=1
	s_or_b32 exec_lo, exec_lo, s91
	v_add_nc_u32_e32 v70, s90, v47
	s_and_saveexec_b32 s91, s36
	s_cbranch_execnz .LBB233_93
.LBB233_23:                             ;   in Loop: Header=BB233_21 Depth=1
	s_or_b32 exec_lo, exec_lo, s91
	v_add_nc_u32_e32 v69, s90, v48
	s_and_saveexec_b32 s91, s37
	s_cbranch_execnz .LBB233_94
.LBB233_24:                             ;   in Loop: Header=BB233_21 Depth=1
	s_or_b32 exec_lo, exec_lo, s91
	v_add_nc_u32_e32 v67, s90, v49
	s_and_saveexec_b32 s91, s38
	s_cbranch_execnz .LBB233_95
.LBB233_25:                             ;   in Loop: Header=BB233_21 Depth=1
	s_or_b32 exec_lo, exec_lo, s91
	v_add_nc_u32_e32 v66, s90, v50
	s_and_saveexec_b32 s91, s39
	s_cbranch_execnz .LBB233_96
.LBB233_26:                             ;   in Loop: Header=BB233_21 Depth=1
	s_or_b32 exec_lo, exec_lo, s91
	v_add_nc_u32_e32 v64, s90, v51
	s_and_saveexec_b32 s91, s40
	s_cbranch_execnz .LBB233_97
.LBB233_27:                             ;   in Loop: Header=BB233_21 Depth=1
	s_or_b32 exec_lo, exec_lo, s91
	v_add_nc_u32_e32 v63, s90, v52
	s_and_saveexec_b32 s91, s41
	s_cbranch_execnz .LBB233_98
.LBB233_28:                             ;   in Loop: Header=BB233_21 Depth=1
	s_or_b32 exec_lo, exec_lo, s91
	v_add_nc_u32_e32 v65, s90, v53
	s_and_saveexec_b32 s90, s42
	s_cbranch_execz .LBB233_30
.LBB233_29:                             ;   in Loop: Header=BB233_21 Depth=1
	v_add_co_u32 v45, vcc_lo, v45, v62
	v_add_co_ci_u32_e64 v71, null, 0, v71, vcc_lo
	v_add_co_u32 v45, vcc_lo, 0x700, v45
	v_add_co_ci_u32_e64 v71, null, 0, v71, vcc_lo
	;; [unrolled: 2-line block ×4, first 2 shown]
	v_cndmask_b32_e64 v72, v72, v71, s0
	v_cndmask_b32_e64 v71, v73, v45, s0
	v_lshlrev_b64 v[73:74], 2, v[43:44]
	v_lshlrev_b64 v[43:44], 3, v[43:44]
	global_load_dwordx2 v[71:72], v[71:72], off
	v_add_co_u32 v73, vcc_lo, s30, v73
	v_add_co_ci_u32_e64 v74, null, s31, v74, vcc_lo
	v_add_co_u32 v43, vcc_lo, s26, v43
	v_add_co_ci_u32_e64 v44, null, s27, v44, vcc_lo
	global_store_dword v[73:74], v65, off offset:896
	s_waitcnt vmcnt(0)
	global_store_dwordx2 v[43:44], v[71:72], off offset:1792
.LBB233_30:                             ;   in Loop: Header=BB233_21 Depth=1
	s_or_b32 exec_lo, exec_lo, s90
	v_add_co_u32 v43, vcc_lo, v2, s9
	v_add_co_ci_u32_e64 v45, null, s87, v54, vcc_lo
	v_mad_u64_u32 v[43:44], null, v43, s16, s[22:23]
	v_mad_u64_u32 v[44:45], null, v45, s16, v[44:45]
	v_add_co_u32 v45, vcc_lo, s88, v13
	v_add_co_ci_u32_e64 v71, null, s89, v14, vcc_lo
	s_and_saveexec_b32 s90, s43
	s_cbranch_execnz .LBB233_99
; %bb.31:                               ;   in Loop: Header=BB233_21 Depth=1
	s_or_b32 exec_lo, exec_lo, s90
	s_and_saveexec_b32 s90, s44
	s_cbranch_execnz .LBB233_100
.LBB233_32:                             ;   in Loop: Header=BB233_21 Depth=1
	s_or_b32 exec_lo, exec_lo, s90
	s_and_saveexec_b32 s90, s45
	s_cbranch_execnz .LBB233_101
.LBB233_33:                             ;   in Loop: Header=BB233_21 Depth=1
	s_or_b32 exec_lo, exec_lo, s90
	s_and_saveexec_b32 s90, s46
	s_cbranch_execnz .LBB233_102
.LBB233_34:                             ;   in Loop: Header=BB233_21 Depth=1
	s_or_b32 exec_lo, exec_lo, s90
	s_and_saveexec_b32 s90, s47
	s_cbranch_execnz .LBB233_103
.LBB233_35:                             ;   in Loop: Header=BB233_21 Depth=1
	s_or_b32 exec_lo, exec_lo, s90
	s_and_saveexec_b32 s90, s48
	s_cbranch_execnz .LBB233_104
.LBB233_36:                             ;   in Loop: Header=BB233_21 Depth=1
	s_or_b32 exec_lo, exec_lo, s90
	s_and_saveexec_b32 s90, s49
	s_cbranch_execnz .LBB233_105
.LBB233_37:                             ;   in Loop: Header=BB233_21 Depth=1
	s_or_b32 exec_lo, exec_lo, s90
	s_and_saveexec_b32 s90, s8
	s_cbranch_execz .LBB233_39
.LBB233_38:                             ;   in Loop: Header=BB233_21 Depth=1
	v_add_co_u32 v45, vcc_lo, v45, v62
	v_add_co_ci_u32_e64 v71, null, 0, v71, vcc_lo
	v_add_co_u32 v72, vcc_lo, v60, v41
	v_add_co_ci_u32_e64 v73, null, v61, v42, vcc_lo
	;; [unrolled: 2-line block ×5, first 2 shown]
	v_cndmask_b32_e64 v72, v72, v71, s0
	v_cndmask_b32_e64 v71, v74, v45, s0
	v_lshlrev_b64 v[73:74], 2, v[43:44]
	v_lshlrev_b64 v[43:44], 3, v[43:44]
	global_load_dwordx2 v[71:72], v[71:72], off
	v_add_co_u32 v73, vcc_lo, s30, v73
	v_add_co_ci_u32_e64 v74, null, s31, v74, vcc_lo
	v_add_co_u32 v43, vcc_lo, s26, v43
	v_add_co_ci_u32_e64 v44, null, s27, v44, vcc_lo
	global_store_dword v[73:74], v65, off offset:896
	s_waitcnt vmcnt(0)
	global_store_dwordx2 v[43:44], v[71:72], off offset:1792
.LBB233_39:                             ;   in Loop: Header=BB233_21 Depth=1
	s_or_b32 exec_lo, exec_lo, s90
	v_add_co_u32 v43, vcc_lo, v3, s9
	v_add_co_ci_u32_e64 v45, null, s87, v55, vcc_lo
	v_mad_u64_u32 v[43:44], null, v43, s16, s[22:23]
	v_mad_u64_u32 v[44:45], null, v45, s16, v[44:45]
	v_add_co_u32 v45, vcc_lo, s88, v15
	v_add_co_ci_u32_e64 v71, null, s89, v16, vcc_lo
	s_and_saveexec_b32 s90, s50
	s_cbranch_execnz .LBB233_106
; %bb.40:                               ;   in Loop: Header=BB233_21 Depth=1
	s_or_b32 exec_lo, exec_lo, s90
	s_and_saveexec_b32 s90, s51
	s_cbranch_execnz .LBB233_107
.LBB233_41:                             ;   in Loop: Header=BB233_21 Depth=1
	s_or_b32 exec_lo, exec_lo, s90
	s_and_saveexec_b32 s90, s52
	s_cbranch_execnz .LBB233_108
.LBB233_42:                             ;   in Loop: Header=BB233_21 Depth=1
	s_or_b32 exec_lo, exec_lo, s90
	s_and_saveexec_b32 s90, s53
	s_cbranch_execnz .LBB233_109
.LBB233_43:                             ;   in Loop: Header=BB233_21 Depth=1
	s_or_b32 exec_lo, exec_lo, s90
	s_and_saveexec_b32 s90, s54
	s_cbranch_execnz .LBB233_110
.LBB233_44:                             ;   in Loop: Header=BB233_21 Depth=1
	s_or_b32 exec_lo, exec_lo, s90
	s_and_saveexec_b32 s90, s55
	s_cbranch_execnz .LBB233_111
.LBB233_45:                             ;   in Loop: Header=BB233_21 Depth=1
	s_or_b32 exec_lo, exec_lo, s90
	s_and_saveexec_b32 s90, s56
	s_cbranch_execnz .LBB233_112
.LBB233_46:                             ;   in Loop: Header=BB233_21 Depth=1
	s_or_b32 exec_lo, exec_lo, s90
	s_and_saveexec_b32 s90, s6
	s_cbranch_execz .LBB233_48
.LBB233_47:                             ;   in Loop: Header=BB233_21 Depth=1
	v_add_co_u32 v45, vcc_lo, v45, v62
	v_add_co_ci_u32_e64 v71, null, 0, v71, vcc_lo
	v_add_co_u32 v72, vcc_lo, v60, v41
	v_add_co_ci_u32_e64 v73, null, v61, v42, vcc_lo
	;; [unrolled: 2-line block ×5, first 2 shown]
	v_cndmask_b32_e64 v72, v72, v71, s0
	v_cndmask_b32_e64 v71, v74, v45, s0
	v_lshlrev_b64 v[73:74], 2, v[43:44]
	v_lshlrev_b64 v[43:44], 3, v[43:44]
	global_load_dwordx2 v[71:72], v[71:72], off
	v_add_co_u32 v73, vcc_lo, s30, v73
	v_add_co_ci_u32_e64 v74, null, s31, v74, vcc_lo
	v_add_co_u32 v43, vcc_lo, s26, v43
	v_add_co_ci_u32_e64 v44, null, s27, v44, vcc_lo
	global_store_dword v[73:74], v65, off offset:896
	s_waitcnt vmcnt(0)
	global_store_dwordx2 v[43:44], v[71:72], off offset:1792
.LBB233_48:                             ;   in Loop: Header=BB233_21 Depth=1
	s_or_b32 exec_lo, exec_lo, s90
	v_add_co_u32 v43, vcc_lo, v4, s9
	v_add_co_ci_u32_e64 v45, null, s87, v56, vcc_lo
	v_mad_u64_u32 v[43:44], null, v43, s16, s[22:23]
	v_mad_u64_u32 v[44:45], null, v45, s16, v[44:45]
	v_add_co_u32 v45, vcc_lo, s88, v17
	v_add_co_ci_u32_e64 v71, null, s89, v18, vcc_lo
	s_and_saveexec_b32 s90, s57
	s_cbranch_execnz .LBB233_113
; %bb.49:                               ;   in Loop: Header=BB233_21 Depth=1
	s_or_b32 exec_lo, exec_lo, s90
	s_and_saveexec_b32 s90, s58
	s_cbranch_execnz .LBB233_114
.LBB233_50:                             ;   in Loop: Header=BB233_21 Depth=1
	s_or_b32 exec_lo, exec_lo, s90
	s_and_saveexec_b32 s90, s59
	s_cbranch_execnz .LBB233_115
.LBB233_51:                             ;   in Loop: Header=BB233_21 Depth=1
	s_or_b32 exec_lo, exec_lo, s90
	s_and_saveexec_b32 s90, s60
	s_cbranch_execnz .LBB233_116
.LBB233_52:                             ;   in Loop: Header=BB233_21 Depth=1
	s_or_b32 exec_lo, exec_lo, s90
	s_and_saveexec_b32 s90, s61
	s_cbranch_execnz .LBB233_117
.LBB233_53:                             ;   in Loop: Header=BB233_21 Depth=1
	s_or_b32 exec_lo, exec_lo, s90
	s_and_saveexec_b32 s90, s62
	s_cbranch_execnz .LBB233_118
.LBB233_54:                             ;   in Loop: Header=BB233_21 Depth=1
	s_or_b32 exec_lo, exec_lo, s90
	s_and_saveexec_b32 s90, s63
	s_cbranch_execnz .LBB233_119
.LBB233_55:                             ;   in Loop: Header=BB233_21 Depth=1
	s_or_b32 exec_lo, exec_lo, s90
	s_and_saveexec_b32 s90, s1
	s_cbranch_execz .LBB233_57
.LBB233_56:                             ;   in Loop: Header=BB233_21 Depth=1
	v_add_co_u32 v45, vcc_lo, v45, v62
	v_add_co_ci_u32_e64 v71, null, 0, v71, vcc_lo
	v_add_co_u32 v72, vcc_lo, v60, v41
	v_add_co_ci_u32_e64 v73, null, v61, v42, vcc_lo
	;; [unrolled: 2-line block ×5, first 2 shown]
	v_cndmask_b32_e64 v72, v72, v71, s0
	v_cndmask_b32_e64 v71, v74, v45, s0
	v_lshlrev_b64 v[73:74], 2, v[43:44]
	v_lshlrev_b64 v[43:44], 3, v[43:44]
	global_load_dwordx2 v[71:72], v[71:72], off
	v_add_co_u32 v73, vcc_lo, s30, v73
	v_add_co_ci_u32_e64 v74, null, s31, v74, vcc_lo
	v_add_co_u32 v43, vcc_lo, s26, v43
	v_add_co_ci_u32_e64 v44, null, s27, v44, vcc_lo
	global_store_dword v[73:74], v65, off offset:896
	s_waitcnt vmcnt(0)
	global_store_dwordx2 v[43:44], v[71:72], off offset:1792
.LBB233_57:                             ;   in Loop: Header=BB233_21 Depth=1
	s_or_b32 exec_lo, exec_lo, s90
	v_add_co_u32 v43, vcc_lo, v5, s9
	v_add_co_ci_u32_e64 v45, null, s87, v6, vcc_lo
	v_mad_u64_u32 v[43:44], null, v43, s16, s[22:23]
	v_mad_u64_u32 v[44:45], null, v45, s16, v[44:45]
	v_add_co_u32 v45, vcc_lo, s88, v19
	v_add_co_ci_u32_e64 v71, null, s89, v20, vcc_lo
	s_and_saveexec_b32 s90, s64
	s_cbranch_execnz .LBB233_120
; %bb.58:                               ;   in Loop: Header=BB233_21 Depth=1
	s_or_b32 exec_lo, exec_lo, s90
	s_and_saveexec_b32 s90, s65
	s_cbranch_execnz .LBB233_121
.LBB233_59:                             ;   in Loop: Header=BB233_21 Depth=1
	s_or_b32 exec_lo, exec_lo, s90
	s_and_saveexec_b32 s90, s66
	s_cbranch_execnz .LBB233_122
.LBB233_60:                             ;   in Loop: Header=BB233_21 Depth=1
	s_or_b32 exec_lo, exec_lo, s90
	s_and_saveexec_b32 s90, s67
	s_cbranch_execnz .LBB233_123
.LBB233_61:                             ;   in Loop: Header=BB233_21 Depth=1
	s_or_b32 exec_lo, exec_lo, s90
	s_and_saveexec_b32 s90, s68
	s_cbranch_execnz .LBB233_124
.LBB233_62:                             ;   in Loop: Header=BB233_21 Depth=1
	s_or_b32 exec_lo, exec_lo, s90
	s_and_saveexec_b32 s90, s69
	s_cbranch_execnz .LBB233_125
.LBB233_63:                             ;   in Loop: Header=BB233_21 Depth=1
	s_or_b32 exec_lo, exec_lo, s90
	s_and_saveexec_b32 s90, s70
	s_cbranch_execnz .LBB233_126
.LBB233_64:                             ;   in Loop: Header=BB233_21 Depth=1
	s_or_b32 exec_lo, exec_lo, s90
	s_and_saveexec_b32 s90, s71
	s_cbranch_execz .LBB233_66
.LBB233_65:                             ;   in Loop: Header=BB233_21 Depth=1
	v_add_co_u32 v45, vcc_lo, v45, v62
	v_add_co_ci_u32_e64 v71, null, 0, v71, vcc_lo
	v_add_co_u32 v72, vcc_lo, v60, v41
	v_add_co_ci_u32_e64 v73, null, v61, v42, vcc_lo
	;; [unrolled: 2-line block ×5, first 2 shown]
	v_cndmask_b32_e64 v72, v72, v71, s0
	v_cndmask_b32_e64 v71, v74, v45, s0
	v_lshlrev_b64 v[73:74], 2, v[43:44]
	v_lshlrev_b64 v[43:44], 3, v[43:44]
	global_load_dwordx2 v[71:72], v[71:72], off
	v_add_co_u32 v73, vcc_lo, s30, v73
	v_add_co_ci_u32_e64 v74, null, s31, v74, vcc_lo
	v_add_co_u32 v43, vcc_lo, s26, v43
	v_add_co_ci_u32_e64 v44, null, s27, v44, vcc_lo
	global_store_dword v[73:74], v65, off offset:896
	s_waitcnt vmcnt(0)
	global_store_dwordx2 v[43:44], v[71:72], off offset:1792
.LBB233_66:                             ;   in Loop: Header=BB233_21 Depth=1
	s_or_b32 exec_lo, exec_lo, s90
	v_add_co_u32 v43, vcc_lo, v7, s9
	v_add_co_ci_u32_e64 v45, null, s87, v8, vcc_lo
	v_mad_u64_u32 v[43:44], null, v43, s16, s[22:23]
	v_mad_u64_u32 v[44:45], null, v45, s16, v[44:45]
	v_add_co_u32 v45, vcc_lo, s88, v21
	v_add_co_ci_u32_e64 v71, null, s89, v22, vcc_lo
	s_and_saveexec_b32 s90, s72
	s_cbranch_execnz .LBB233_127
; %bb.67:                               ;   in Loop: Header=BB233_21 Depth=1
	s_or_b32 exec_lo, exec_lo, s90
	s_and_saveexec_b32 s90, s73
	s_cbranch_execnz .LBB233_128
.LBB233_68:                             ;   in Loop: Header=BB233_21 Depth=1
	s_or_b32 exec_lo, exec_lo, s90
	s_and_saveexec_b32 s90, s74
	s_cbranch_execnz .LBB233_129
.LBB233_69:                             ;   in Loop: Header=BB233_21 Depth=1
	s_or_b32 exec_lo, exec_lo, s90
	s_and_saveexec_b32 s90, s75
	s_cbranch_execnz .LBB233_130
.LBB233_70:                             ;   in Loop: Header=BB233_21 Depth=1
	s_or_b32 exec_lo, exec_lo, s90
	s_and_saveexec_b32 s90, s76
	s_cbranch_execnz .LBB233_131
.LBB233_71:                             ;   in Loop: Header=BB233_21 Depth=1
	s_or_b32 exec_lo, exec_lo, s90
	s_and_saveexec_b32 s90, s77
	s_cbranch_execnz .LBB233_132
.LBB233_72:                             ;   in Loop: Header=BB233_21 Depth=1
	s_or_b32 exec_lo, exec_lo, s90
	s_and_saveexec_b32 s90, s78
	s_cbranch_execnz .LBB233_133
.LBB233_73:                             ;   in Loop: Header=BB233_21 Depth=1
	s_or_b32 exec_lo, exec_lo, s90
	s_and_saveexec_b32 s90, s7
	s_cbranch_execz .LBB233_75
.LBB233_74:                             ;   in Loop: Header=BB233_21 Depth=1
	v_add_co_u32 v45, vcc_lo, v45, v62
	v_add_co_ci_u32_e64 v71, null, 0, v71, vcc_lo
	v_add_co_u32 v72, vcc_lo, v60, v41
	v_add_co_ci_u32_e64 v73, null, v61, v42, vcc_lo
	;; [unrolled: 2-line block ×5, first 2 shown]
	v_cndmask_b32_e64 v72, v72, v71, s0
	v_cndmask_b32_e64 v71, v74, v45, s0
	v_lshlrev_b64 v[73:74], 2, v[43:44]
	v_lshlrev_b64 v[43:44], 3, v[43:44]
	global_load_dwordx2 v[71:72], v[71:72], off
	v_add_co_u32 v73, vcc_lo, s30, v73
	v_add_co_ci_u32_e64 v74, null, s31, v74, vcc_lo
	v_add_co_u32 v43, vcc_lo, s26, v43
	v_add_co_ci_u32_e64 v44, null, s27, v44, vcc_lo
	global_store_dword v[73:74], v65, off offset:896
	s_waitcnt vmcnt(0)
	global_store_dwordx2 v[43:44], v[71:72], off offset:1792
.LBB233_75:                             ;   in Loop: Header=BB233_21 Depth=1
	s_or_b32 exec_lo, exec_lo, s90
	v_add_co_u32 v43, vcc_lo, v9, s9
	v_add_co_ci_u32_e64 v45, null, s87, v57, vcc_lo
	v_mad_u64_u32 v[43:44], null, v43, s16, s[22:23]
	v_mad_u64_u32 v[44:45], null, v45, s16, v[44:45]
	v_add_co_u32 v45, vcc_lo, s88, v23
	v_add_co_ci_u32_e64 v71, null, s89, v24, vcc_lo
	s_and_saveexec_b32 s90, s79
	s_cbranch_execnz .LBB233_134
; %bb.76:                               ;   in Loop: Header=BB233_21 Depth=1
	s_or_b32 exec_lo, exec_lo, s90
	s_and_saveexec_b32 s90, s80
	s_cbranch_execnz .LBB233_135
.LBB233_77:                             ;   in Loop: Header=BB233_21 Depth=1
	s_or_b32 exec_lo, exec_lo, s90
	s_and_saveexec_b32 s90, s81
	s_cbranch_execnz .LBB233_136
.LBB233_78:                             ;   in Loop: Header=BB233_21 Depth=1
	s_or_b32 exec_lo, exec_lo, s90
	s_and_saveexec_b32 s90, s82
	s_cbranch_execnz .LBB233_137
.LBB233_79:                             ;   in Loop: Header=BB233_21 Depth=1
	s_or_b32 exec_lo, exec_lo, s90
	s_and_saveexec_b32 s90, s83
	s_cbranch_execnz .LBB233_138
.LBB233_80:                             ;   in Loop: Header=BB233_21 Depth=1
	s_or_b32 exec_lo, exec_lo, s90
	s_and_saveexec_b32 s90, s84
	s_cbranch_execnz .LBB233_139
.LBB233_81:                             ;   in Loop: Header=BB233_21 Depth=1
	s_or_b32 exec_lo, exec_lo, s90
	s_and_saveexec_b32 s90, s85
	s_cbranch_execnz .LBB233_140
.LBB233_82:                             ;   in Loop: Header=BB233_21 Depth=1
	s_or_b32 exec_lo, exec_lo, s90
	s_and_saveexec_b32 s90, s10
	s_cbranch_execz .LBB233_84
.LBB233_83:                             ;   in Loop: Header=BB233_21 Depth=1
	v_add_co_u32 v45, vcc_lo, v45, v62
	v_add_co_ci_u32_e64 v71, null, 0, v71, vcc_lo
	v_add_co_u32 v72, vcc_lo, v60, v41
	v_add_co_ci_u32_e64 v73, null, v61, v42, vcc_lo
	;; [unrolled: 2-line block ×5, first 2 shown]
	v_cndmask_b32_e64 v72, v72, v71, s0
	v_cndmask_b32_e64 v71, v74, v45, s0
	v_lshlrev_b64 v[73:74], 2, v[43:44]
	v_lshlrev_b64 v[43:44], 3, v[43:44]
	global_load_dwordx2 v[71:72], v[71:72], off
	v_add_co_u32 v73, vcc_lo, s30, v73
	v_add_co_ci_u32_e64 v74, null, s31, v74, vcc_lo
	v_add_co_u32 v43, vcc_lo, s26, v43
	v_add_co_ci_u32_e64 v44, null, s27, v44, vcc_lo
	global_store_dword v[73:74], v65, off offset:896
	s_waitcnt vmcnt(0)
	global_store_dwordx2 v[43:44], v[71:72], off offset:1792
.LBB233_84:                             ;   in Loop: Header=BB233_21 Depth=1
	s_or_b32 exec_lo, exec_lo, s90
	v_add_co_u32 v43, vcc_lo, v10, s9
	v_add_co_ci_u32_e64 v45, null, s87, v58, vcc_lo
	v_mad_u64_u32 v[43:44], null, v43, s16, s[22:23]
	v_mad_u64_u32 v[44:45], null, v45, s16, v[44:45]
	v_add_co_u32 v45, vcc_lo, s88, v25
	v_add_co_ci_u32_e64 v71, null, s89, v26, vcc_lo
	s_and_saveexec_b32 s9, s86
	s_cbranch_execnz .LBB233_141
; %bb.85:                               ;   in Loop: Header=BB233_21 Depth=1
	s_or_b32 exec_lo, exec_lo, s9
	s_and_saveexec_b32 s9, s11
	s_cbranch_execnz .LBB233_142
.LBB233_86:                             ;   in Loop: Header=BB233_21 Depth=1
	s_or_b32 exec_lo, exec_lo, s9
	s_and_saveexec_b32 s9, s12
	s_cbranch_execnz .LBB233_143
.LBB233_87:                             ;   in Loop: Header=BB233_21 Depth=1
	s_or_b32 exec_lo, exec_lo, s9
	s_and_saveexec_b32 s9, s13
	s_cbranch_execnz .LBB233_144
.LBB233_88:                             ;   in Loop: Header=BB233_21 Depth=1
	s_or_b32 exec_lo, exec_lo, s9
	s_and_saveexec_b32 s9, s14
	s_cbranch_execnz .LBB233_145
.LBB233_89:                             ;   in Loop: Header=BB233_21 Depth=1
	s_or_b32 exec_lo, exec_lo, s9
	s_and_saveexec_b32 s9, s15
	s_cbranch_execnz .LBB233_146
.LBB233_90:                             ;   in Loop: Header=BB233_21 Depth=1
	s_or_b32 exec_lo, exec_lo, s9
	s_and_saveexec_b32 s9, s4
	s_cbranch_execnz .LBB233_147
.LBB233_91:                             ;   in Loop: Header=BB233_21 Depth=1
	s_or_b32 exec_lo, exec_lo, s9
	s_and_saveexec_b32 s9, s5
	s_cbranch_execz .LBB233_20
	s_branch .LBB233_148
.LBB233_92:                             ;   in Loop: Header=BB233_21 Depth=1
	v_add_co_u32 v63, vcc_lo, v45, v62
	v_add_co_ci_u32_e64 v64, null, 0, v71, vcc_lo
	v_add_co_u32 v65, vcc_lo, v60, v27
	v_add_co_ci_u32_e64 v66, null, v61, v28, vcc_lo
	v_cndmask_b32_e64 v63, v65, v63, s0
	v_add_co_u32 v65, vcc_lo, v43, v46
	v_cndmask_b32_e64 v64, v66, v64, s0
	v_add_co_ci_u32_e64 v66, null, 0, v44, vcc_lo
	global_load_dwordx2 v[63:64], v[63:64], off
	v_lshlrev_b64 v[69:70], 2, v[65:66]
	v_lshlrev_b64 v[65:66], 3, v[65:66]
	v_add_co_u32 v69, vcc_lo, s30, v69
	v_add_co_ci_u32_e64 v70, null, s31, v70, vcc_lo
	v_add_co_u32 v65, vcc_lo, s26, v65
	v_add_co_ci_u32_e64 v66, null, s27, v66, vcc_lo
	global_store_dword v[69:70], v68, off
	s_waitcnt vmcnt(0)
	global_store_dwordx2 v[65:66], v[63:64], off
	s_or_b32 exec_lo, exec_lo, s91
	v_add_nc_u32_e32 v70, s90, v47
	s_and_saveexec_b32 s91, s36
	s_cbranch_execz .LBB233_23
.LBB233_93:                             ;   in Loop: Header=BB233_21 Depth=1
	v_add_co_u32 v63, vcc_lo, v45, v62
	v_add_co_ci_u32_e64 v64, null, 0, v71, vcc_lo
	v_add_co_u32 v63, vcc_lo, 0x100, v63
	v_add_co_ci_u32_e64 v64, null, 0, v64, vcc_lo
	;; [unrolled: 2-line block ×3, first 2 shown]
	v_cndmask_b32_e64 v63, v65, v63, s0
	v_add_co_u32 v65, vcc_lo, v43, v46
	v_cndmask_b32_e64 v64, v66, v64, s0
	v_add_co_ci_u32_e64 v66, null, 0, v44, vcc_lo
	global_load_dwordx2 v[63:64], v[63:64], off
	v_lshlrev_b64 v[72:73], 2, v[65:66]
	v_lshlrev_b64 v[65:66], 3, v[65:66]
	v_add_co_u32 v72, vcc_lo, s30, v72
	v_add_co_ci_u32_e64 v73, null, s31, v73, vcc_lo
	v_add_co_u32 v65, vcc_lo, s26, v65
	v_add_co_ci_u32_e64 v66, null, s27, v66, vcc_lo
	global_store_dword v[72:73], v70, off offset:128
	s_waitcnt vmcnt(0)
	global_store_dwordx2 v[65:66], v[63:64], off offset:256
	s_or_b32 exec_lo, exec_lo, s91
	v_add_nc_u32_e32 v69, s90, v48
	s_and_saveexec_b32 s91, s37
	s_cbranch_execz .LBB233_24
.LBB233_94:                             ;   in Loop: Header=BB233_21 Depth=1
	v_add_co_u32 v63, vcc_lo, v45, v62
	v_add_co_ci_u32_e64 v64, null, 0, v71, vcc_lo
	v_add_co_u32 v63, vcc_lo, 0x200, v63
	v_add_co_ci_u32_e64 v64, null, 0, v64, vcc_lo
	;; [unrolled: 2-line block ×3, first 2 shown]
	v_cndmask_b32_e64 v63, v65, v63, s0
	v_add_co_u32 v65, vcc_lo, v43, v46
	v_cndmask_b32_e64 v64, v66, v64, s0
	v_add_co_ci_u32_e64 v66, null, 0, v44, vcc_lo
	global_load_dwordx2 v[63:64], v[63:64], off
	v_lshlrev_b64 v[72:73], 2, v[65:66]
	v_lshlrev_b64 v[65:66], 3, v[65:66]
	v_add_co_u32 v72, vcc_lo, s30, v72
	v_add_co_ci_u32_e64 v73, null, s31, v73, vcc_lo
	v_add_co_u32 v65, vcc_lo, s26, v65
	v_add_co_ci_u32_e64 v66, null, s27, v66, vcc_lo
	global_store_dword v[72:73], v69, off offset:256
	s_waitcnt vmcnt(0)
	global_store_dwordx2 v[65:66], v[63:64], off offset:512
	s_or_b32 exec_lo, exec_lo, s91
	v_add_nc_u32_e32 v67, s90, v49
	s_and_saveexec_b32 s91, s38
	s_cbranch_execz .LBB233_25
.LBB233_95:                             ;   in Loop: Header=BB233_21 Depth=1
	v_add_co_u32 v63, vcc_lo, v45, v62
	v_add_co_ci_u32_e64 v64, null, 0, v71, vcc_lo
	v_add_co_u32 v63, vcc_lo, 0x300, v63
	v_add_co_ci_u32_e64 v64, null, 0, v64, vcc_lo
	v_add_co_u32 v65, vcc_lo, v60, v33
	v_add_co_ci_u32_e64 v66, null, v61, v34, vcc_lo
	v_cndmask_b32_e64 v63, v65, v63, s0
	v_add_co_u32 v65, vcc_lo, v43, v46
	v_cndmask_b32_e64 v64, v66, v64, s0
	v_add_co_ci_u32_e64 v66, null, 0, v44, vcc_lo
	global_load_dwordx2 v[63:64], v[63:64], off
	v_lshlrev_b64 v[72:73], 2, v[65:66]
	v_lshlrev_b64 v[65:66], 3, v[65:66]
	v_add_co_u32 v72, vcc_lo, s30, v72
	v_add_co_ci_u32_e64 v73, null, s31, v73, vcc_lo
	v_add_co_u32 v65, vcc_lo, s26, v65
	v_add_co_ci_u32_e64 v66, null, s27, v66, vcc_lo
	global_store_dword v[72:73], v67, off offset:384
	s_waitcnt vmcnt(0)
	global_store_dwordx2 v[65:66], v[63:64], off offset:768
	s_or_b32 exec_lo, exec_lo, s91
	v_add_nc_u32_e32 v66, s90, v50
	s_and_saveexec_b32 s91, s39
	s_cbranch_execz .LBB233_26
.LBB233_96:                             ;   in Loop: Header=BB233_21 Depth=1
	v_add_co_u32 v63, vcc_lo, v45, v62
	v_add_co_ci_u32_e64 v64, null, 0, v71, vcc_lo
	v_add_co_u32 v63, vcc_lo, 0x400, v63
	v_add_co_ci_u32_e64 v64, null, 0, v64, vcc_lo
	;; [unrolled: 2-line block ×3, first 2 shown]
	v_cndmask_b32_e64 v63, v65, v63, s0
	v_cndmask_b32_e64 v64, v72, v64, s0
	v_add_co_u32 v72, vcc_lo, v43, v46
	v_add_co_ci_u32_e64 v73, null, 0, v44, vcc_lo
	global_load_dwordx2 v[63:64], v[63:64], off
	v_lshlrev_b64 v[74:75], 2, v[72:73]
	v_lshlrev_b64 v[72:73], 3, v[72:73]
	v_add_co_u32 v74, vcc_lo, s30, v74
	v_add_co_ci_u32_e64 v75, null, s31, v75, vcc_lo
	v_add_co_u32 v72, vcc_lo, s26, v72
	v_add_co_ci_u32_e64 v73, null, s27, v73, vcc_lo
	global_store_dword v[74:75], v66, off offset:512
	s_waitcnt vmcnt(0)
	global_store_dwordx2 v[72:73], v[63:64], off offset:1024
	s_or_b32 exec_lo, exec_lo, s91
	v_add_nc_u32_e32 v64, s90, v51
	s_and_saveexec_b32 s91, s40
	s_cbranch_execz .LBB233_27
.LBB233_97:                             ;   in Loop: Header=BB233_21 Depth=1
	v_add_co_u32 v63, vcc_lo, v45, v62
	v_add_co_ci_u32_e64 v65, null, 0, v71, vcc_lo
	v_add_co_u32 v63, vcc_lo, 0x500, v63
	v_add_co_ci_u32_e64 v65, null, 0, v65, vcc_lo
	;; [unrolled: 2-line block ×3, first 2 shown]
	v_add_co_u32 v74, vcc_lo, v43, v46
	v_cndmask_b32_e64 v72, v72, v63, s0
	v_cndmask_b32_e64 v73, v73, v65, s0
	v_add_co_ci_u32_e64 v75, null, 0, v44, vcc_lo
	global_load_dwordx2 v[72:73], v[72:73], off
	v_lshlrev_b64 v[76:77], 2, v[74:75]
	v_lshlrev_b64 v[74:75], 3, v[74:75]
	v_add_co_u32 v76, vcc_lo, s30, v76
	v_add_co_ci_u32_e64 v77, null, s31, v77, vcc_lo
	v_add_co_u32 v74, vcc_lo, s26, v74
	v_add_co_ci_u32_e64 v75, null, s27, v75, vcc_lo
	global_store_dword v[76:77], v64, off offset:640
	s_waitcnt vmcnt(0)
	global_store_dwordx2 v[74:75], v[72:73], off offset:1280
	s_or_b32 exec_lo, exec_lo, s91
	v_add_nc_u32_e32 v63, s90, v52
	s_and_saveexec_b32 s91, s41
	s_cbranch_execz .LBB233_28
.LBB233_98:                             ;   in Loop: Header=BB233_21 Depth=1
	v_add_co_u32 v65, vcc_lo, v45, v62
	v_add_co_ci_u32_e64 v72, null, 0, v71, vcc_lo
	v_add_co_u32 v65, vcc_lo, 0x600, v65
	v_add_co_ci_u32_e64 v72, null, 0, v72, vcc_lo
	;; [unrolled: 2-line block ×3, first 2 shown]
	v_cndmask_b32_e64 v73, v73, v72, s0
	v_cndmask_b32_e64 v72, v74, v65, s0
	v_add_co_u32 v74, vcc_lo, v43, v46
	v_add_co_ci_u32_e64 v75, null, 0, v44, vcc_lo
	global_load_dwordx2 v[72:73], v[72:73], off
	v_lshlrev_b64 v[76:77], 2, v[74:75]
	v_lshlrev_b64 v[74:75], 3, v[74:75]
	v_add_co_u32 v76, vcc_lo, s30, v76
	v_add_co_ci_u32_e64 v77, null, s31, v77, vcc_lo
	v_add_co_u32 v74, vcc_lo, s26, v74
	v_add_co_ci_u32_e64 v75, null, s27, v75, vcc_lo
	global_store_dword v[76:77], v63, off offset:768
	s_waitcnt vmcnt(0)
	global_store_dwordx2 v[74:75], v[72:73], off offset:1536
	s_or_b32 exec_lo, exec_lo, s91
	v_add_nc_u32_e32 v65, s90, v53
	s_and_saveexec_b32 s90, s42
	s_cbranch_execnz .LBB233_29
	s_branch .LBB233_30
.LBB233_99:                             ;   in Loop: Header=BB233_21 Depth=1
	v_add_co_u32 v72, vcc_lo, v60, v27
	v_add_co_ci_u32_e64 v73, null, v61, v28, vcc_lo
	v_add_co_u32 v74, vcc_lo, v45, v62
	v_add_co_ci_u32_e64 v75, null, 0, v71, vcc_lo
	;; [unrolled: 2-line block ×3, first 2 shown]
	v_cndmask_b32_e64 v72, v72, v74, s0
	v_add_co_u32 v74, vcc_lo, v43, v46
	v_cndmask_b32_e64 v73, v73, v75, s0
	v_add_co_ci_u32_e64 v75, null, 0, v44, vcc_lo
	global_load_dwordx2 v[72:73], v[72:73], off
	v_lshlrev_b64 v[76:77], 2, v[74:75]
	v_lshlrev_b64 v[74:75], 3, v[74:75]
	v_add_co_u32 v76, vcc_lo, s30, v76
	v_add_co_ci_u32_e64 v77, null, s31, v77, vcc_lo
	v_add_co_u32 v74, vcc_lo, s26, v74
	v_add_co_ci_u32_e64 v75, null, s27, v75, vcc_lo
	global_store_dword v[76:77], v68, off
	s_waitcnt vmcnt(0)
	global_store_dwordx2 v[74:75], v[72:73], off
	s_or_b32 exec_lo, exec_lo, s90
	s_and_saveexec_b32 s90, s44
	s_cbranch_execz .LBB233_32
.LBB233_100:                            ;   in Loop: Header=BB233_21 Depth=1
	v_add_co_u32 v72, vcc_lo, v45, v62
	v_add_co_ci_u32_e64 v73, null, 0, v71, vcc_lo
	v_add_co_u32 v74, vcc_lo, v60, v29
	v_add_co_ci_u32_e64 v75, null, v61, v30, vcc_lo
	v_cndmask_b32_e64 v72, v74, v72, s0
	v_add_co_u32 v74, vcc_lo, v43, v46
	v_cndmask_b32_e64 v73, v75, v73, s0
	v_add_co_ci_u32_e64 v75, null, 0, v44, vcc_lo
	global_load_dwordx2 v[72:73], v[72:73], off offset:256
	v_lshlrev_b64 v[76:77], 2, v[74:75]
	v_lshlrev_b64 v[74:75], 3, v[74:75]
	v_add_co_u32 v76, vcc_lo, s30, v76
	v_add_co_ci_u32_e64 v77, null, s31, v77, vcc_lo
	v_add_co_u32 v74, vcc_lo, s26, v74
	v_add_co_ci_u32_e64 v75, null, s27, v75, vcc_lo
	global_store_dword v[76:77], v70, off offset:128
	s_waitcnt vmcnt(0)
	global_store_dwordx2 v[74:75], v[72:73], off offset:256
	s_or_b32 exec_lo, exec_lo, s90
	s_and_saveexec_b32 s90, s45
	s_cbranch_execz .LBB233_33
.LBB233_101:                            ;   in Loop: Header=BB233_21 Depth=1
	v_add_co_u32 v72, vcc_lo, v45, v62
	v_add_co_ci_u32_e64 v73, null, 0, v71, vcc_lo
	v_add_co_u32 v74, vcc_lo, v60, v31
	v_add_co_ci_u32_e64 v75, null, v61, v32, vcc_lo
	;; [unrolled: 2-line block ×4, first 2 shown]
	v_cndmask_b32_e64 v72, v74, v72, s0
	v_add_co_u32 v74, vcc_lo, v43, v46
	v_cndmask_b32_e64 v73, v75, v73, s0
	v_add_co_ci_u32_e64 v75, null, 0, v44, vcc_lo
	global_load_dwordx2 v[72:73], v[72:73], off
	v_lshlrev_b64 v[76:77], 2, v[74:75]
	v_lshlrev_b64 v[74:75], 3, v[74:75]
	v_add_co_u32 v76, vcc_lo, s30, v76
	v_add_co_ci_u32_e64 v77, null, s31, v77, vcc_lo
	v_add_co_u32 v74, vcc_lo, s26, v74
	v_add_co_ci_u32_e64 v75, null, s27, v75, vcc_lo
	global_store_dword v[76:77], v69, off offset:256
	s_waitcnt vmcnt(0)
	global_store_dwordx2 v[74:75], v[72:73], off offset:512
	s_or_b32 exec_lo, exec_lo, s90
	s_and_saveexec_b32 s90, s46
	s_cbranch_execz .LBB233_34
.LBB233_102:                            ;   in Loop: Header=BB233_21 Depth=1
	v_add_co_u32 v72, vcc_lo, v45, v62
	v_add_co_ci_u32_e64 v73, null, 0, v71, vcc_lo
	v_add_co_u32 v74, vcc_lo, v60, v33
	v_add_co_ci_u32_e64 v75, null, v61, v34, vcc_lo
	v_add_co_u32 v72, vcc_lo, 0x300, v72
	v_add_co_ci_u32_e64 v73, null, 0, v73, vcc_lo
	v_add_co_u32 v74, vcc_lo, 0x100, v74
	v_add_co_ci_u32_e64 v75, null, 0, v75, vcc_lo
	v_cndmask_b32_e64 v72, v74, v72, s0
	v_add_co_u32 v74, vcc_lo, v43, v46
	v_cndmask_b32_e64 v73, v75, v73, s0
	v_add_co_ci_u32_e64 v75, null, 0, v44, vcc_lo
	global_load_dwordx2 v[72:73], v[72:73], off
	v_lshlrev_b64 v[76:77], 2, v[74:75]
	v_lshlrev_b64 v[74:75], 3, v[74:75]
	v_add_co_u32 v76, vcc_lo, s30, v76
	v_add_co_ci_u32_e64 v77, null, s31, v77, vcc_lo
	v_add_co_u32 v74, vcc_lo, s26, v74
	v_add_co_ci_u32_e64 v75, null, s27, v75, vcc_lo
	global_store_dword v[76:77], v67, off offset:384
	s_waitcnt vmcnt(0)
	global_store_dwordx2 v[74:75], v[72:73], off offset:768
	s_or_b32 exec_lo, exec_lo, s90
	s_and_saveexec_b32 s90, s47
	s_cbranch_execz .LBB233_35
.LBB233_103:                            ;   in Loop: Header=BB233_21 Depth=1
	v_add_co_u32 v72, vcc_lo, v45, v62
	v_add_co_ci_u32_e64 v73, null, 0, v71, vcc_lo
	v_add_co_u32 v74, vcc_lo, v60, v35
	v_add_co_ci_u32_e64 v75, null, v61, v36, vcc_lo
	;; [unrolled: 2-line block ×4, first 2 shown]
	v_cndmask_b32_e64 v72, v74, v72, s0
	v_add_co_u32 v74, vcc_lo, v43, v46
	v_cndmask_b32_e64 v73, v75, v73, s0
	v_add_co_ci_u32_e64 v75, null, 0, v44, vcc_lo
	global_load_dwordx2 v[72:73], v[72:73], off
	v_lshlrev_b64 v[76:77], 2, v[74:75]
	v_lshlrev_b64 v[74:75], 3, v[74:75]
	v_add_co_u32 v76, vcc_lo, s30, v76
	v_add_co_ci_u32_e64 v77, null, s31, v77, vcc_lo
	v_add_co_u32 v74, vcc_lo, s26, v74
	v_add_co_ci_u32_e64 v75, null, s27, v75, vcc_lo
	global_store_dword v[76:77], v66, off offset:512
	s_waitcnt vmcnt(0)
	global_store_dwordx2 v[74:75], v[72:73], off offset:1024
	s_or_b32 exec_lo, exec_lo, s90
	s_and_saveexec_b32 s90, s48
	s_cbranch_execz .LBB233_36
.LBB233_104:                            ;   in Loop: Header=BB233_21 Depth=1
	v_add_co_u32 v72, vcc_lo, v45, v62
	v_add_co_ci_u32_e64 v73, null, 0, v71, vcc_lo
	v_add_co_u32 v74, vcc_lo, v60, v37
	v_add_co_ci_u32_e64 v75, null, v61, v38, vcc_lo
	;; [unrolled: 2-line block ×4, first 2 shown]
	v_cndmask_b32_e64 v72, v74, v72, s0
	v_add_co_u32 v74, vcc_lo, v43, v46
	v_cndmask_b32_e64 v73, v75, v73, s0
	v_add_co_ci_u32_e64 v75, null, 0, v44, vcc_lo
	global_load_dwordx2 v[72:73], v[72:73], off
	v_lshlrev_b64 v[76:77], 2, v[74:75]
	v_lshlrev_b64 v[74:75], 3, v[74:75]
	v_add_co_u32 v76, vcc_lo, s30, v76
	v_add_co_ci_u32_e64 v77, null, s31, v77, vcc_lo
	v_add_co_u32 v74, vcc_lo, s26, v74
	v_add_co_ci_u32_e64 v75, null, s27, v75, vcc_lo
	global_store_dword v[76:77], v64, off offset:640
	s_waitcnt vmcnt(0)
	global_store_dwordx2 v[74:75], v[72:73], off offset:1280
	s_or_b32 exec_lo, exec_lo, s90
	s_and_saveexec_b32 s90, s49
	s_cbranch_execz .LBB233_37
.LBB233_105:                            ;   in Loop: Header=BB233_21 Depth=1
	v_add_co_u32 v72, vcc_lo, v45, v62
	v_add_co_ci_u32_e64 v73, null, 0, v71, vcc_lo
	v_add_co_u32 v74, vcc_lo, v60, v39
	v_add_co_ci_u32_e64 v75, null, v61, v40, vcc_lo
	;; [unrolled: 2-line block ×4, first 2 shown]
	v_cndmask_b32_e64 v72, v74, v72, s0
	v_add_co_u32 v74, vcc_lo, v43, v46
	v_cndmask_b32_e64 v73, v75, v73, s0
	v_add_co_ci_u32_e64 v75, null, 0, v44, vcc_lo
	global_load_dwordx2 v[72:73], v[72:73], off
	v_lshlrev_b64 v[76:77], 2, v[74:75]
	v_lshlrev_b64 v[74:75], 3, v[74:75]
	v_add_co_u32 v76, vcc_lo, s30, v76
	v_add_co_ci_u32_e64 v77, null, s31, v77, vcc_lo
	v_add_co_u32 v74, vcc_lo, s26, v74
	v_add_co_ci_u32_e64 v75, null, s27, v75, vcc_lo
	global_store_dword v[76:77], v63, off offset:768
	s_waitcnt vmcnt(0)
	global_store_dwordx2 v[74:75], v[72:73], off offset:1536
	s_or_b32 exec_lo, exec_lo, s90
	s_and_saveexec_b32 s90, s8
	s_cbranch_execnz .LBB233_38
	s_branch .LBB233_39
.LBB233_106:                            ;   in Loop: Header=BB233_21 Depth=1
	v_add_co_u32 v72, vcc_lo, v60, v27
	v_add_co_ci_u32_e64 v73, null, v61, v28, vcc_lo
	v_add_co_u32 v74, vcc_lo, v45, v62
	v_add_co_ci_u32_e64 v75, null, 0, v71, vcc_lo
	;; [unrolled: 2-line block ×3, first 2 shown]
	v_cndmask_b32_e64 v72, v72, v74, s0
	v_add_co_u32 v74, vcc_lo, v43, v46
	v_cndmask_b32_e64 v73, v73, v75, s0
	v_add_co_ci_u32_e64 v75, null, 0, v44, vcc_lo
	global_load_dwordx2 v[72:73], v[72:73], off
	v_lshlrev_b64 v[76:77], 2, v[74:75]
	v_lshlrev_b64 v[74:75], 3, v[74:75]
	v_add_co_u32 v76, vcc_lo, s30, v76
	v_add_co_ci_u32_e64 v77, null, s31, v77, vcc_lo
	v_add_co_u32 v74, vcc_lo, s26, v74
	v_add_co_ci_u32_e64 v75, null, s27, v75, vcc_lo
	global_store_dword v[76:77], v68, off
	s_waitcnt vmcnt(0)
	global_store_dwordx2 v[74:75], v[72:73], off
	s_or_b32 exec_lo, exec_lo, s90
	s_and_saveexec_b32 s90, s51
	s_cbranch_execz .LBB233_41
.LBB233_107:                            ;   in Loop: Header=BB233_21 Depth=1
	v_add_co_u32 v72, vcc_lo, v45, v62
	v_add_co_ci_u32_e64 v73, null, 0, v71, vcc_lo
	v_add_co_u32 v74, vcc_lo, v60, v29
	v_add_co_ci_u32_e64 v75, null, v61, v30, vcc_lo
	;; [unrolled: 2-line block ×4, first 2 shown]
	v_cndmask_b32_e64 v72, v74, v72, s0
	v_add_co_u32 v74, vcc_lo, v43, v46
	v_cndmask_b32_e64 v73, v75, v73, s0
	v_add_co_ci_u32_e64 v75, null, 0, v44, vcc_lo
	global_load_dwordx2 v[72:73], v[72:73], off
	v_lshlrev_b64 v[76:77], 2, v[74:75]
	v_lshlrev_b64 v[74:75], 3, v[74:75]
	v_add_co_u32 v76, vcc_lo, s30, v76
	v_add_co_ci_u32_e64 v77, null, s31, v77, vcc_lo
	v_add_co_u32 v74, vcc_lo, s26, v74
	v_add_co_ci_u32_e64 v75, null, s27, v75, vcc_lo
	global_store_dword v[76:77], v70, off offset:128
	s_waitcnt vmcnt(0)
	global_store_dwordx2 v[74:75], v[72:73], off offset:256
	s_or_b32 exec_lo, exec_lo, s90
	s_and_saveexec_b32 s90, s52
	s_cbranch_execz .LBB233_42
.LBB233_108:                            ;   in Loop: Header=BB233_21 Depth=1
	v_add_co_u32 v72, vcc_lo, v45, v62
	v_add_co_ci_u32_e64 v73, null, 0, v71, vcc_lo
	v_add_co_u32 v74, vcc_lo, v60, v31
	v_add_co_ci_u32_e64 v75, null, v61, v32, vcc_lo
	v_cndmask_b32_e64 v72, v74, v72, s0
	v_add_co_u32 v74, vcc_lo, v43, v46
	v_cndmask_b32_e64 v73, v75, v73, s0
	v_add_co_ci_u32_e64 v75, null, 0, v44, vcc_lo
	global_load_dwordx2 v[72:73], v[72:73], off offset:512
	v_lshlrev_b64 v[76:77], 2, v[74:75]
	v_lshlrev_b64 v[74:75], 3, v[74:75]
	v_add_co_u32 v76, vcc_lo, s30, v76
	v_add_co_ci_u32_e64 v77, null, s31, v77, vcc_lo
	v_add_co_u32 v74, vcc_lo, s26, v74
	v_add_co_ci_u32_e64 v75, null, s27, v75, vcc_lo
	global_store_dword v[76:77], v69, off offset:256
	s_waitcnt vmcnt(0)
	global_store_dwordx2 v[74:75], v[72:73], off offset:512
	s_or_b32 exec_lo, exec_lo, s90
	s_and_saveexec_b32 s90, s53
	s_cbranch_execz .LBB233_43
.LBB233_109:                            ;   in Loop: Header=BB233_21 Depth=1
	v_add_co_u32 v72, vcc_lo, v45, v62
	v_add_co_ci_u32_e64 v73, null, 0, v71, vcc_lo
	v_add_co_u32 v74, vcc_lo, v60, v33
	v_add_co_ci_u32_e64 v75, null, v61, v34, vcc_lo
	v_add_co_u32 v72, vcc_lo, 0x300, v72
	v_add_co_ci_u32_e64 v73, null, 0, v73, vcc_lo
	v_add_co_u32 v74, vcc_lo, 0x200, v74
	v_add_co_ci_u32_e64 v75, null, 0, v75, vcc_lo
	v_cndmask_b32_e64 v72, v74, v72, s0
	v_add_co_u32 v74, vcc_lo, v43, v46
	v_cndmask_b32_e64 v73, v75, v73, s0
	v_add_co_ci_u32_e64 v75, null, 0, v44, vcc_lo
	global_load_dwordx2 v[72:73], v[72:73], off
	v_lshlrev_b64 v[76:77], 2, v[74:75]
	v_lshlrev_b64 v[74:75], 3, v[74:75]
	v_add_co_u32 v76, vcc_lo, s30, v76
	v_add_co_ci_u32_e64 v77, null, s31, v77, vcc_lo
	v_add_co_u32 v74, vcc_lo, s26, v74
	v_add_co_ci_u32_e64 v75, null, s27, v75, vcc_lo
	global_store_dword v[76:77], v67, off offset:384
	s_waitcnt vmcnt(0)
	global_store_dwordx2 v[74:75], v[72:73], off offset:768
	s_or_b32 exec_lo, exec_lo, s90
	s_and_saveexec_b32 s90, s54
	s_cbranch_execz .LBB233_44
.LBB233_110:                            ;   in Loop: Header=BB233_21 Depth=1
	v_add_co_u32 v72, vcc_lo, v45, v62
	v_add_co_ci_u32_e64 v73, null, 0, v71, vcc_lo
	v_add_co_u32 v74, vcc_lo, v60, v35
	v_add_co_ci_u32_e64 v75, null, v61, v36, vcc_lo
	;; [unrolled: 2-line block ×4, first 2 shown]
	v_cndmask_b32_e64 v72, v74, v72, s0
	v_add_co_u32 v74, vcc_lo, v43, v46
	v_cndmask_b32_e64 v73, v75, v73, s0
	v_add_co_ci_u32_e64 v75, null, 0, v44, vcc_lo
	global_load_dwordx2 v[72:73], v[72:73], off
	v_lshlrev_b64 v[76:77], 2, v[74:75]
	v_lshlrev_b64 v[74:75], 3, v[74:75]
	v_add_co_u32 v76, vcc_lo, s30, v76
	v_add_co_ci_u32_e64 v77, null, s31, v77, vcc_lo
	v_add_co_u32 v74, vcc_lo, s26, v74
	v_add_co_ci_u32_e64 v75, null, s27, v75, vcc_lo
	global_store_dword v[76:77], v66, off offset:512
	s_waitcnt vmcnt(0)
	global_store_dwordx2 v[74:75], v[72:73], off offset:1024
	s_or_b32 exec_lo, exec_lo, s90
	s_and_saveexec_b32 s90, s55
	s_cbranch_execz .LBB233_45
.LBB233_111:                            ;   in Loop: Header=BB233_21 Depth=1
	v_add_co_u32 v72, vcc_lo, v45, v62
	v_add_co_ci_u32_e64 v73, null, 0, v71, vcc_lo
	v_add_co_u32 v74, vcc_lo, v60, v37
	v_add_co_ci_u32_e64 v75, null, v61, v38, vcc_lo
	;; [unrolled: 2-line block ×4, first 2 shown]
	v_cndmask_b32_e64 v72, v74, v72, s0
	v_add_co_u32 v74, vcc_lo, v43, v46
	v_cndmask_b32_e64 v73, v75, v73, s0
	v_add_co_ci_u32_e64 v75, null, 0, v44, vcc_lo
	global_load_dwordx2 v[72:73], v[72:73], off
	v_lshlrev_b64 v[76:77], 2, v[74:75]
	v_lshlrev_b64 v[74:75], 3, v[74:75]
	v_add_co_u32 v76, vcc_lo, s30, v76
	v_add_co_ci_u32_e64 v77, null, s31, v77, vcc_lo
	v_add_co_u32 v74, vcc_lo, s26, v74
	v_add_co_ci_u32_e64 v75, null, s27, v75, vcc_lo
	global_store_dword v[76:77], v64, off offset:640
	s_waitcnt vmcnt(0)
	global_store_dwordx2 v[74:75], v[72:73], off offset:1280
	s_or_b32 exec_lo, exec_lo, s90
	s_and_saveexec_b32 s90, s56
	s_cbranch_execz .LBB233_46
.LBB233_112:                            ;   in Loop: Header=BB233_21 Depth=1
	v_add_co_u32 v72, vcc_lo, v45, v62
	v_add_co_ci_u32_e64 v73, null, 0, v71, vcc_lo
	v_add_co_u32 v74, vcc_lo, v60, v39
	v_add_co_ci_u32_e64 v75, null, v61, v40, vcc_lo
	;; [unrolled: 2-line block ×4, first 2 shown]
	v_cndmask_b32_e64 v72, v74, v72, s0
	v_add_co_u32 v74, vcc_lo, v43, v46
	v_cndmask_b32_e64 v73, v75, v73, s0
	v_add_co_ci_u32_e64 v75, null, 0, v44, vcc_lo
	global_load_dwordx2 v[72:73], v[72:73], off
	v_lshlrev_b64 v[76:77], 2, v[74:75]
	v_lshlrev_b64 v[74:75], 3, v[74:75]
	v_add_co_u32 v76, vcc_lo, s30, v76
	v_add_co_ci_u32_e64 v77, null, s31, v77, vcc_lo
	v_add_co_u32 v74, vcc_lo, s26, v74
	v_add_co_ci_u32_e64 v75, null, s27, v75, vcc_lo
	global_store_dword v[76:77], v63, off offset:768
	s_waitcnt vmcnt(0)
	global_store_dwordx2 v[74:75], v[72:73], off offset:1536
	s_or_b32 exec_lo, exec_lo, s90
	s_and_saveexec_b32 s90, s6
	s_cbranch_execnz .LBB233_47
	s_branch .LBB233_48
.LBB233_113:                            ;   in Loop: Header=BB233_21 Depth=1
	v_add_co_u32 v72, vcc_lo, v60, v27
	v_add_co_ci_u32_e64 v73, null, v61, v28, vcc_lo
	v_add_co_u32 v74, vcc_lo, v45, v62
	v_add_co_ci_u32_e64 v75, null, 0, v71, vcc_lo
	;; [unrolled: 2-line block ×3, first 2 shown]
	v_cndmask_b32_e64 v72, v72, v74, s0
	v_add_co_u32 v74, vcc_lo, v43, v46
	v_cndmask_b32_e64 v73, v73, v75, s0
	v_add_co_ci_u32_e64 v75, null, 0, v44, vcc_lo
	global_load_dwordx2 v[72:73], v[72:73], off
	v_lshlrev_b64 v[76:77], 2, v[74:75]
	v_lshlrev_b64 v[74:75], 3, v[74:75]
	v_add_co_u32 v76, vcc_lo, s30, v76
	v_add_co_ci_u32_e64 v77, null, s31, v77, vcc_lo
	v_add_co_u32 v74, vcc_lo, s26, v74
	v_add_co_ci_u32_e64 v75, null, s27, v75, vcc_lo
	global_store_dword v[76:77], v68, off
	s_waitcnt vmcnt(0)
	global_store_dwordx2 v[74:75], v[72:73], off
	s_or_b32 exec_lo, exec_lo, s90
	s_and_saveexec_b32 s90, s58
	s_cbranch_execz .LBB233_50
.LBB233_114:                            ;   in Loop: Header=BB233_21 Depth=1
	v_add_co_u32 v72, vcc_lo, v45, v62
	v_add_co_ci_u32_e64 v73, null, 0, v71, vcc_lo
	v_add_co_u32 v74, vcc_lo, v60, v29
	v_add_co_ci_u32_e64 v75, null, v61, v30, vcc_lo
	;; [unrolled: 2-line block ×4, first 2 shown]
	v_cndmask_b32_e64 v72, v74, v72, s0
	v_add_co_u32 v74, vcc_lo, v43, v46
	v_cndmask_b32_e64 v73, v75, v73, s0
	v_add_co_ci_u32_e64 v75, null, 0, v44, vcc_lo
	global_load_dwordx2 v[72:73], v[72:73], off
	v_lshlrev_b64 v[76:77], 2, v[74:75]
	v_lshlrev_b64 v[74:75], 3, v[74:75]
	v_add_co_u32 v76, vcc_lo, s30, v76
	v_add_co_ci_u32_e64 v77, null, s31, v77, vcc_lo
	v_add_co_u32 v74, vcc_lo, s26, v74
	v_add_co_ci_u32_e64 v75, null, s27, v75, vcc_lo
	global_store_dword v[76:77], v70, off offset:128
	s_waitcnt vmcnt(0)
	global_store_dwordx2 v[74:75], v[72:73], off offset:256
	s_or_b32 exec_lo, exec_lo, s90
	s_and_saveexec_b32 s90, s59
	s_cbranch_execz .LBB233_51
.LBB233_115:                            ;   in Loop: Header=BB233_21 Depth=1
	v_add_co_u32 v72, vcc_lo, v45, v62
	v_add_co_ci_u32_e64 v73, null, 0, v71, vcc_lo
	v_add_co_u32 v74, vcc_lo, v60, v31
	v_add_co_ci_u32_e64 v75, null, v61, v32, vcc_lo
	;; [unrolled: 2-line block ×4, first 2 shown]
	v_cndmask_b32_e64 v72, v74, v72, s0
	v_add_co_u32 v74, vcc_lo, v43, v46
	v_cndmask_b32_e64 v73, v75, v73, s0
	v_add_co_ci_u32_e64 v75, null, 0, v44, vcc_lo
	global_load_dwordx2 v[72:73], v[72:73], off
	v_lshlrev_b64 v[76:77], 2, v[74:75]
	v_lshlrev_b64 v[74:75], 3, v[74:75]
	v_add_co_u32 v76, vcc_lo, s30, v76
	v_add_co_ci_u32_e64 v77, null, s31, v77, vcc_lo
	v_add_co_u32 v74, vcc_lo, s26, v74
	v_add_co_ci_u32_e64 v75, null, s27, v75, vcc_lo
	global_store_dword v[76:77], v69, off offset:256
	s_waitcnt vmcnt(0)
	global_store_dwordx2 v[74:75], v[72:73], off offset:512
	s_or_b32 exec_lo, exec_lo, s90
	s_and_saveexec_b32 s90, s60
	s_cbranch_execz .LBB233_52
.LBB233_116:                            ;   in Loop: Header=BB233_21 Depth=1
	v_add_co_u32 v72, vcc_lo, v45, v62
	v_add_co_ci_u32_e64 v73, null, 0, v71, vcc_lo
	v_add_co_u32 v74, vcc_lo, v60, v33
	v_add_co_ci_u32_e64 v75, null, v61, v34, vcc_lo
	v_cndmask_b32_e64 v72, v74, v72, s0
	v_add_co_u32 v74, vcc_lo, v43, v46
	v_cndmask_b32_e64 v73, v75, v73, s0
	v_add_co_ci_u32_e64 v75, null, 0, v44, vcc_lo
	global_load_dwordx2 v[72:73], v[72:73], off offset:768
	v_lshlrev_b64 v[76:77], 2, v[74:75]
	v_lshlrev_b64 v[74:75], 3, v[74:75]
	v_add_co_u32 v76, vcc_lo, s30, v76
	v_add_co_ci_u32_e64 v77, null, s31, v77, vcc_lo
	v_add_co_u32 v74, vcc_lo, s26, v74
	v_add_co_ci_u32_e64 v75, null, s27, v75, vcc_lo
	global_store_dword v[76:77], v67, off offset:384
	s_waitcnt vmcnt(0)
	global_store_dwordx2 v[74:75], v[72:73], off offset:768
	s_or_b32 exec_lo, exec_lo, s90
	s_and_saveexec_b32 s90, s61
	s_cbranch_execz .LBB233_53
.LBB233_117:                            ;   in Loop: Header=BB233_21 Depth=1
	v_add_co_u32 v72, vcc_lo, v45, v62
	v_add_co_ci_u32_e64 v73, null, 0, v71, vcc_lo
	v_add_co_u32 v74, vcc_lo, v60, v35
	v_add_co_ci_u32_e64 v75, null, v61, v36, vcc_lo
	;; [unrolled: 2-line block ×4, first 2 shown]
	v_cndmask_b32_e64 v72, v74, v72, s0
	v_add_co_u32 v74, vcc_lo, v43, v46
	v_cndmask_b32_e64 v73, v75, v73, s0
	v_add_co_ci_u32_e64 v75, null, 0, v44, vcc_lo
	global_load_dwordx2 v[72:73], v[72:73], off
	v_lshlrev_b64 v[76:77], 2, v[74:75]
	v_lshlrev_b64 v[74:75], 3, v[74:75]
	v_add_co_u32 v76, vcc_lo, s30, v76
	v_add_co_ci_u32_e64 v77, null, s31, v77, vcc_lo
	v_add_co_u32 v74, vcc_lo, s26, v74
	v_add_co_ci_u32_e64 v75, null, s27, v75, vcc_lo
	global_store_dword v[76:77], v66, off offset:512
	s_waitcnt vmcnt(0)
	global_store_dwordx2 v[74:75], v[72:73], off offset:1024
	s_or_b32 exec_lo, exec_lo, s90
	s_and_saveexec_b32 s90, s62
	s_cbranch_execz .LBB233_54
.LBB233_118:                            ;   in Loop: Header=BB233_21 Depth=1
	v_add_co_u32 v72, vcc_lo, v45, v62
	v_add_co_ci_u32_e64 v73, null, 0, v71, vcc_lo
	v_add_co_u32 v74, vcc_lo, v60, v37
	v_add_co_ci_u32_e64 v75, null, v61, v38, vcc_lo
	;; [unrolled: 2-line block ×4, first 2 shown]
	v_cndmask_b32_e64 v72, v74, v72, s0
	v_add_co_u32 v74, vcc_lo, v43, v46
	v_cndmask_b32_e64 v73, v75, v73, s0
	v_add_co_ci_u32_e64 v75, null, 0, v44, vcc_lo
	global_load_dwordx2 v[72:73], v[72:73], off
	v_lshlrev_b64 v[76:77], 2, v[74:75]
	v_lshlrev_b64 v[74:75], 3, v[74:75]
	v_add_co_u32 v76, vcc_lo, s30, v76
	v_add_co_ci_u32_e64 v77, null, s31, v77, vcc_lo
	v_add_co_u32 v74, vcc_lo, s26, v74
	v_add_co_ci_u32_e64 v75, null, s27, v75, vcc_lo
	global_store_dword v[76:77], v64, off offset:640
	s_waitcnt vmcnt(0)
	global_store_dwordx2 v[74:75], v[72:73], off offset:1280
	s_or_b32 exec_lo, exec_lo, s90
	s_and_saveexec_b32 s90, s63
	s_cbranch_execz .LBB233_55
.LBB233_119:                            ;   in Loop: Header=BB233_21 Depth=1
	v_add_co_u32 v72, vcc_lo, v45, v62
	v_add_co_ci_u32_e64 v73, null, 0, v71, vcc_lo
	v_add_co_u32 v74, vcc_lo, v60, v39
	v_add_co_ci_u32_e64 v75, null, v61, v40, vcc_lo
	;; [unrolled: 2-line block ×4, first 2 shown]
	v_cndmask_b32_e64 v72, v74, v72, s0
	v_add_co_u32 v74, vcc_lo, v43, v46
	v_cndmask_b32_e64 v73, v75, v73, s0
	v_add_co_ci_u32_e64 v75, null, 0, v44, vcc_lo
	global_load_dwordx2 v[72:73], v[72:73], off
	v_lshlrev_b64 v[76:77], 2, v[74:75]
	v_lshlrev_b64 v[74:75], 3, v[74:75]
	v_add_co_u32 v76, vcc_lo, s30, v76
	v_add_co_ci_u32_e64 v77, null, s31, v77, vcc_lo
	v_add_co_u32 v74, vcc_lo, s26, v74
	v_add_co_ci_u32_e64 v75, null, s27, v75, vcc_lo
	global_store_dword v[76:77], v63, off offset:768
	s_waitcnt vmcnt(0)
	global_store_dwordx2 v[74:75], v[72:73], off offset:1536
	s_or_b32 exec_lo, exec_lo, s90
	s_and_saveexec_b32 s90, s1
	s_cbranch_execnz .LBB233_56
	s_branch .LBB233_57
.LBB233_120:                            ;   in Loop: Header=BB233_21 Depth=1
	v_add_co_u32 v72, vcc_lo, v60, v27
	v_add_co_ci_u32_e64 v73, null, v61, v28, vcc_lo
	v_add_co_u32 v74, vcc_lo, v45, v62
	v_add_co_ci_u32_e64 v75, null, 0, v71, vcc_lo
	;; [unrolled: 2-line block ×3, first 2 shown]
	v_cndmask_b32_e64 v72, v72, v74, s0
	v_add_co_u32 v74, vcc_lo, v43, v46
	v_cndmask_b32_e64 v73, v73, v75, s0
	v_add_co_ci_u32_e64 v75, null, 0, v44, vcc_lo
	global_load_dwordx2 v[72:73], v[72:73], off
	v_lshlrev_b64 v[76:77], 2, v[74:75]
	v_lshlrev_b64 v[74:75], 3, v[74:75]
	v_add_co_u32 v76, vcc_lo, s30, v76
	v_add_co_ci_u32_e64 v77, null, s31, v77, vcc_lo
	v_add_co_u32 v74, vcc_lo, s26, v74
	v_add_co_ci_u32_e64 v75, null, s27, v75, vcc_lo
	global_store_dword v[76:77], v68, off
	s_waitcnt vmcnt(0)
	global_store_dwordx2 v[74:75], v[72:73], off
	s_or_b32 exec_lo, exec_lo, s90
	s_and_saveexec_b32 s90, s65
	s_cbranch_execz .LBB233_59
.LBB233_121:                            ;   in Loop: Header=BB233_21 Depth=1
	v_add_co_u32 v72, vcc_lo, v45, v62
	v_add_co_ci_u32_e64 v73, null, 0, v71, vcc_lo
	v_add_co_u32 v74, vcc_lo, v60, v29
	v_add_co_ci_u32_e64 v75, null, v61, v30, vcc_lo
	;; [unrolled: 2-line block ×4, first 2 shown]
	v_cndmask_b32_e64 v72, v74, v72, s0
	v_add_co_u32 v74, vcc_lo, v43, v46
	v_cndmask_b32_e64 v73, v75, v73, s0
	v_add_co_ci_u32_e64 v75, null, 0, v44, vcc_lo
	global_load_dwordx2 v[72:73], v[72:73], off
	v_lshlrev_b64 v[76:77], 2, v[74:75]
	v_lshlrev_b64 v[74:75], 3, v[74:75]
	v_add_co_u32 v76, vcc_lo, s30, v76
	v_add_co_ci_u32_e64 v77, null, s31, v77, vcc_lo
	v_add_co_u32 v74, vcc_lo, s26, v74
	v_add_co_ci_u32_e64 v75, null, s27, v75, vcc_lo
	global_store_dword v[76:77], v70, off offset:128
	s_waitcnt vmcnt(0)
	global_store_dwordx2 v[74:75], v[72:73], off offset:256
	s_or_b32 exec_lo, exec_lo, s90
	s_and_saveexec_b32 s90, s66
	s_cbranch_execz .LBB233_60
.LBB233_122:                            ;   in Loop: Header=BB233_21 Depth=1
	v_add_co_u32 v72, vcc_lo, v45, v62
	v_add_co_ci_u32_e64 v73, null, 0, v71, vcc_lo
	v_add_co_u32 v74, vcc_lo, v60, v31
	v_add_co_ci_u32_e64 v75, null, v61, v32, vcc_lo
	;; [unrolled: 2-line block ×4, first 2 shown]
	v_cndmask_b32_e64 v72, v74, v72, s0
	v_add_co_u32 v74, vcc_lo, v43, v46
	v_cndmask_b32_e64 v73, v75, v73, s0
	v_add_co_ci_u32_e64 v75, null, 0, v44, vcc_lo
	global_load_dwordx2 v[72:73], v[72:73], off
	v_lshlrev_b64 v[76:77], 2, v[74:75]
	v_lshlrev_b64 v[74:75], 3, v[74:75]
	v_add_co_u32 v76, vcc_lo, s30, v76
	v_add_co_ci_u32_e64 v77, null, s31, v77, vcc_lo
	v_add_co_u32 v74, vcc_lo, s26, v74
	v_add_co_ci_u32_e64 v75, null, s27, v75, vcc_lo
	global_store_dword v[76:77], v69, off offset:256
	s_waitcnt vmcnt(0)
	global_store_dwordx2 v[74:75], v[72:73], off offset:512
	s_or_b32 exec_lo, exec_lo, s90
	s_and_saveexec_b32 s90, s67
	s_cbranch_execz .LBB233_61
.LBB233_123:                            ;   in Loop: Header=BB233_21 Depth=1
	v_add_co_u32 v72, vcc_lo, v45, v62
	v_add_co_ci_u32_e64 v73, null, 0, v71, vcc_lo
	v_add_co_u32 v74, vcc_lo, v60, v33
	v_add_co_ci_u32_e64 v75, null, v61, v34, vcc_lo
	;; [unrolled: 2-line block ×4, first 2 shown]
	v_cndmask_b32_e64 v72, v74, v72, s0
	v_add_co_u32 v74, vcc_lo, v43, v46
	v_cndmask_b32_e64 v73, v75, v73, s0
	v_add_co_ci_u32_e64 v75, null, 0, v44, vcc_lo
	global_load_dwordx2 v[72:73], v[72:73], off
	v_lshlrev_b64 v[76:77], 2, v[74:75]
	v_lshlrev_b64 v[74:75], 3, v[74:75]
	v_add_co_u32 v76, vcc_lo, s30, v76
	v_add_co_ci_u32_e64 v77, null, s31, v77, vcc_lo
	v_add_co_u32 v74, vcc_lo, s26, v74
	v_add_co_ci_u32_e64 v75, null, s27, v75, vcc_lo
	global_store_dword v[76:77], v67, off offset:384
	s_waitcnt vmcnt(0)
	global_store_dwordx2 v[74:75], v[72:73], off offset:768
	s_or_b32 exec_lo, exec_lo, s90
	s_and_saveexec_b32 s90, s68
	s_cbranch_execz .LBB233_62
.LBB233_124:                            ;   in Loop: Header=BB233_21 Depth=1
	v_add_co_u32 v72, vcc_lo, v45, v62
	v_add_co_ci_u32_e64 v73, null, 0, v71, vcc_lo
	v_add_co_u32 v74, vcc_lo, v60, v35
	v_add_co_ci_u32_e64 v75, null, v61, v36, vcc_lo
	v_cndmask_b32_e64 v72, v74, v72, s0
	v_add_co_u32 v74, vcc_lo, v43, v46
	v_cndmask_b32_e64 v73, v75, v73, s0
	v_add_co_ci_u32_e64 v75, null, 0, v44, vcc_lo
	global_load_dwordx2 v[72:73], v[72:73], off offset:1024
	v_lshlrev_b64 v[76:77], 2, v[74:75]
	v_lshlrev_b64 v[74:75], 3, v[74:75]
	v_add_co_u32 v76, vcc_lo, s30, v76
	v_add_co_ci_u32_e64 v77, null, s31, v77, vcc_lo
	v_add_co_u32 v74, vcc_lo, s26, v74
	v_add_co_ci_u32_e64 v75, null, s27, v75, vcc_lo
	global_store_dword v[76:77], v66, off offset:512
	s_waitcnt vmcnt(0)
	global_store_dwordx2 v[74:75], v[72:73], off offset:1024
	s_or_b32 exec_lo, exec_lo, s90
	s_and_saveexec_b32 s90, s69
	s_cbranch_execz .LBB233_63
.LBB233_125:                            ;   in Loop: Header=BB233_21 Depth=1
	v_add_co_u32 v72, vcc_lo, v45, v62
	v_add_co_ci_u32_e64 v73, null, 0, v71, vcc_lo
	v_add_co_u32 v74, vcc_lo, v60, v37
	v_add_co_ci_u32_e64 v75, null, v61, v38, vcc_lo
	;; [unrolled: 2-line block ×4, first 2 shown]
	v_cndmask_b32_e64 v72, v74, v72, s0
	v_add_co_u32 v74, vcc_lo, v43, v46
	v_cndmask_b32_e64 v73, v75, v73, s0
	v_add_co_ci_u32_e64 v75, null, 0, v44, vcc_lo
	global_load_dwordx2 v[72:73], v[72:73], off
	v_lshlrev_b64 v[76:77], 2, v[74:75]
	v_lshlrev_b64 v[74:75], 3, v[74:75]
	v_add_co_u32 v76, vcc_lo, s30, v76
	v_add_co_ci_u32_e64 v77, null, s31, v77, vcc_lo
	v_add_co_u32 v74, vcc_lo, s26, v74
	v_add_co_ci_u32_e64 v75, null, s27, v75, vcc_lo
	global_store_dword v[76:77], v64, off offset:640
	s_waitcnt vmcnt(0)
	global_store_dwordx2 v[74:75], v[72:73], off offset:1280
	s_or_b32 exec_lo, exec_lo, s90
	s_and_saveexec_b32 s90, s70
	s_cbranch_execz .LBB233_64
.LBB233_126:                            ;   in Loop: Header=BB233_21 Depth=1
	v_add_co_u32 v72, vcc_lo, v45, v62
	v_add_co_ci_u32_e64 v73, null, 0, v71, vcc_lo
	v_add_co_u32 v74, vcc_lo, v60, v39
	v_add_co_ci_u32_e64 v75, null, v61, v40, vcc_lo
	;; [unrolled: 2-line block ×4, first 2 shown]
	v_cndmask_b32_e64 v72, v74, v72, s0
	v_add_co_u32 v74, vcc_lo, v43, v46
	v_cndmask_b32_e64 v73, v75, v73, s0
	v_add_co_ci_u32_e64 v75, null, 0, v44, vcc_lo
	global_load_dwordx2 v[72:73], v[72:73], off
	v_lshlrev_b64 v[76:77], 2, v[74:75]
	v_lshlrev_b64 v[74:75], 3, v[74:75]
	v_add_co_u32 v76, vcc_lo, s30, v76
	v_add_co_ci_u32_e64 v77, null, s31, v77, vcc_lo
	v_add_co_u32 v74, vcc_lo, s26, v74
	v_add_co_ci_u32_e64 v75, null, s27, v75, vcc_lo
	global_store_dword v[76:77], v63, off offset:768
	s_waitcnt vmcnt(0)
	global_store_dwordx2 v[74:75], v[72:73], off offset:1536
	s_or_b32 exec_lo, exec_lo, s90
	s_and_saveexec_b32 s90, s71
	s_cbranch_execnz .LBB233_65
	s_branch .LBB233_66
.LBB233_127:                            ;   in Loop: Header=BB233_21 Depth=1
	v_add_co_u32 v72, vcc_lo, v60, v27
	v_add_co_ci_u32_e64 v73, null, v61, v28, vcc_lo
	v_add_co_u32 v74, vcc_lo, v45, v62
	v_add_co_ci_u32_e64 v75, null, 0, v71, vcc_lo
	;; [unrolled: 2-line block ×3, first 2 shown]
	v_cndmask_b32_e64 v72, v72, v74, s0
	v_add_co_u32 v74, vcc_lo, v43, v46
	v_cndmask_b32_e64 v73, v73, v75, s0
	v_add_co_ci_u32_e64 v75, null, 0, v44, vcc_lo
	global_load_dwordx2 v[72:73], v[72:73], off
	v_lshlrev_b64 v[76:77], 2, v[74:75]
	v_lshlrev_b64 v[74:75], 3, v[74:75]
	v_add_co_u32 v76, vcc_lo, s30, v76
	v_add_co_ci_u32_e64 v77, null, s31, v77, vcc_lo
	v_add_co_u32 v74, vcc_lo, s26, v74
	v_add_co_ci_u32_e64 v75, null, s27, v75, vcc_lo
	global_store_dword v[76:77], v68, off
	s_waitcnt vmcnt(0)
	global_store_dwordx2 v[74:75], v[72:73], off
	s_or_b32 exec_lo, exec_lo, s90
	s_and_saveexec_b32 s90, s73
	s_cbranch_execz .LBB233_68
.LBB233_128:                            ;   in Loop: Header=BB233_21 Depth=1
	v_add_co_u32 v72, vcc_lo, v45, v62
	v_add_co_ci_u32_e64 v73, null, 0, v71, vcc_lo
	v_add_co_u32 v74, vcc_lo, v60, v29
	v_add_co_ci_u32_e64 v75, null, v61, v30, vcc_lo
	;; [unrolled: 2-line block ×4, first 2 shown]
	v_cndmask_b32_e64 v72, v74, v72, s0
	v_add_co_u32 v74, vcc_lo, v43, v46
	v_cndmask_b32_e64 v73, v75, v73, s0
	v_add_co_ci_u32_e64 v75, null, 0, v44, vcc_lo
	global_load_dwordx2 v[72:73], v[72:73], off
	v_lshlrev_b64 v[76:77], 2, v[74:75]
	v_lshlrev_b64 v[74:75], 3, v[74:75]
	v_add_co_u32 v76, vcc_lo, s30, v76
	v_add_co_ci_u32_e64 v77, null, s31, v77, vcc_lo
	v_add_co_u32 v74, vcc_lo, s26, v74
	v_add_co_ci_u32_e64 v75, null, s27, v75, vcc_lo
	global_store_dword v[76:77], v70, off offset:128
	s_waitcnt vmcnt(0)
	global_store_dwordx2 v[74:75], v[72:73], off offset:256
	s_or_b32 exec_lo, exec_lo, s90
	s_and_saveexec_b32 s90, s74
	s_cbranch_execz .LBB233_69
.LBB233_129:                            ;   in Loop: Header=BB233_21 Depth=1
	v_add_co_u32 v72, vcc_lo, v45, v62
	v_add_co_ci_u32_e64 v73, null, 0, v71, vcc_lo
	v_add_co_u32 v74, vcc_lo, v60, v31
	v_add_co_ci_u32_e64 v75, null, v61, v32, vcc_lo
	v_add_co_u32 v72, vcc_lo, 0x200, v72
	v_add_co_ci_u32_e64 v73, null, 0, v73, vcc_lo
	v_add_co_u32 v74, vcc_lo, 0x500, v74
	v_add_co_ci_u32_e64 v75, null, 0, v75, vcc_lo
	v_cndmask_b32_e64 v72, v74, v72, s0
	v_add_co_u32 v74, vcc_lo, v43, v46
	v_cndmask_b32_e64 v73, v75, v73, s0
	v_add_co_ci_u32_e64 v75, null, 0, v44, vcc_lo
	global_load_dwordx2 v[72:73], v[72:73], off
	v_lshlrev_b64 v[76:77], 2, v[74:75]
	v_lshlrev_b64 v[74:75], 3, v[74:75]
	v_add_co_u32 v76, vcc_lo, s30, v76
	v_add_co_ci_u32_e64 v77, null, s31, v77, vcc_lo
	v_add_co_u32 v74, vcc_lo, s26, v74
	v_add_co_ci_u32_e64 v75, null, s27, v75, vcc_lo
	global_store_dword v[76:77], v69, off offset:256
	s_waitcnt vmcnt(0)
	global_store_dwordx2 v[74:75], v[72:73], off offset:512
	s_or_b32 exec_lo, exec_lo, s90
	s_and_saveexec_b32 s90, s75
	s_cbranch_execz .LBB233_70
.LBB233_130:                            ;   in Loop: Header=BB233_21 Depth=1
	v_add_co_u32 v72, vcc_lo, v45, v62
	v_add_co_ci_u32_e64 v73, null, 0, v71, vcc_lo
	v_add_co_u32 v74, vcc_lo, v60, v33
	v_add_co_ci_u32_e64 v75, null, v61, v34, vcc_lo
	;; [unrolled: 2-line block ×4, first 2 shown]
	v_cndmask_b32_e64 v72, v74, v72, s0
	v_add_co_u32 v74, vcc_lo, v43, v46
	v_cndmask_b32_e64 v73, v75, v73, s0
	v_add_co_ci_u32_e64 v75, null, 0, v44, vcc_lo
	global_load_dwordx2 v[72:73], v[72:73], off
	v_lshlrev_b64 v[76:77], 2, v[74:75]
	v_lshlrev_b64 v[74:75], 3, v[74:75]
	v_add_co_u32 v76, vcc_lo, s30, v76
	v_add_co_ci_u32_e64 v77, null, s31, v77, vcc_lo
	v_add_co_u32 v74, vcc_lo, s26, v74
	v_add_co_ci_u32_e64 v75, null, s27, v75, vcc_lo
	global_store_dword v[76:77], v67, off offset:384
	s_waitcnt vmcnt(0)
	global_store_dwordx2 v[74:75], v[72:73], off offset:768
	s_or_b32 exec_lo, exec_lo, s90
	s_and_saveexec_b32 s90, s76
	s_cbranch_execz .LBB233_71
.LBB233_131:                            ;   in Loop: Header=BB233_21 Depth=1
	v_add_co_u32 v72, vcc_lo, v45, v62
	v_add_co_ci_u32_e64 v73, null, 0, v71, vcc_lo
	v_add_co_u32 v74, vcc_lo, v60, v35
	v_add_co_ci_u32_e64 v75, null, v61, v36, vcc_lo
	;; [unrolled: 2-line block ×4, first 2 shown]
	v_cndmask_b32_e64 v72, v74, v72, s0
	v_add_co_u32 v74, vcc_lo, v43, v46
	v_cndmask_b32_e64 v73, v75, v73, s0
	v_add_co_ci_u32_e64 v75, null, 0, v44, vcc_lo
	global_load_dwordx2 v[72:73], v[72:73], off
	v_lshlrev_b64 v[76:77], 2, v[74:75]
	v_lshlrev_b64 v[74:75], 3, v[74:75]
	v_add_co_u32 v76, vcc_lo, s30, v76
	v_add_co_ci_u32_e64 v77, null, s31, v77, vcc_lo
	v_add_co_u32 v74, vcc_lo, s26, v74
	v_add_co_ci_u32_e64 v75, null, s27, v75, vcc_lo
	global_store_dword v[76:77], v66, off offset:512
	s_waitcnt vmcnt(0)
	global_store_dwordx2 v[74:75], v[72:73], off offset:1024
	s_or_b32 exec_lo, exec_lo, s90
	s_and_saveexec_b32 s90, s77
	s_cbranch_execz .LBB233_72
.LBB233_132:                            ;   in Loop: Header=BB233_21 Depth=1
	v_add_co_u32 v72, vcc_lo, v45, v62
	v_add_co_ci_u32_e64 v73, null, 0, v71, vcc_lo
	v_add_co_u32 v74, vcc_lo, v60, v37
	v_add_co_ci_u32_e64 v75, null, v61, v38, vcc_lo
	v_cndmask_b32_e64 v72, v74, v72, s0
	v_add_co_u32 v74, vcc_lo, v43, v46
	v_cndmask_b32_e64 v73, v75, v73, s0
	v_add_co_ci_u32_e64 v75, null, 0, v44, vcc_lo
	global_load_dwordx2 v[72:73], v[72:73], off offset:1280
	v_lshlrev_b64 v[76:77], 2, v[74:75]
	v_lshlrev_b64 v[74:75], 3, v[74:75]
	v_add_co_u32 v76, vcc_lo, s30, v76
	v_add_co_ci_u32_e64 v77, null, s31, v77, vcc_lo
	v_add_co_u32 v74, vcc_lo, s26, v74
	v_add_co_ci_u32_e64 v75, null, s27, v75, vcc_lo
	global_store_dword v[76:77], v64, off offset:640
	s_waitcnt vmcnt(0)
	global_store_dwordx2 v[74:75], v[72:73], off offset:1280
	s_or_b32 exec_lo, exec_lo, s90
	s_and_saveexec_b32 s90, s78
	s_cbranch_execz .LBB233_73
.LBB233_133:                            ;   in Loop: Header=BB233_21 Depth=1
	v_add_co_u32 v72, vcc_lo, v45, v62
	v_add_co_ci_u32_e64 v73, null, 0, v71, vcc_lo
	v_add_co_u32 v74, vcc_lo, v60, v39
	v_add_co_ci_u32_e64 v75, null, v61, v40, vcc_lo
	v_add_co_u32 v72, vcc_lo, 0x600, v72
	v_add_co_ci_u32_e64 v73, null, 0, v73, vcc_lo
	v_add_co_u32 v74, vcc_lo, 0x500, v74
	v_add_co_ci_u32_e64 v75, null, 0, v75, vcc_lo
	v_cndmask_b32_e64 v72, v74, v72, s0
	v_add_co_u32 v74, vcc_lo, v43, v46
	v_cndmask_b32_e64 v73, v75, v73, s0
	v_add_co_ci_u32_e64 v75, null, 0, v44, vcc_lo
	global_load_dwordx2 v[72:73], v[72:73], off
	v_lshlrev_b64 v[76:77], 2, v[74:75]
	v_lshlrev_b64 v[74:75], 3, v[74:75]
	v_add_co_u32 v76, vcc_lo, s30, v76
	v_add_co_ci_u32_e64 v77, null, s31, v77, vcc_lo
	v_add_co_u32 v74, vcc_lo, s26, v74
	v_add_co_ci_u32_e64 v75, null, s27, v75, vcc_lo
	global_store_dword v[76:77], v63, off offset:768
	s_waitcnt vmcnt(0)
	global_store_dwordx2 v[74:75], v[72:73], off offset:1536
	s_or_b32 exec_lo, exec_lo, s90
	s_and_saveexec_b32 s90, s7
	s_cbranch_execnz .LBB233_74
	s_branch .LBB233_75
.LBB233_134:                            ;   in Loop: Header=BB233_21 Depth=1
	v_add_co_u32 v72, vcc_lo, v60, v27
	v_add_co_ci_u32_e64 v73, null, v61, v28, vcc_lo
	v_add_co_u32 v74, vcc_lo, v45, v62
	v_add_co_ci_u32_e64 v75, null, 0, v71, vcc_lo
	;; [unrolled: 2-line block ×3, first 2 shown]
	v_cndmask_b32_e64 v72, v72, v74, s0
	v_add_co_u32 v74, vcc_lo, v43, v46
	v_cndmask_b32_e64 v73, v73, v75, s0
	v_add_co_ci_u32_e64 v75, null, 0, v44, vcc_lo
	global_load_dwordx2 v[72:73], v[72:73], off
	v_lshlrev_b64 v[76:77], 2, v[74:75]
	v_lshlrev_b64 v[74:75], 3, v[74:75]
	v_add_co_u32 v76, vcc_lo, s30, v76
	v_add_co_ci_u32_e64 v77, null, s31, v77, vcc_lo
	v_add_co_u32 v74, vcc_lo, s26, v74
	v_add_co_ci_u32_e64 v75, null, s27, v75, vcc_lo
	global_store_dword v[76:77], v68, off
	s_waitcnt vmcnt(0)
	global_store_dwordx2 v[74:75], v[72:73], off
	s_or_b32 exec_lo, exec_lo, s90
	s_and_saveexec_b32 s90, s80
	s_cbranch_execz .LBB233_77
.LBB233_135:                            ;   in Loop: Header=BB233_21 Depth=1
	v_add_co_u32 v72, vcc_lo, v45, v62
	v_add_co_ci_u32_e64 v73, null, 0, v71, vcc_lo
	v_add_co_u32 v74, vcc_lo, v60, v29
	v_add_co_ci_u32_e64 v75, null, v61, v30, vcc_lo
	;; [unrolled: 2-line block ×4, first 2 shown]
	v_cndmask_b32_e64 v72, v74, v72, s0
	v_add_co_u32 v74, vcc_lo, v43, v46
	v_cndmask_b32_e64 v73, v75, v73, s0
	v_add_co_ci_u32_e64 v75, null, 0, v44, vcc_lo
	global_load_dwordx2 v[72:73], v[72:73], off
	v_lshlrev_b64 v[76:77], 2, v[74:75]
	v_lshlrev_b64 v[74:75], 3, v[74:75]
	v_add_co_u32 v76, vcc_lo, s30, v76
	v_add_co_ci_u32_e64 v77, null, s31, v77, vcc_lo
	v_add_co_u32 v74, vcc_lo, s26, v74
	v_add_co_ci_u32_e64 v75, null, s27, v75, vcc_lo
	global_store_dword v[76:77], v70, off offset:128
	s_waitcnt vmcnt(0)
	global_store_dwordx2 v[74:75], v[72:73], off offset:256
	s_or_b32 exec_lo, exec_lo, s90
	s_and_saveexec_b32 s90, s81
	s_cbranch_execz .LBB233_78
.LBB233_136:                            ;   in Loop: Header=BB233_21 Depth=1
	v_add_co_u32 v72, vcc_lo, v45, v62
	v_add_co_ci_u32_e64 v73, null, 0, v71, vcc_lo
	v_add_co_u32 v74, vcc_lo, v60, v31
	v_add_co_ci_u32_e64 v75, null, v61, v32, vcc_lo
	;; [unrolled: 2-line block ×4, first 2 shown]
	v_cndmask_b32_e64 v72, v74, v72, s0
	v_add_co_u32 v74, vcc_lo, v43, v46
	v_cndmask_b32_e64 v73, v75, v73, s0
	v_add_co_ci_u32_e64 v75, null, 0, v44, vcc_lo
	global_load_dwordx2 v[72:73], v[72:73], off
	v_lshlrev_b64 v[76:77], 2, v[74:75]
	v_lshlrev_b64 v[74:75], 3, v[74:75]
	v_add_co_u32 v76, vcc_lo, s30, v76
	v_add_co_ci_u32_e64 v77, null, s31, v77, vcc_lo
	v_add_co_u32 v74, vcc_lo, s26, v74
	v_add_co_ci_u32_e64 v75, null, s27, v75, vcc_lo
	global_store_dword v[76:77], v69, off offset:256
	s_waitcnt vmcnt(0)
	global_store_dwordx2 v[74:75], v[72:73], off offset:512
	s_or_b32 exec_lo, exec_lo, s90
	s_and_saveexec_b32 s90, s82
	s_cbranch_execz .LBB233_79
.LBB233_137:                            ;   in Loop: Header=BB233_21 Depth=1
	v_add_co_u32 v72, vcc_lo, v45, v62
	v_add_co_ci_u32_e64 v73, null, 0, v71, vcc_lo
	v_add_co_u32 v74, vcc_lo, v60, v33
	v_add_co_ci_u32_e64 v75, null, v61, v34, vcc_lo
	;; [unrolled: 2-line block ×4, first 2 shown]
	v_cndmask_b32_e64 v72, v74, v72, s0
	v_add_co_u32 v74, vcc_lo, v43, v46
	v_cndmask_b32_e64 v73, v75, v73, s0
	v_add_co_ci_u32_e64 v75, null, 0, v44, vcc_lo
	global_load_dwordx2 v[72:73], v[72:73], off
	v_lshlrev_b64 v[76:77], 2, v[74:75]
	v_lshlrev_b64 v[74:75], 3, v[74:75]
	v_add_co_u32 v76, vcc_lo, s30, v76
	v_add_co_ci_u32_e64 v77, null, s31, v77, vcc_lo
	v_add_co_u32 v74, vcc_lo, s26, v74
	v_add_co_ci_u32_e64 v75, null, s27, v75, vcc_lo
	global_store_dword v[76:77], v67, off offset:384
	s_waitcnt vmcnt(0)
	global_store_dwordx2 v[74:75], v[72:73], off offset:768
	s_or_b32 exec_lo, exec_lo, s90
	s_and_saveexec_b32 s90, s83
	s_cbranch_execz .LBB233_80
.LBB233_138:                            ;   in Loop: Header=BB233_21 Depth=1
	v_add_co_u32 v72, vcc_lo, v45, v62
	v_add_co_ci_u32_e64 v73, null, 0, v71, vcc_lo
	v_add_co_u32 v74, vcc_lo, v60, v35
	v_add_co_ci_u32_e64 v75, null, v61, v36, vcc_lo
	;; [unrolled: 2-line block ×4, first 2 shown]
	v_cndmask_b32_e64 v72, v74, v72, s0
	v_add_co_u32 v74, vcc_lo, v43, v46
	v_cndmask_b32_e64 v73, v75, v73, s0
	v_add_co_ci_u32_e64 v75, null, 0, v44, vcc_lo
	global_load_dwordx2 v[72:73], v[72:73], off
	v_lshlrev_b64 v[76:77], 2, v[74:75]
	v_lshlrev_b64 v[74:75], 3, v[74:75]
	v_add_co_u32 v76, vcc_lo, s30, v76
	v_add_co_ci_u32_e64 v77, null, s31, v77, vcc_lo
	v_add_co_u32 v74, vcc_lo, s26, v74
	v_add_co_ci_u32_e64 v75, null, s27, v75, vcc_lo
	global_store_dword v[76:77], v66, off offset:512
	s_waitcnt vmcnt(0)
	global_store_dwordx2 v[74:75], v[72:73], off offset:1024
	s_or_b32 exec_lo, exec_lo, s90
	s_and_saveexec_b32 s90, s84
	s_cbranch_execz .LBB233_81
.LBB233_139:                            ;   in Loop: Header=BB233_21 Depth=1
	v_add_co_u32 v72, vcc_lo, v45, v62
	v_add_co_ci_u32_e64 v73, null, 0, v71, vcc_lo
	v_add_co_u32 v74, vcc_lo, v60, v37
	v_add_co_ci_u32_e64 v75, null, v61, v38, vcc_lo
	;; [unrolled: 2-line block ×4, first 2 shown]
	v_cndmask_b32_e64 v72, v74, v72, s0
	v_add_co_u32 v74, vcc_lo, v43, v46
	v_cndmask_b32_e64 v73, v75, v73, s0
	v_add_co_ci_u32_e64 v75, null, 0, v44, vcc_lo
	global_load_dwordx2 v[72:73], v[72:73], off
	v_lshlrev_b64 v[76:77], 2, v[74:75]
	v_lshlrev_b64 v[74:75], 3, v[74:75]
	v_add_co_u32 v76, vcc_lo, s30, v76
	v_add_co_ci_u32_e64 v77, null, s31, v77, vcc_lo
	v_add_co_u32 v74, vcc_lo, s26, v74
	v_add_co_ci_u32_e64 v75, null, s27, v75, vcc_lo
	global_store_dword v[76:77], v64, off offset:640
	s_waitcnt vmcnt(0)
	global_store_dwordx2 v[74:75], v[72:73], off offset:1280
	s_or_b32 exec_lo, exec_lo, s90
	s_and_saveexec_b32 s90, s85
	s_cbranch_execz .LBB233_82
.LBB233_140:                            ;   in Loop: Header=BB233_21 Depth=1
	v_add_co_u32 v72, vcc_lo, v45, v62
	v_add_co_ci_u32_e64 v73, null, 0, v71, vcc_lo
	v_add_co_u32 v74, vcc_lo, v60, v39
	v_add_co_ci_u32_e64 v75, null, v61, v40, vcc_lo
	v_cndmask_b32_e64 v72, v74, v72, s0
	v_add_co_u32 v74, vcc_lo, v43, v46
	v_cndmask_b32_e64 v73, v75, v73, s0
	v_add_co_ci_u32_e64 v75, null, 0, v44, vcc_lo
	global_load_dwordx2 v[72:73], v[72:73], off offset:1536
	v_lshlrev_b64 v[76:77], 2, v[74:75]
	v_lshlrev_b64 v[74:75], 3, v[74:75]
	v_add_co_u32 v76, vcc_lo, s30, v76
	v_add_co_ci_u32_e64 v77, null, s31, v77, vcc_lo
	v_add_co_u32 v74, vcc_lo, s26, v74
	v_add_co_ci_u32_e64 v75, null, s27, v75, vcc_lo
	global_store_dword v[76:77], v63, off offset:768
	s_waitcnt vmcnt(0)
	global_store_dwordx2 v[74:75], v[72:73], off offset:1536
	s_or_b32 exec_lo, exec_lo, s90
	s_and_saveexec_b32 s90, s10
	s_cbranch_execnz .LBB233_83
	s_branch .LBB233_84
.LBB233_141:                            ;   in Loop: Header=BB233_21 Depth=1
	v_add_co_u32 v72, vcc_lo, v60, v27
	v_add_co_ci_u32_e64 v73, null, v61, v28, vcc_lo
	v_add_co_u32 v74, vcc_lo, v45, v62
	v_add_co_ci_u32_e64 v75, null, 0, v71, vcc_lo
	;; [unrolled: 2-line block ×3, first 2 shown]
	v_cndmask_b32_e64 v72, v72, v74, s0
	v_add_co_u32 v74, vcc_lo, v43, v46
	v_cndmask_b32_e64 v73, v73, v75, s0
	v_add_co_ci_u32_e64 v75, null, 0, v44, vcc_lo
	global_load_dwordx2 v[72:73], v[72:73], off
	v_lshlrev_b64 v[76:77], 2, v[74:75]
	v_lshlrev_b64 v[74:75], 3, v[74:75]
	v_add_co_u32 v76, vcc_lo, s30, v76
	v_add_co_ci_u32_e64 v77, null, s31, v77, vcc_lo
	v_add_co_u32 v74, vcc_lo, s26, v74
	v_add_co_ci_u32_e64 v75, null, s27, v75, vcc_lo
	global_store_dword v[76:77], v68, off
	s_waitcnt vmcnt(0)
	global_store_dwordx2 v[74:75], v[72:73], off
	s_or_b32 exec_lo, exec_lo, s9
	s_and_saveexec_b32 s9, s11
	s_cbranch_execz .LBB233_86
.LBB233_142:                            ;   in Loop: Header=BB233_21 Depth=1
	v_add_co_u32 v68, vcc_lo, v45, v62
	v_add_co_ci_u32_e64 v72, null, 0, v71, vcc_lo
	v_add_co_u32 v73, vcc_lo, v60, v29
	v_add_co_ci_u32_e64 v74, null, v61, v30, vcc_lo
	;; [unrolled: 2-line block ×4, first 2 shown]
	v_add_co_u32 v74, vcc_lo, v43, v46
	v_cndmask_b32_e64 v73, v73, v72, s0
	v_cndmask_b32_e64 v72, v75, v68, s0
	v_add_co_ci_u32_e64 v75, null, 0, v44, vcc_lo
	global_load_dwordx2 v[72:73], v[72:73], off
	v_lshlrev_b64 v[76:77], 2, v[74:75]
	v_lshlrev_b64 v[74:75], 3, v[74:75]
	v_add_co_u32 v76, vcc_lo, s30, v76
	v_add_co_ci_u32_e64 v77, null, s31, v77, vcc_lo
	v_add_co_u32 v74, vcc_lo, s26, v74
	v_add_co_ci_u32_e64 v75, null, s27, v75, vcc_lo
	global_store_dword v[76:77], v70, off offset:128
	s_waitcnt vmcnt(0)
	global_store_dwordx2 v[74:75], v[72:73], off offset:256
	s_or_b32 exec_lo, exec_lo, s9
	s_and_saveexec_b32 s9, s12
	s_cbranch_execz .LBB233_87
.LBB233_143:                            ;   in Loop: Header=BB233_21 Depth=1
	v_add_co_u32 v68, vcc_lo, v45, v62
	v_add_co_ci_u32_e64 v70, null, 0, v71, vcc_lo
	v_add_co_u32 v72, vcc_lo, v60, v31
	v_add_co_ci_u32_e64 v73, null, v61, v32, vcc_lo
	v_add_co_u32 v68, vcc_lo, 0x200, v68
	v_add_co_ci_u32_e64 v70, null, 0, v70, vcc_lo
	v_add_co_u32 v72, vcc_lo, 0x700, v72
	v_add_co_ci_u32_e64 v73, null, 0, v73, vcc_lo
	v_add_co_u32 v74, vcc_lo, v43, v46
	v_cndmask_b32_e64 v72, v72, v68, s0
	v_cndmask_b32_e64 v73, v73, v70, s0
	v_add_co_ci_u32_e64 v75, null, 0, v44, vcc_lo
	global_load_dwordx2 v[72:73], v[72:73], off
	v_lshlrev_b64 v[76:77], 2, v[74:75]
	v_lshlrev_b64 v[74:75], 3, v[74:75]
	v_add_co_u32 v76, vcc_lo, s30, v76
	v_add_co_ci_u32_e64 v77, null, s31, v77, vcc_lo
	v_add_co_u32 v74, vcc_lo, s26, v74
	v_add_co_ci_u32_e64 v75, null, s27, v75, vcc_lo
	global_store_dword v[76:77], v69, off offset:256
	s_waitcnt vmcnt(0)
	global_store_dwordx2 v[74:75], v[72:73], off offset:512
	s_or_b32 exec_lo, exec_lo, s9
	s_and_saveexec_b32 s9, s13
	s_cbranch_execz .LBB233_88
.LBB233_144:                            ;   in Loop: Header=BB233_21 Depth=1
	v_add_co_u32 v68, vcc_lo, v45, v62
	v_add_co_ci_u32_e64 v69, null, 0, v71, vcc_lo
	v_add_co_u32 v70, vcc_lo, v60, v33
	v_add_co_ci_u32_e64 v72, null, v61, v34, vcc_lo
	v_add_co_u32 v68, vcc_lo, 0x300, v68
	v_add_co_ci_u32_e64 v69, null, 0, v69, vcc_lo
	v_add_co_u32 v70, vcc_lo, 0x700, v70
	v_add_co_ci_u32_e64 v72, null, 0, v72, vcc_lo
	v_cndmask_b32_e64 v68, v70, v68, s0
	v_cndmask_b32_e64 v69, v72, v69, s0
	v_add_co_u32 v72, vcc_lo, v43, v46
	v_add_co_ci_u32_e64 v73, null, 0, v44, vcc_lo
	global_load_dwordx2 v[68:69], v[68:69], off
	v_lshlrev_b64 v[74:75], 2, v[72:73]
	v_lshlrev_b64 v[72:73], 3, v[72:73]
	v_add_co_u32 v74, vcc_lo, s30, v74
	v_add_co_ci_u32_e64 v75, null, s31, v75, vcc_lo
	v_add_co_u32 v72, vcc_lo, s26, v72
	v_add_co_ci_u32_e64 v73, null, s27, v73, vcc_lo
	global_store_dword v[74:75], v67, off offset:384
	s_waitcnt vmcnt(0)
	global_store_dwordx2 v[72:73], v[68:69], off offset:768
	s_or_b32 exec_lo, exec_lo, s9
	s_and_saveexec_b32 s9, s14
	s_cbranch_execz .LBB233_89
.LBB233_145:                            ;   in Loop: Header=BB233_21 Depth=1
	v_add_co_u32 v67, vcc_lo, v45, v62
	v_add_co_ci_u32_e64 v68, null, 0, v71, vcc_lo
	v_add_co_u32 v69, vcc_lo, v60, v35
	v_add_co_ci_u32_e64 v70, null, v61, v36, vcc_lo
	;; [unrolled: 2-line block ×4, first 2 shown]
	v_cndmask_b32_e64 v67, v69, v67, s0
	v_add_co_u32 v69, vcc_lo, v43, v46
	v_cndmask_b32_e64 v68, v70, v68, s0
	v_add_co_ci_u32_e64 v70, null, 0, v44, vcc_lo
	global_load_dwordx2 v[67:68], v[67:68], off
	v_lshlrev_b64 v[72:73], 2, v[69:70]
	v_lshlrev_b64 v[69:70], 3, v[69:70]
	v_add_co_u32 v72, vcc_lo, s30, v72
	v_add_co_ci_u32_e64 v73, null, s31, v73, vcc_lo
	v_add_co_u32 v69, vcc_lo, s26, v69
	v_add_co_ci_u32_e64 v70, null, s27, v70, vcc_lo
	global_store_dword v[72:73], v66, off offset:512
	s_waitcnt vmcnt(0)
	global_store_dwordx2 v[69:70], v[67:68], off offset:1024
	s_or_b32 exec_lo, exec_lo, s9
	s_and_saveexec_b32 s9, s15
	s_cbranch_execz .LBB233_90
.LBB233_146:                            ;   in Loop: Header=BB233_21 Depth=1
	v_add_co_u32 v66, vcc_lo, v45, v62
	v_add_co_ci_u32_e64 v67, null, 0, v71, vcc_lo
	v_add_co_u32 v68, vcc_lo, v60, v37
	v_add_co_ci_u32_e64 v69, null, v61, v38, vcc_lo
	;; [unrolled: 2-line block ×4, first 2 shown]
	v_cndmask_b32_e64 v66, v68, v66, s0
	v_add_co_u32 v68, vcc_lo, v43, v46
	v_cndmask_b32_e64 v67, v69, v67, s0
	v_add_co_ci_u32_e64 v69, null, 0, v44, vcc_lo
	global_load_dwordx2 v[66:67], v[66:67], off
	v_lshlrev_b64 v[72:73], 2, v[68:69]
	v_lshlrev_b64 v[68:69], 3, v[68:69]
	v_add_co_u32 v72, vcc_lo, s30, v72
	v_add_co_ci_u32_e64 v73, null, s31, v73, vcc_lo
	v_add_co_u32 v68, vcc_lo, s26, v68
	v_add_co_ci_u32_e64 v69, null, s27, v69, vcc_lo
	global_store_dword v[72:73], v64, off offset:640
	s_waitcnt vmcnt(0)
	global_store_dwordx2 v[68:69], v[66:67], off offset:1280
	s_or_b32 exec_lo, exec_lo, s9
	s_and_saveexec_b32 s9, s4
	s_cbranch_execz .LBB233_91
.LBB233_147:                            ;   in Loop: Header=BB233_21 Depth=1
	v_add_co_u32 v64, vcc_lo, v45, v62
	v_add_co_ci_u32_e64 v66, null, 0, v71, vcc_lo
	v_add_co_u32 v67, vcc_lo, v60, v39
	v_add_co_ci_u32_e64 v68, null, v61, v40, vcc_lo
	;; [unrolled: 2-line block ×4, first 2 shown]
	v_add_co_u32 v68, vcc_lo, v43, v46
	v_cndmask_b32_e64 v67, v67, v66, s0
	v_cndmask_b32_e64 v66, v69, v64, s0
	v_add_co_ci_u32_e64 v69, null, 0, v44, vcc_lo
	global_load_dwordx2 v[66:67], v[66:67], off
	v_lshlrev_b64 v[72:73], 2, v[68:69]
	v_lshlrev_b64 v[68:69], 3, v[68:69]
	v_add_co_u32 v72, vcc_lo, s30, v72
	v_add_co_ci_u32_e64 v73, null, s31, v73, vcc_lo
	v_add_co_u32 v68, vcc_lo, s26, v68
	v_add_co_ci_u32_e64 v69, null, s27, v69, vcc_lo
	global_store_dword v[72:73], v63, off offset:768
	s_waitcnt vmcnt(0)
	global_store_dwordx2 v[68:69], v[66:67], off offset:1536
	s_or_b32 exec_lo, exec_lo, s9
	s_and_saveexec_b32 s9, s5
	s_cbranch_execz .LBB233_20
.LBB233_148:                            ;   in Loop: Header=BB233_21 Depth=1
	v_add_co_u32 v45, vcc_lo, v45, v62
	v_add_co_ci_u32_e64 v62, null, 0, v71, vcc_lo
	v_add_co_u32 v60, vcc_lo, v60, v41
	v_add_co_ci_u32_e64 v61, null, v61, v42, vcc_lo
	v_add_co_u32 v43, vcc_lo, v43, v46
	v_cndmask_b32_e64 v60, v60, v45, s0
	v_cndmask_b32_e64 v61, v61, v62, s0
	v_add_co_ci_u32_e64 v44, null, 0, v44, vcc_lo
	global_load_dwordx2 v[60:61], v[60:61], off offset:1792
	v_lshlrev_b64 v[62:63], 2, v[43:44]
	v_lshlrev_b64 v[43:44], 3, v[43:44]
	v_add_co_u32 v62, vcc_lo, s30, v62
	v_add_co_ci_u32_e64 v63, null, s31, v63, vcc_lo
	v_add_co_u32 v43, vcc_lo, s26, v43
	v_add_co_ci_u32_e64 v44, null, s27, v44, vcc_lo
	global_store_dword v[62:63], v65, off offset:896
	s_waitcnt vmcnt(0)
	global_store_dwordx2 v[43:44], v[60:61], off offset:1792
	s_branch .LBB233_20
.LBB233_149:
	s_endpgm
	.section	.rodata,"a",@progbits
	.p2align	6, 0x0
	.amdhsa_kernel _ZN9rocsparseL35bsr2csr_block_per_row_33_256_kernelILj1024ELj256ELj32EdliEEv20rocsparse_direction_T4_S2_21rocsparse_index_base_PKT2_PKT3_PKS2_S2_S3_PS4_PS7_PS2_
		.amdhsa_group_segment_fixed_size 0
		.amdhsa_private_segment_fixed_size 0
		.amdhsa_kernarg_size 72
		.amdhsa_user_sgpr_count 6
		.amdhsa_user_sgpr_private_segment_buffer 1
		.amdhsa_user_sgpr_dispatch_ptr 0
		.amdhsa_user_sgpr_queue_ptr 0
		.amdhsa_user_sgpr_kernarg_segment_ptr 1
		.amdhsa_user_sgpr_dispatch_id 0
		.amdhsa_user_sgpr_flat_scratch_init 0
		.amdhsa_user_sgpr_private_segment_size 0
		.amdhsa_wavefront_size32 1
		.amdhsa_uses_dynamic_stack 0
		.amdhsa_system_sgpr_private_segment_wavefront_offset 0
		.amdhsa_system_sgpr_workgroup_id_x 1
		.amdhsa_system_sgpr_workgroup_id_y 0
		.amdhsa_system_sgpr_workgroup_id_z 0
		.amdhsa_system_sgpr_workgroup_info 0
		.amdhsa_system_vgpr_workitem_id 0
		.amdhsa_next_free_vgpr 78
		.amdhsa_next_free_sgpr 92
		.amdhsa_reserve_vcc 1
		.amdhsa_reserve_flat_scratch 0
		.amdhsa_float_round_mode_32 0
		.amdhsa_float_round_mode_16_64 0
		.amdhsa_float_denorm_mode_32 3
		.amdhsa_float_denorm_mode_16_64 3
		.amdhsa_dx10_clamp 1
		.amdhsa_ieee_mode 1
		.amdhsa_fp16_overflow 0
		.amdhsa_workgroup_processor_mode 1
		.amdhsa_memory_ordered 1
		.amdhsa_forward_progress 1
		.amdhsa_shared_vgpr_count 0
		.amdhsa_exception_fp_ieee_invalid_op 0
		.amdhsa_exception_fp_denorm_src 0
		.amdhsa_exception_fp_ieee_div_zero 0
		.amdhsa_exception_fp_ieee_overflow 0
		.amdhsa_exception_fp_ieee_underflow 0
		.amdhsa_exception_fp_ieee_inexact 0
		.amdhsa_exception_int_div_zero 0
	.end_amdhsa_kernel
	.section	.text._ZN9rocsparseL35bsr2csr_block_per_row_33_256_kernelILj1024ELj256ELj32EdliEEv20rocsparse_direction_T4_S2_21rocsparse_index_base_PKT2_PKT3_PKS2_S2_S3_PS4_PS7_PS2_,"axG",@progbits,_ZN9rocsparseL35bsr2csr_block_per_row_33_256_kernelILj1024ELj256ELj32EdliEEv20rocsparse_direction_T4_S2_21rocsparse_index_base_PKT2_PKT3_PKS2_S2_S3_PS4_PS7_PS2_,comdat
.Lfunc_end233:
	.size	_ZN9rocsparseL35bsr2csr_block_per_row_33_256_kernelILj1024ELj256ELj32EdliEEv20rocsparse_direction_T4_S2_21rocsparse_index_base_PKT2_PKT3_PKS2_S2_S3_PS4_PS7_PS2_, .Lfunc_end233-_ZN9rocsparseL35bsr2csr_block_per_row_33_256_kernelILj1024ELj256ELj32EdliEEv20rocsparse_direction_T4_S2_21rocsparse_index_base_PKT2_PKT3_PKS2_S2_S3_PS4_PS7_PS2_
                                        ; -- End function
	.set _ZN9rocsparseL35bsr2csr_block_per_row_33_256_kernelILj1024ELj256ELj32EdliEEv20rocsparse_direction_T4_S2_21rocsparse_index_base_PKT2_PKT3_PKS2_S2_S3_PS4_PS7_PS2_.num_vgpr, 78
	.set _ZN9rocsparseL35bsr2csr_block_per_row_33_256_kernelILj1024ELj256ELj32EdliEEv20rocsparse_direction_T4_S2_21rocsparse_index_base_PKT2_PKT3_PKS2_S2_S3_PS4_PS7_PS2_.num_agpr, 0
	.set _ZN9rocsparseL35bsr2csr_block_per_row_33_256_kernelILj1024ELj256ELj32EdliEEv20rocsparse_direction_T4_S2_21rocsparse_index_base_PKT2_PKT3_PKS2_S2_S3_PS4_PS7_PS2_.numbered_sgpr, 92
	.set _ZN9rocsparseL35bsr2csr_block_per_row_33_256_kernelILj1024ELj256ELj32EdliEEv20rocsparse_direction_T4_S2_21rocsparse_index_base_PKT2_PKT3_PKS2_S2_S3_PS4_PS7_PS2_.num_named_barrier, 0
	.set _ZN9rocsparseL35bsr2csr_block_per_row_33_256_kernelILj1024ELj256ELj32EdliEEv20rocsparse_direction_T4_S2_21rocsparse_index_base_PKT2_PKT3_PKS2_S2_S3_PS4_PS7_PS2_.private_seg_size, 0
	.set _ZN9rocsparseL35bsr2csr_block_per_row_33_256_kernelILj1024ELj256ELj32EdliEEv20rocsparse_direction_T4_S2_21rocsparse_index_base_PKT2_PKT3_PKS2_S2_S3_PS4_PS7_PS2_.uses_vcc, 1
	.set _ZN9rocsparseL35bsr2csr_block_per_row_33_256_kernelILj1024ELj256ELj32EdliEEv20rocsparse_direction_T4_S2_21rocsparse_index_base_PKT2_PKT3_PKS2_S2_S3_PS4_PS7_PS2_.uses_flat_scratch, 0
	.set _ZN9rocsparseL35bsr2csr_block_per_row_33_256_kernelILj1024ELj256ELj32EdliEEv20rocsparse_direction_T4_S2_21rocsparse_index_base_PKT2_PKT3_PKS2_S2_S3_PS4_PS7_PS2_.has_dyn_sized_stack, 0
	.set _ZN9rocsparseL35bsr2csr_block_per_row_33_256_kernelILj1024ELj256ELj32EdliEEv20rocsparse_direction_T4_S2_21rocsparse_index_base_PKT2_PKT3_PKS2_S2_S3_PS4_PS7_PS2_.has_recursion, 0
	.set _ZN9rocsparseL35bsr2csr_block_per_row_33_256_kernelILj1024ELj256ELj32EdliEEv20rocsparse_direction_T4_S2_21rocsparse_index_base_PKT2_PKT3_PKS2_S2_S3_PS4_PS7_PS2_.has_indirect_call, 0
	.section	.AMDGPU.csdata,"",@progbits
; Kernel info:
; codeLenInByte = 14788
; TotalNumSgprs: 94
; NumVgprs: 78
; ScratchSize: 0
; MemoryBound: 0
; FloatMode: 240
; IeeeMode: 1
; LDSByteSize: 0 bytes/workgroup (compile time only)
; SGPRBlocks: 0
; VGPRBlocks: 9
; NumSGPRsForWavesPerEU: 94
; NumVGPRsForWavesPerEU: 78
; Occupancy: 12
; WaveLimiterHint : 1
; COMPUTE_PGM_RSRC2:SCRATCH_EN: 0
; COMPUTE_PGM_RSRC2:USER_SGPR: 6
; COMPUTE_PGM_RSRC2:TRAP_HANDLER: 0
; COMPUTE_PGM_RSRC2:TGID_X_EN: 1
; COMPUTE_PGM_RSRC2:TGID_Y_EN: 0
; COMPUTE_PGM_RSRC2:TGID_Z_EN: 0
; COMPUTE_PGM_RSRC2:TIDIG_COMP_CNT: 0
	.section	.text._ZN9rocsparseL35bsr2csr_block_dim_equals_one_kernelILj1024EdilEEvT2_S1_21rocsparse_index_base_PKT0_PKT1_PKS1_S2_PS3_PS6_PS1_,"axG",@progbits,_ZN9rocsparseL35bsr2csr_block_dim_equals_one_kernelILj1024EdilEEvT2_S1_21rocsparse_index_base_PKT0_PKT1_PKS1_S2_PS3_PS6_PS1_,comdat
	.globl	_ZN9rocsparseL35bsr2csr_block_dim_equals_one_kernelILj1024EdilEEvT2_S1_21rocsparse_index_base_PKT0_PKT1_PKS1_S2_PS3_PS6_PS1_ ; -- Begin function _ZN9rocsparseL35bsr2csr_block_dim_equals_one_kernelILj1024EdilEEvT2_S1_21rocsparse_index_base_PKT0_PKT1_PKS1_S2_PS3_PS6_PS1_
	.p2align	8
	.type	_ZN9rocsparseL35bsr2csr_block_dim_equals_one_kernelILj1024EdilEEvT2_S1_21rocsparse_index_base_PKT0_PKT1_PKS1_S2_PS3_PS6_PS1_,@function
_ZN9rocsparseL35bsr2csr_block_dim_equals_one_kernelILj1024EdilEEvT2_S1_21rocsparse_index_base_PKT0_PKT1_PKS1_S2_PS3_PS6_PS1_: ; @_ZN9rocsparseL35bsr2csr_block_dim_equals_one_kernelILj1024EdilEEvT2_S1_21rocsparse_index_base_PKT0_PKT1_PKS1_S2_PS3_PS6_PS1_
; %bb.0:
	s_clause 0x6
	s_load_dwordx2 s[0:1], s[4:5], 0x0
	s_load_dword s16, s[4:5], 0x10
	s_load_dwordx4 s[8:11], s[4:5], 0x18
	s_load_dwordx2 s[2:3], s[4:5], 0x28
	s_load_dwordx2 s[12:13], s[4:5], 0x48
	s_load_dword s17, s[4:5], 0x30
	s_load_dwordx2 s[14:15], s[4:5], 0x38
	v_lshl_or_b32 v0, s6, 10, v0
	v_mov_b32_e32 v1, 0
	s_mov_b32 s18, exec_lo
	s_waitcnt lgkmcnt(0)
	v_cmpx_gt_i64_e64 s[0:1], v[0:1]
	s_cbranch_execz .LBB234_6
; %bb.1:
	s_load_dwordx2 s[6:7], s[4:5], 0x40
	s_mov_b32 s19, exec_lo
                                        ; implicit-def: $sgpr20
	v_cmpx_ne_u32_e32 0, v0
	s_xor_b32 s19, exec_lo, s19
; %bb.2:
	s_sub_i32 s20, s17, s16
; %bb.3:
	s_or_saveexec_b32 s19, s19
	v_mov_b32_e32 v2, s20
	s_xor_b32 exec_lo, exec_lo, s19
	s_cbranch_execz .LBB234_5
; %bb.4:
	s_load_dword s20, s[10:11], 0x0
	s_sub_i32 s21, s17, s16
	v_mov_b32_e32 v3, 0
	v_mov_b32_e32 v2, s21
	s_waitcnt lgkmcnt(0)
	s_add_i32 s20, s21, s20
	v_mov_b32_e32 v4, s20
	global_store_dword v3, v4, s[6:7]
.LBB234_5:
	s_or_b32 exec_lo, exec_lo, s19
	v_lshlrev_b64 v[3:4], 2, v[0:1]
	v_add_co_u32 v5, vcc_lo, s10, v3
	v_add_co_ci_u32_e64 v6, null, s11, v4, vcc_lo
	global_load_dword v5, v[5:6], off offset:4
	s_waitcnt vmcnt(0)
	v_add_nc_u32_e32 v5, v2, v5
	s_waitcnt lgkmcnt(0)
	v_add_co_u32 v2, vcc_lo, s6, v3
	v_add_co_ci_u32_e64 v3, null, s7, v4, vcc_lo
	global_store_dword v[2:3], v5, off offset:4
.LBB234_6:
	s_or_b32 exec_lo, exec_lo, s18
	s_lshl_b64 s[0:1], s[0:1], 2
	s_add_u32 s0, s10, s0
	s_addc_u32 s1, s11, s1
	s_clause 0x1
	s_load_dword s0, s[0:1], 0x0
	s_load_dword s1, s[10:11], 0x0
	s_waitcnt lgkmcnt(0)
	s_sub_i32 s6, s0, s1
	s_mov_b32 s0, exec_lo
	s_ashr_i32 s7, s6, 31
	v_cmpx_gt_i64_e64 s[6:7], v[0:1]
	s_cbranch_execz .LBB234_9
; %bb.7:
	s_load_dword s0, s[4:5], 0x50
	v_lshlrev_b64 v[2:3], 3, v[0:1]
	s_sub_u32 s16, s17, s16
	s_mov_b32 s5, 0
	s_subb_u32 s17, 0, 0
	s_waitcnt lgkmcnt(0)
	s_lshl_b32 s4, s0, 10
	s_lshl_b64 s[10:11], s[4:5], 3
	s_inst_prefetch 0x1
	.p2align	6
.LBB234_8:                              ; =>This Inner Loop Header: Depth=1
	v_add_co_u32 v4, vcc_lo, s2, v2
	v_add_co_ci_u32_e64 v5, null, s3, v3, vcc_lo
	v_add_co_u32 v6, vcc_lo, s8, v2
	v_add_co_ci_u32_e64 v7, null, s9, v3, vcc_lo
	global_load_dwordx2 v[4:5], v[4:5], off
	global_load_dwordx2 v[6:7], v[6:7], off
	v_add_co_u32 v8, vcc_lo, s12, v2
	v_add_co_ci_u32_e64 v9, null, s13, v3, vcc_lo
	v_add_co_u32 v0, vcc_lo, v0, s4
	v_add_co_ci_u32_e64 v1, null, 0, v1, vcc_lo
	;; [unrolled: 2-line block ×3, first 2 shown]
	v_cmp_le_i64_e64 s0, s[6:7], v[0:1]
	v_add_co_u32 v2, vcc_lo, v2, s10
	v_add_co_ci_u32_e64 v3, null, s11, v3, vcc_lo
	s_or_b32 s5, s0, s5
	s_waitcnt vmcnt(1)
	v_add_co_u32 v4, s1, s16, v4
	v_add_co_ci_u32_e64 v5, null, s17, v5, s1
	s_waitcnt vmcnt(0)
	global_store_dwordx2 v[10:11], v[6:7], off
	global_store_dwordx2 v[8:9], v[4:5], off
	s_andn2_b32 exec_lo, exec_lo, s5
	s_cbranch_execnz .LBB234_8
.LBB234_9:
	s_inst_prefetch 0x2
	s_endpgm
	.section	.rodata,"a",@progbits
	.p2align	6, 0x0
	.amdhsa_kernel _ZN9rocsparseL35bsr2csr_block_dim_equals_one_kernelILj1024EdilEEvT2_S1_21rocsparse_index_base_PKT0_PKT1_PKS1_S2_PS3_PS6_PS1_
		.amdhsa_group_segment_fixed_size 0
		.amdhsa_private_segment_fixed_size 0
		.amdhsa_kernarg_size 336
		.amdhsa_user_sgpr_count 6
		.amdhsa_user_sgpr_private_segment_buffer 1
		.amdhsa_user_sgpr_dispatch_ptr 0
		.amdhsa_user_sgpr_queue_ptr 0
		.amdhsa_user_sgpr_kernarg_segment_ptr 1
		.amdhsa_user_sgpr_dispatch_id 0
		.amdhsa_user_sgpr_flat_scratch_init 0
		.amdhsa_user_sgpr_private_segment_size 0
		.amdhsa_wavefront_size32 1
		.amdhsa_uses_dynamic_stack 0
		.amdhsa_system_sgpr_private_segment_wavefront_offset 0
		.amdhsa_system_sgpr_workgroup_id_x 1
		.amdhsa_system_sgpr_workgroup_id_y 0
		.amdhsa_system_sgpr_workgroup_id_z 0
		.amdhsa_system_sgpr_workgroup_info 0
		.amdhsa_system_vgpr_workitem_id 0
		.amdhsa_next_free_vgpr 12
		.amdhsa_next_free_sgpr 22
		.amdhsa_reserve_vcc 1
		.amdhsa_reserve_flat_scratch 0
		.amdhsa_float_round_mode_32 0
		.amdhsa_float_round_mode_16_64 0
		.amdhsa_float_denorm_mode_32 3
		.amdhsa_float_denorm_mode_16_64 3
		.amdhsa_dx10_clamp 1
		.amdhsa_ieee_mode 1
		.amdhsa_fp16_overflow 0
		.amdhsa_workgroup_processor_mode 1
		.amdhsa_memory_ordered 1
		.amdhsa_forward_progress 1
		.amdhsa_shared_vgpr_count 0
		.amdhsa_exception_fp_ieee_invalid_op 0
		.amdhsa_exception_fp_denorm_src 0
		.amdhsa_exception_fp_ieee_div_zero 0
		.amdhsa_exception_fp_ieee_overflow 0
		.amdhsa_exception_fp_ieee_underflow 0
		.amdhsa_exception_fp_ieee_inexact 0
		.amdhsa_exception_int_div_zero 0
	.end_amdhsa_kernel
	.section	.text._ZN9rocsparseL35bsr2csr_block_dim_equals_one_kernelILj1024EdilEEvT2_S1_21rocsparse_index_base_PKT0_PKT1_PKS1_S2_PS3_PS6_PS1_,"axG",@progbits,_ZN9rocsparseL35bsr2csr_block_dim_equals_one_kernelILj1024EdilEEvT2_S1_21rocsparse_index_base_PKT0_PKT1_PKS1_S2_PS3_PS6_PS1_,comdat
.Lfunc_end234:
	.size	_ZN9rocsparseL35bsr2csr_block_dim_equals_one_kernelILj1024EdilEEvT2_S1_21rocsparse_index_base_PKT0_PKT1_PKS1_S2_PS3_PS6_PS1_, .Lfunc_end234-_ZN9rocsparseL35bsr2csr_block_dim_equals_one_kernelILj1024EdilEEvT2_S1_21rocsparse_index_base_PKT0_PKT1_PKS1_S2_PS3_PS6_PS1_
                                        ; -- End function
	.set _ZN9rocsparseL35bsr2csr_block_dim_equals_one_kernelILj1024EdilEEvT2_S1_21rocsparse_index_base_PKT0_PKT1_PKS1_S2_PS3_PS6_PS1_.num_vgpr, 12
	.set _ZN9rocsparseL35bsr2csr_block_dim_equals_one_kernelILj1024EdilEEvT2_S1_21rocsparse_index_base_PKT0_PKT1_PKS1_S2_PS3_PS6_PS1_.num_agpr, 0
	.set _ZN9rocsparseL35bsr2csr_block_dim_equals_one_kernelILj1024EdilEEvT2_S1_21rocsparse_index_base_PKT0_PKT1_PKS1_S2_PS3_PS6_PS1_.numbered_sgpr, 22
	.set _ZN9rocsparseL35bsr2csr_block_dim_equals_one_kernelILj1024EdilEEvT2_S1_21rocsparse_index_base_PKT0_PKT1_PKS1_S2_PS3_PS6_PS1_.num_named_barrier, 0
	.set _ZN9rocsparseL35bsr2csr_block_dim_equals_one_kernelILj1024EdilEEvT2_S1_21rocsparse_index_base_PKT0_PKT1_PKS1_S2_PS3_PS6_PS1_.private_seg_size, 0
	.set _ZN9rocsparseL35bsr2csr_block_dim_equals_one_kernelILj1024EdilEEvT2_S1_21rocsparse_index_base_PKT0_PKT1_PKS1_S2_PS3_PS6_PS1_.uses_vcc, 1
	.set _ZN9rocsparseL35bsr2csr_block_dim_equals_one_kernelILj1024EdilEEvT2_S1_21rocsparse_index_base_PKT0_PKT1_PKS1_S2_PS3_PS6_PS1_.uses_flat_scratch, 0
	.set _ZN9rocsparseL35bsr2csr_block_dim_equals_one_kernelILj1024EdilEEvT2_S1_21rocsparse_index_base_PKT0_PKT1_PKS1_S2_PS3_PS6_PS1_.has_dyn_sized_stack, 0
	.set _ZN9rocsparseL35bsr2csr_block_dim_equals_one_kernelILj1024EdilEEvT2_S1_21rocsparse_index_base_PKT0_PKT1_PKS1_S2_PS3_PS6_PS1_.has_recursion, 0
	.set _ZN9rocsparseL35bsr2csr_block_dim_equals_one_kernelILj1024EdilEEvT2_S1_21rocsparse_index_base_PKT0_PKT1_PKS1_S2_PS3_PS6_PS1_.has_indirect_call, 0
	.section	.AMDGPU.csdata,"",@progbits
; Kernel info:
; codeLenInByte = 564
; TotalNumSgprs: 24
; NumVgprs: 12
; ScratchSize: 0
; MemoryBound: 0
; FloatMode: 240
; IeeeMode: 1
; LDSByteSize: 0 bytes/workgroup (compile time only)
; SGPRBlocks: 0
; VGPRBlocks: 1
; NumSGPRsForWavesPerEU: 24
; NumVGPRsForWavesPerEU: 12
; Occupancy: 16
; WaveLimiterHint : 0
; COMPUTE_PGM_RSRC2:SCRATCH_EN: 0
; COMPUTE_PGM_RSRC2:USER_SGPR: 6
; COMPUTE_PGM_RSRC2:TRAP_HANDLER: 0
; COMPUTE_PGM_RSRC2:TGID_X_EN: 1
; COMPUTE_PGM_RSRC2:TGID_Y_EN: 0
; COMPUTE_PGM_RSRC2:TGID_Z_EN: 0
; COMPUTE_PGM_RSRC2:TIDIG_COMP_CNT: 0
	.section	.text._ZN9rocsparseL32bsr2csr_block_per_row_2_7_kernelILj256ELj2EdilEEv20rocsparse_direction_T3_S2_21rocsparse_index_base_PKT1_PKT2_PKS2_S2_S3_PS4_PS7_PS2_,"axG",@progbits,_ZN9rocsparseL32bsr2csr_block_per_row_2_7_kernelILj256ELj2EdilEEv20rocsparse_direction_T3_S2_21rocsparse_index_base_PKT1_PKT2_PKS2_S2_S3_PS4_PS7_PS2_,comdat
	.globl	_ZN9rocsparseL32bsr2csr_block_per_row_2_7_kernelILj256ELj2EdilEEv20rocsparse_direction_T3_S2_21rocsparse_index_base_PKT1_PKT2_PKS2_S2_S3_PS4_PS7_PS2_ ; -- Begin function _ZN9rocsparseL32bsr2csr_block_per_row_2_7_kernelILj256ELj2EdilEEv20rocsparse_direction_T3_S2_21rocsparse_index_base_PKT1_PKT2_PKS2_S2_S3_PS4_PS7_PS2_
	.p2align	8
	.type	_ZN9rocsparseL32bsr2csr_block_per_row_2_7_kernelILj256ELj2EdilEEv20rocsparse_direction_T3_S2_21rocsparse_index_base_PKT1_PKT2_PKS2_S2_S3_PS4_PS7_PS2_,@function
_ZN9rocsparseL32bsr2csr_block_per_row_2_7_kernelILj256ELj2EdilEEv20rocsparse_direction_T3_S2_21rocsparse_index_base_PKT1_PKT2_PKS2_S2_S3_PS4_PS7_PS2_: ; @_ZN9rocsparseL32bsr2csr_block_per_row_2_7_kernelILj256ELj2EdilEEv20rocsparse_direction_T3_S2_21rocsparse_index_base_PKT1_PKT2_PKS2_S2_S3_PS4_PS7_PS2_
; %bb.0:
	s_load_dwordx2 s[0:1], s[4:5], 0x28
	s_mov_b32 s7, 0
	s_clause 0x1
	s_load_dword s12, s[4:5], 0x40
	s_load_dwordx2 s[2:3], s[4:5], 0x50
	s_lshl_b64 s[8:9], s[6:7], 2
	v_or_b32_e32 v1, s6, v0
	s_waitcnt lgkmcnt(0)
	s_add_u32 s0, s0, s8
	s_addc_u32 s1, s1, s9
	s_mov_b32 s8, exec_lo
	s_load_dwordx2 s[0:1], s[0:1], 0x0
	v_cmpx_eq_u32_e32 0, v1
	s_cbranch_execz .LBB235_2
; %bb.1:
	v_mov_b32_e32 v1, 0
	v_mov_b32_e32 v2, s12
	global_store_dword v1, v2, s[2:3]
.LBB235_2:
	s_or_b32 exec_lo, exec_lo, s8
	s_load_dword s13, s[4:5], 0x18
	v_and_b32_e32 v8, 1, v0
	v_lshrrev_b32_e32 v2, 1, v0
	s_lshl_b64 s[6:7], s[6:7], 3
	v_lshlrev_b32_e32 v4, 2, v8
	s_waitcnt lgkmcnt(0)
	s_sub_i32 s8, s0, s13
	s_sub_i32 s14, s1, s13
	s_lshl_b32 s9, s8, 2
	s_sub_i32 s1, s14, s8
	v_add_nc_u32_e32 v0, s8, v2
	s_lshl_b32 s1, s1, 1
	v_mul_lo_u32 v1, s1, v8
	s_add_i32 s1, s1, s12
	s_add_u32 s2, s2, s6
	s_addc_u32 s3, s3, s7
	v_add3_u32 v3, s1, s9, v1
	s_mov_b32 s1, exec_lo
	global_store_dword v4, v3, s[2:3] offset:4
	v_cmpx_gt_i32_e64 s14, v0
	s_cbranch_execz .LBB235_5
; %bb.3:
	s_clause 0x4
	s_load_dwordx2 s[6:7], s[4:5], 0x30
	s_load_dwordx2 s[8:9], s[4:5], 0x48
	s_load_dword s1, s[4:5], 0x0
	s_load_dwordx2 s[10:11], s[4:5], 0x20
	s_load_dwordx2 s[4:5], s[4:5], 0x58
	v_lshlrev_b32_e32 v2, 1, v2
	v_lshlrev_b32_e32 v4, 4, v8
	v_mov_b32_e32 v3, 0
	v_lshlrev_b32_e32 v6, 2, v0
	s_mov_b32 s3, 0
	s_waitcnt lgkmcnt(0)
	s_cmp_eq_u32 s1, 0
	s_cselect_b32 vcc_lo, -1, 0
	s_lshl_b32 s0, s0, 2
	s_lshl_b32 s1, s13, 2
	v_add3_u32 v1, v1, s0, v2
	v_add_co_u32 v9, s0, s10, v4
	v_add_co_ci_u32_e64 v10, null, s11, 0, s0
	v_subrev_nc_u32_e32 v4, s1, v1
.LBB235_4:                              ; =>This Inner Loop Header: Depth=1
	v_ashrrev_i32_e32 v1, 31, v0
	v_mov_b32_e32 v7, v3
	v_add_nc_u32_e32 v2, v8, v6
	v_lshlrev_b64 v[11:12], 3, v[0:1]
	v_lshlrev_b64 v[13:14], 3, v[6:7]
	;; [unrolled: 1-line block ×3, first 2 shown]
	v_add_nc_u32_e32 v0, 0x80, v0
	v_add_nc_u32_e32 v6, 0x200, v6
	v_add_co_u32 v11, s0, s6, v11
	v_add_co_ci_u32_e64 v12, null, s7, v12, s0
	v_add_co_u32 v5, s1, v9, v13
	v_add_co_u32 v1, s0, s10, v1
	global_load_dwordx2 v[15:16], v[11:12], off
	v_add_co_ci_u32_e64 v7, null, v10, v14, s1
	v_add_co_ci_u32_e64 v2, null, s11, v2, s0
	v_add_co_u32 v11, s0, v5, 8
	v_add_co_ci_u32_e64 v12, null, 0, v7, s0
	v_add_co_u32 v13, s0, v1, 16
	v_add_co_ci_u32_e64 v14, null, 0, v2, s0
	v_cndmask_b32_e32 v2, v2, v7, vcc_lo
	v_cndmask_b32_e32 v1, v1, v5, vcc_lo
	v_cndmask_b32_e32 v13, v13, v11, vcc_lo
	v_cndmask_b32_e32 v14, v14, v12, vcc_lo
	global_load_dwordx2 v[11:12], v[1:2], off
	global_load_dwordx2 v[13:14], v[13:14], off
	v_ashrrev_i32_e32 v5, 31, v4
	v_cmp_le_i32_e64 s0, s14, v0
	v_lshlrev_b64 v[1:2], 3, v[4:5]
	v_add_nc_u32_e32 v4, 0x100, v4
	s_or_b32 s3, s0, s3
	v_add_co_u32 v19, s1, s4, v1
	v_add_co_ci_u32_e64 v20, null, s5, v2, s1
	v_add_co_u32 v1, s1, s8, v1
	v_add_co_ci_u32_e64 v2, null, s9, v2, s1
	s_waitcnt vmcnt(2)
	v_sub_co_u32 v15, s2, v15, s13
	v_subrev_co_ci_u32_e64 v16, null, 0, v16, s2
	v_lshlrev_b64 v[15:16], 1, v[15:16]
	v_add_co_u32 v15, s2, v15, s12
	v_add_co_ci_u32_e64 v16, null, 0, v16, s2
	v_add_co_u32 v17, s1, v15, 1
	v_add_co_ci_u32_e64 v18, null, 0, v16, s1
	s_waitcnt vmcnt(0)
	global_store_dwordx4 v[1:2], v[11:14], off
	global_store_dwordx4 v[19:20], v[15:18], off
	s_andn2_b32 exec_lo, exec_lo, s3
	s_cbranch_execnz .LBB235_4
.LBB235_5:
	s_endpgm
	.section	.rodata,"a",@progbits
	.p2align	6, 0x0
	.amdhsa_kernel _ZN9rocsparseL32bsr2csr_block_per_row_2_7_kernelILj256ELj2EdilEEv20rocsparse_direction_T3_S2_21rocsparse_index_base_PKT1_PKT2_PKS2_S2_S3_PS4_PS7_PS2_
		.amdhsa_group_segment_fixed_size 0
		.amdhsa_private_segment_fixed_size 0
		.amdhsa_kernarg_size 96
		.amdhsa_user_sgpr_count 6
		.amdhsa_user_sgpr_private_segment_buffer 1
		.amdhsa_user_sgpr_dispatch_ptr 0
		.amdhsa_user_sgpr_queue_ptr 0
		.amdhsa_user_sgpr_kernarg_segment_ptr 1
		.amdhsa_user_sgpr_dispatch_id 0
		.amdhsa_user_sgpr_flat_scratch_init 0
		.amdhsa_user_sgpr_private_segment_size 0
		.amdhsa_wavefront_size32 1
		.amdhsa_uses_dynamic_stack 0
		.amdhsa_system_sgpr_private_segment_wavefront_offset 0
		.amdhsa_system_sgpr_workgroup_id_x 1
		.amdhsa_system_sgpr_workgroup_id_y 0
		.amdhsa_system_sgpr_workgroup_id_z 0
		.amdhsa_system_sgpr_workgroup_info 0
		.amdhsa_system_vgpr_workitem_id 0
		.amdhsa_next_free_vgpr 21
		.amdhsa_next_free_sgpr 15
		.amdhsa_reserve_vcc 1
		.amdhsa_reserve_flat_scratch 0
		.amdhsa_float_round_mode_32 0
		.amdhsa_float_round_mode_16_64 0
		.amdhsa_float_denorm_mode_32 3
		.amdhsa_float_denorm_mode_16_64 3
		.amdhsa_dx10_clamp 1
		.amdhsa_ieee_mode 1
		.amdhsa_fp16_overflow 0
		.amdhsa_workgroup_processor_mode 1
		.amdhsa_memory_ordered 1
		.amdhsa_forward_progress 1
		.amdhsa_shared_vgpr_count 0
		.amdhsa_exception_fp_ieee_invalid_op 0
		.amdhsa_exception_fp_denorm_src 0
		.amdhsa_exception_fp_ieee_div_zero 0
		.amdhsa_exception_fp_ieee_overflow 0
		.amdhsa_exception_fp_ieee_underflow 0
		.amdhsa_exception_fp_ieee_inexact 0
		.amdhsa_exception_int_div_zero 0
	.end_amdhsa_kernel
	.section	.text._ZN9rocsparseL32bsr2csr_block_per_row_2_7_kernelILj256ELj2EdilEEv20rocsparse_direction_T3_S2_21rocsparse_index_base_PKT1_PKT2_PKS2_S2_S3_PS4_PS7_PS2_,"axG",@progbits,_ZN9rocsparseL32bsr2csr_block_per_row_2_7_kernelILj256ELj2EdilEEv20rocsparse_direction_T3_S2_21rocsparse_index_base_PKT1_PKT2_PKS2_S2_S3_PS4_PS7_PS2_,comdat
.Lfunc_end235:
	.size	_ZN9rocsparseL32bsr2csr_block_per_row_2_7_kernelILj256ELj2EdilEEv20rocsparse_direction_T3_S2_21rocsparse_index_base_PKT1_PKT2_PKS2_S2_S3_PS4_PS7_PS2_, .Lfunc_end235-_ZN9rocsparseL32bsr2csr_block_per_row_2_7_kernelILj256ELj2EdilEEv20rocsparse_direction_T3_S2_21rocsparse_index_base_PKT1_PKT2_PKS2_S2_S3_PS4_PS7_PS2_
                                        ; -- End function
	.set _ZN9rocsparseL32bsr2csr_block_per_row_2_7_kernelILj256ELj2EdilEEv20rocsparse_direction_T3_S2_21rocsparse_index_base_PKT1_PKT2_PKS2_S2_S3_PS4_PS7_PS2_.num_vgpr, 21
	.set _ZN9rocsparseL32bsr2csr_block_per_row_2_7_kernelILj256ELj2EdilEEv20rocsparse_direction_T3_S2_21rocsparse_index_base_PKT1_PKT2_PKS2_S2_S3_PS4_PS7_PS2_.num_agpr, 0
	.set _ZN9rocsparseL32bsr2csr_block_per_row_2_7_kernelILj256ELj2EdilEEv20rocsparse_direction_T3_S2_21rocsparse_index_base_PKT1_PKT2_PKS2_S2_S3_PS4_PS7_PS2_.numbered_sgpr, 15
	.set _ZN9rocsparseL32bsr2csr_block_per_row_2_7_kernelILj256ELj2EdilEEv20rocsparse_direction_T3_S2_21rocsparse_index_base_PKT1_PKT2_PKS2_S2_S3_PS4_PS7_PS2_.num_named_barrier, 0
	.set _ZN9rocsparseL32bsr2csr_block_per_row_2_7_kernelILj256ELj2EdilEEv20rocsparse_direction_T3_S2_21rocsparse_index_base_PKT1_PKT2_PKS2_S2_S3_PS4_PS7_PS2_.private_seg_size, 0
	.set _ZN9rocsparseL32bsr2csr_block_per_row_2_7_kernelILj256ELj2EdilEEv20rocsparse_direction_T3_S2_21rocsparse_index_base_PKT1_PKT2_PKS2_S2_S3_PS4_PS7_PS2_.uses_vcc, 1
	.set _ZN9rocsparseL32bsr2csr_block_per_row_2_7_kernelILj256ELj2EdilEEv20rocsparse_direction_T3_S2_21rocsparse_index_base_PKT1_PKT2_PKS2_S2_S3_PS4_PS7_PS2_.uses_flat_scratch, 0
	.set _ZN9rocsparseL32bsr2csr_block_per_row_2_7_kernelILj256ELj2EdilEEv20rocsparse_direction_T3_S2_21rocsparse_index_base_PKT1_PKT2_PKS2_S2_S3_PS4_PS7_PS2_.has_dyn_sized_stack, 0
	.set _ZN9rocsparseL32bsr2csr_block_per_row_2_7_kernelILj256ELj2EdilEEv20rocsparse_direction_T3_S2_21rocsparse_index_base_PKT1_PKT2_PKS2_S2_S3_PS4_PS7_PS2_.has_recursion, 0
	.set _ZN9rocsparseL32bsr2csr_block_per_row_2_7_kernelILj256ELj2EdilEEv20rocsparse_direction_T3_S2_21rocsparse_index_base_PKT1_PKT2_PKS2_S2_S3_PS4_PS7_PS2_.has_indirect_call, 0
	.section	.AMDGPU.csdata,"",@progbits
; Kernel info:
; codeLenInByte = 636
; TotalNumSgprs: 17
; NumVgprs: 21
; ScratchSize: 0
; MemoryBound: 0
; FloatMode: 240
; IeeeMode: 1
; LDSByteSize: 0 bytes/workgroup (compile time only)
; SGPRBlocks: 0
; VGPRBlocks: 2
; NumSGPRsForWavesPerEU: 17
; NumVGPRsForWavesPerEU: 21
; Occupancy: 16
; WaveLimiterHint : 0
; COMPUTE_PGM_RSRC2:SCRATCH_EN: 0
; COMPUTE_PGM_RSRC2:USER_SGPR: 6
; COMPUTE_PGM_RSRC2:TRAP_HANDLER: 0
; COMPUTE_PGM_RSRC2:TGID_X_EN: 1
; COMPUTE_PGM_RSRC2:TGID_Y_EN: 0
; COMPUTE_PGM_RSRC2:TGID_Z_EN: 0
; COMPUTE_PGM_RSRC2:TIDIG_COMP_CNT: 0
	.section	.text._ZN9rocsparseL32bsr2csr_block_per_row_2_7_kernelILj256ELj3EdilEEv20rocsparse_direction_T3_S2_21rocsparse_index_base_PKT1_PKT2_PKS2_S2_S3_PS4_PS7_PS2_,"axG",@progbits,_ZN9rocsparseL32bsr2csr_block_per_row_2_7_kernelILj256ELj3EdilEEv20rocsparse_direction_T3_S2_21rocsparse_index_base_PKT1_PKT2_PKS2_S2_S3_PS4_PS7_PS2_,comdat
	.globl	_ZN9rocsparseL32bsr2csr_block_per_row_2_7_kernelILj256ELj3EdilEEv20rocsparse_direction_T3_S2_21rocsparse_index_base_PKT1_PKT2_PKS2_S2_S3_PS4_PS7_PS2_ ; -- Begin function _ZN9rocsparseL32bsr2csr_block_per_row_2_7_kernelILj256ELj3EdilEEv20rocsparse_direction_T3_S2_21rocsparse_index_base_PKT1_PKT2_PKS2_S2_S3_PS4_PS7_PS2_
	.p2align	8
	.type	_ZN9rocsparseL32bsr2csr_block_per_row_2_7_kernelILj256ELj3EdilEEv20rocsparse_direction_T3_S2_21rocsparse_index_base_PKT1_PKT2_PKS2_S2_S3_PS4_PS7_PS2_,@function
_ZN9rocsparseL32bsr2csr_block_per_row_2_7_kernelILj256ELj3EdilEEv20rocsparse_direction_T3_S2_21rocsparse_index_base_PKT1_PKT2_PKS2_S2_S3_PS4_PS7_PS2_: ; @_ZN9rocsparseL32bsr2csr_block_per_row_2_7_kernelILj256ELj3EdilEEv20rocsparse_direction_T3_S2_21rocsparse_index_base_PKT1_PKT2_PKS2_S2_S3_PS4_PS7_PS2_
; %bb.0:
	s_clause 0x2
	s_load_dwordx2 s[2:3], s[4:5], 0x28
	s_load_dword s8, s[4:5], 0x40
	s_load_dwordx2 s[0:1], s[4:5], 0x50
	s_mov_b32 s7, 0
	v_or_b32_e32 v1, s6, v0
	s_lshl_b64 s[10:11], s[6:7], 2
	s_mov_b32 s7, exec_lo
	s_waitcnt lgkmcnt(0)
	s_add_u32 s2, s2, s10
	s_addc_u32 s3, s3, s11
	v_cmpx_eq_u32_e32 0, v1
	s_cbranch_execz .LBB236_2
; %bb.1:
	v_mov_b32_e32 v1, 0
	v_mov_b32_e32 v2, s8
	global_store_dword v1, v2, s[0:1]
.LBB236_2:
	s_or_b32 exec_lo, exec_lo, s7
	v_and_b32_e32 v1, 3, v0
	s_mov_b32 s7, exec_lo
	v_cmpx_ne_u32_e32 3, v1
	s_cbranch_execz .LBB236_6
; %bb.3:
	s_load_dwordx2 s[2:3], s[2:3], 0x0
	s_load_dword s12, s[4:5], 0x18
	v_lshrrev_b32_e32 v2, 2, v0
	s_mul_hi_u32 s10, s6, 12
	s_mul_i32 s6, s6, 12
	v_lshlrev_b32_e32 v5, 2, v1
	s_waitcnt lgkmcnt(0)
	s_sub_i32 s7, s2, s12
	s_sub_i32 s3, s3, s12
	v_add_nc_u32_e32 v0, s7, v2
	s_sub_i32 s9, s3, s7
	s_mul_i32 s11, s7, 9
	s_mul_i32 s9, s9, 3
	v_mul_lo_u32 v4, s9, v1
	s_add_i32 s9, s9, s8
	v_cmp_gt_i32_e32 vcc_lo, s3, v0
	s_add_u32 s0, s0, s6
	s_addc_u32 s1, s1, s10
	v_add3_u32 v3, s9, s11, v4
	global_store_dword v5, v3, s[0:1] offset:4
	s_and_b32 exec_lo, exec_lo, vcc_lo
	s_cbranch_execz .LBB236_6
; %bb.4:
	s_clause 0x4
	s_load_dwordx2 s[0:1], s[4:5], 0x20
	s_load_dwordx2 s[6:7], s[4:5], 0x30
	;; [unrolled: 1-line block ×3, first 2 shown]
	s_load_dword s9, s[4:5], 0x0
	s_load_dwordx2 s[4:5], s[4:5], 0x58
	v_lshlrev_b32_e32 v5, 3, v1
	v_mul_u32_u24_e32 v6, 3, v2
	s_mul_i32 s2, s2, 9
	v_lshlrev_b32_e32 v1, 4, v1
	s_mul_i32 s13, s12, 9
	v_mov_b32_e32 v3, 0
	v_add3_u32 v4, v4, s2, v6
	v_lshl_add_u32 v2, v0, 3, v0
	v_subrev_nc_u32_e32 v4, s13, v4
	s_waitcnt lgkmcnt(0)
	v_add_co_u32 v6, s0, s0, v5
	v_add_co_ci_u32_e64 v7, null, s1, 0, s0
	s_cmp_eq_u32 s9, 0
	v_add_co_u32 v8, vcc_lo, v6, v1
	v_add_co_ci_u32_e64 v9, null, 0, v7, vcc_lo
	s_mov_b32 s9, 0
	s_cselect_b32 vcc_lo, -1, 0
	s_mov_b32 s13, s9
.LBB236_5:                              ; =>This Inner Loop Header: Depth=1
	v_ashrrev_i32_e32 v1, 31, v0
	v_lshlrev_b64 v[10:11], 3, v[2:3]
	v_add_nc_u32_e32 v2, 0x240, v2
	v_lshlrev_b64 v[12:13], 3, v[0:1]
	v_add_nc_u32_e32 v0, 64, v0
	v_add_co_u32 v5, s1, v8, v10
	v_add_co_u32 v1, s0, v6, v10
	;; [unrolled: 1-line block ×3, first 2 shown]
	v_add_co_ci_u32_e64 v13, null, s7, v13, s2
	v_add_co_ci_u32_e64 v10, null, v9, v11, s1
	v_add_co_ci_u32_e64 v11, null, v7, v11, s0
	global_load_dwordx2 v[14:15], v[12:13], off
	v_add_co_u32 v12, s0, v5, 8
	v_add_co_ci_u32_e64 v13, null, 0, v10, s0
	v_add_co_u32 v16, s0, v1, 24
	v_add_co_ci_u32_e64 v17, null, 0, v11, s0
	;; [unrolled: 2-line block ×4, first 2 shown]
	v_cndmask_b32_e32 v11, v11, v10, vcc_lo
	v_cndmask_b32_e32 v10, v1, v5, vcc_lo
	v_cndmask_b32_e32 v13, v17, v13, vcc_lo
	v_cndmask_b32_e32 v12, v16, v12, vcc_lo
	v_cndmask_b32_e32 v17, v21, v19, vcc_lo
	v_cndmask_b32_e32 v16, v20, v18, vcc_lo
	global_load_dwordx2 v[10:11], v[10:11], off
	global_load_dwordx2 v[12:13], v[12:13], off
	;; [unrolled: 1-line block ×3, first 2 shown]
	v_ashrrev_i32_e32 v5, 31, v4
	v_cmp_le_i32_e64 s0, s3, v0
	v_lshlrev_b64 v[16:17], 3, v[4:5]
	v_add_nc_u32_e32 v4, 0xc0, v4
	s_or_b32 s13, s0, s13
	s_waitcnt vmcnt(3)
	v_sub_co_u32 v1, s1, v14, s12
	v_subrev_co_ci_u32_e64 v5, null, 0, v15, s1
	v_add_co_u32 v20, s1, s4, v16
	v_mad_u64_u32 v[14:15], null, v1, 3, s[8:9]
	v_add_co_ci_u32_e64 v21, null, s5, v17, s1
	v_add_co_u32 v22, s1, s10, v16
	v_add_co_ci_u32_e64 v23, null, s11, v17, s1
	v_mov_b32_e32 v1, v15
	v_add_co_u32 v24, s1, v14, 2
	v_mad_u64_u32 v[15:16], null, v5, 3, v[1:2]
	v_add_co_u32 v16, s2, v14, 1
	v_add_co_ci_u32_e64 v17, null, 0, v15, s2
	v_add_co_ci_u32_e64 v25, null, 0, v15, s1
	s_waitcnt vmcnt(1)
	global_store_dwordx4 v[22:23], v[10:13], off
	s_waitcnt vmcnt(0)
	global_store_dwordx2 v[22:23], v[18:19], off offset:16
	global_store_dwordx4 v[20:21], v[14:17], off
	global_store_dwordx2 v[20:21], v[24:25], off offset:16
	s_andn2_b32 exec_lo, exec_lo, s13
	s_cbranch_execnz .LBB236_5
.LBB236_6:
	s_endpgm
	.section	.rodata,"a",@progbits
	.p2align	6, 0x0
	.amdhsa_kernel _ZN9rocsparseL32bsr2csr_block_per_row_2_7_kernelILj256ELj3EdilEEv20rocsparse_direction_T3_S2_21rocsparse_index_base_PKT1_PKT2_PKS2_S2_S3_PS4_PS7_PS2_
		.amdhsa_group_segment_fixed_size 0
		.amdhsa_private_segment_fixed_size 0
		.amdhsa_kernarg_size 96
		.amdhsa_user_sgpr_count 6
		.amdhsa_user_sgpr_private_segment_buffer 1
		.amdhsa_user_sgpr_dispatch_ptr 0
		.amdhsa_user_sgpr_queue_ptr 0
		.amdhsa_user_sgpr_kernarg_segment_ptr 1
		.amdhsa_user_sgpr_dispatch_id 0
		.amdhsa_user_sgpr_flat_scratch_init 0
		.amdhsa_user_sgpr_private_segment_size 0
		.amdhsa_wavefront_size32 1
		.amdhsa_uses_dynamic_stack 0
		.amdhsa_system_sgpr_private_segment_wavefront_offset 0
		.amdhsa_system_sgpr_workgroup_id_x 1
		.amdhsa_system_sgpr_workgroup_id_y 0
		.amdhsa_system_sgpr_workgroup_id_z 0
		.amdhsa_system_sgpr_workgroup_info 0
		.amdhsa_system_vgpr_workitem_id 0
		.amdhsa_next_free_vgpr 26
		.amdhsa_next_free_sgpr 14
		.amdhsa_reserve_vcc 1
		.amdhsa_reserve_flat_scratch 0
		.amdhsa_float_round_mode_32 0
		.amdhsa_float_round_mode_16_64 0
		.amdhsa_float_denorm_mode_32 3
		.amdhsa_float_denorm_mode_16_64 3
		.amdhsa_dx10_clamp 1
		.amdhsa_ieee_mode 1
		.amdhsa_fp16_overflow 0
		.amdhsa_workgroup_processor_mode 1
		.amdhsa_memory_ordered 1
		.amdhsa_forward_progress 1
		.amdhsa_shared_vgpr_count 0
		.amdhsa_exception_fp_ieee_invalid_op 0
		.amdhsa_exception_fp_denorm_src 0
		.amdhsa_exception_fp_ieee_div_zero 0
		.amdhsa_exception_fp_ieee_overflow 0
		.amdhsa_exception_fp_ieee_underflow 0
		.amdhsa_exception_fp_ieee_inexact 0
		.amdhsa_exception_int_div_zero 0
	.end_amdhsa_kernel
	.section	.text._ZN9rocsparseL32bsr2csr_block_per_row_2_7_kernelILj256ELj3EdilEEv20rocsparse_direction_T3_S2_21rocsparse_index_base_PKT1_PKT2_PKS2_S2_S3_PS4_PS7_PS2_,"axG",@progbits,_ZN9rocsparseL32bsr2csr_block_per_row_2_7_kernelILj256ELj3EdilEEv20rocsparse_direction_T3_S2_21rocsparse_index_base_PKT1_PKT2_PKS2_S2_S3_PS4_PS7_PS2_,comdat
.Lfunc_end236:
	.size	_ZN9rocsparseL32bsr2csr_block_per_row_2_7_kernelILj256ELj3EdilEEv20rocsparse_direction_T3_S2_21rocsparse_index_base_PKT1_PKT2_PKS2_S2_S3_PS4_PS7_PS2_, .Lfunc_end236-_ZN9rocsparseL32bsr2csr_block_per_row_2_7_kernelILj256ELj3EdilEEv20rocsparse_direction_T3_S2_21rocsparse_index_base_PKT1_PKT2_PKS2_S2_S3_PS4_PS7_PS2_
                                        ; -- End function
	.set _ZN9rocsparseL32bsr2csr_block_per_row_2_7_kernelILj256ELj3EdilEEv20rocsparse_direction_T3_S2_21rocsparse_index_base_PKT1_PKT2_PKS2_S2_S3_PS4_PS7_PS2_.num_vgpr, 26
	.set _ZN9rocsparseL32bsr2csr_block_per_row_2_7_kernelILj256ELj3EdilEEv20rocsparse_direction_T3_S2_21rocsparse_index_base_PKT1_PKT2_PKS2_S2_S3_PS4_PS7_PS2_.num_agpr, 0
	.set _ZN9rocsparseL32bsr2csr_block_per_row_2_7_kernelILj256ELj3EdilEEv20rocsparse_direction_T3_S2_21rocsparse_index_base_PKT1_PKT2_PKS2_S2_S3_PS4_PS7_PS2_.numbered_sgpr, 14
	.set _ZN9rocsparseL32bsr2csr_block_per_row_2_7_kernelILj256ELj3EdilEEv20rocsparse_direction_T3_S2_21rocsparse_index_base_PKT1_PKT2_PKS2_S2_S3_PS4_PS7_PS2_.num_named_barrier, 0
	.set _ZN9rocsparseL32bsr2csr_block_per_row_2_7_kernelILj256ELj3EdilEEv20rocsparse_direction_T3_S2_21rocsparse_index_base_PKT1_PKT2_PKS2_S2_S3_PS4_PS7_PS2_.private_seg_size, 0
	.set _ZN9rocsparseL32bsr2csr_block_per_row_2_7_kernelILj256ELj3EdilEEv20rocsparse_direction_T3_S2_21rocsparse_index_base_PKT1_PKT2_PKS2_S2_S3_PS4_PS7_PS2_.uses_vcc, 1
	.set _ZN9rocsparseL32bsr2csr_block_per_row_2_7_kernelILj256ELj3EdilEEv20rocsparse_direction_T3_S2_21rocsparse_index_base_PKT1_PKT2_PKS2_S2_S3_PS4_PS7_PS2_.uses_flat_scratch, 0
	.set _ZN9rocsparseL32bsr2csr_block_per_row_2_7_kernelILj256ELj3EdilEEv20rocsparse_direction_T3_S2_21rocsparse_index_base_PKT1_PKT2_PKS2_S2_S3_PS4_PS7_PS2_.has_dyn_sized_stack, 0
	.set _ZN9rocsparseL32bsr2csr_block_per_row_2_7_kernelILj256ELj3EdilEEv20rocsparse_direction_T3_S2_21rocsparse_index_base_PKT1_PKT2_PKS2_S2_S3_PS4_PS7_PS2_.has_recursion, 0
	.set _ZN9rocsparseL32bsr2csr_block_per_row_2_7_kernelILj256ELj3EdilEEv20rocsparse_direction_T3_S2_21rocsparse_index_base_PKT1_PKT2_PKS2_S2_S3_PS4_PS7_PS2_.has_indirect_call, 0
	.section	.AMDGPU.csdata,"",@progbits
; Kernel info:
; codeLenInByte = 736
; TotalNumSgprs: 16
; NumVgprs: 26
; ScratchSize: 0
; MemoryBound: 0
; FloatMode: 240
; IeeeMode: 1
; LDSByteSize: 0 bytes/workgroup (compile time only)
; SGPRBlocks: 0
; VGPRBlocks: 3
; NumSGPRsForWavesPerEU: 16
; NumVGPRsForWavesPerEU: 26
; Occupancy: 16
; WaveLimiterHint : 0
; COMPUTE_PGM_RSRC2:SCRATCH_EN: 0
; COMPUTE_PGM_RSRC2:USER_SGPR: 6
; COMPUTE_PGM_RSRC2:TRAP_HANDLER: 0
; COMPUTE_PGM_RSRC2:TGID_X_EN: 1
; COMPUTE_PGM_RSRC2:TGID_Y_EN: 0
; COMPUTE_PGM_RSRC2:TGID_Z_EN: 0
; COMPUTE_PGM_RSRC2:TIDIG_COMP_CNT: 0
	.section	.text._ZN9rocsparseL32bsr2csr_block_per_row_2_7_kernelILj256ELj4EdilEEv20rocsparse_direction_T3_S2_21rocsparse_index_base_PKT1_PKT2_PKS2_S2_S3_PS4_PS7_PS2_,"axG",@progbits,_ZN9rocsparseL32bsr2csr_block_per_row_2_7_kernelILj256ELj4EdilEEv20rocsparse_direction_T3_S2_21rocsparse_index_base_PKT1_PKT2_PKS2_S2_S3_PS4_PS7_PS2_,comdat
	.globl	_ZN9rocsparseL32bsr2csr_block_per_row_2_7_kernelILj256ELj4EdilEEv20rocsparse_direction_T3_S2_21rocsparse_index_base_PKT1_PKT2_PKS2_S2_S3_PS4_PS7_PS2_ ; -- Begin function _ZN9rocsparseL32bsr2csr_block_per_row_2_7_kernelILj256ELj4EdilEEv20rocsparse_direction_T3_S2_21rocsparse_index_base_PKT1_PKT2_PKS2_S2_S3_PS4_PS7_PS2_
	.p2align	8
	.type	_ZN9rocsparseL32bsr2csr_block_per_row_2_7_kernelILj256ELj4EdilEEv20rocsparse_direction_T3_S2_21rocsparse_index_base_PKT1_PKT2_PKS2_S2_S3_PS4_PS7_PS2_,@function
_ZN9rocsparseL32bsr2csr_block_per_row_2_7_kernelILj256ELj4EdilEEv20rocsparse_direction_T3_S2_21rocsparse_index_base_PKT1_PKT2_PKS2_S2_S3_PS4_PS7_PS2_: ; @_ZN9rocsparseL32bsr2csr_block_per_row_2_7_kernelILj256ELj4EdilEEv20rocsparse_direction_T3_S2_21rocsparse_index_base_PKT1_PKT2_PKS2_S2_S3_PS4_PS7_PS2_
; %bb.0:
	s_load_dwordx2 s[0:1], s[4:5], 0x28
	s_mov_b32 s7, 0
	s_clause 0x1
	s_load_dword s10, s[4:5], 0x40
	s_load_dwordx2 s[2:3], s[4:5], 0x50
	s_lshl_b64 s[8:9], s[6:7], 2
	v_or_b32_e32 v1, s6, v0
	s_waitcnt lgkmcnt(0)
	s_add_u32 s0, s0, s8
	s_addc_u32 s1, s1, s9
	s_mov_b32 s8, exec_lo
	s_load_dwordx2 s[0:1], s[0:1], 0x0
	v_cmpx_eq_u32_e32 0, v1
	s_cbranch_execz .LBB237_2
; %bb.1:
	v_mov_b32_e32 v1, 0
	v_mov_b32_e32 v2, s10
	global_store_dword v1, v2, s[2:3]
.LBB237_2:
	s_or_b32 exec_lo, exec_lo, s8
	s_load_dword s11, s[4:5], 0x18
	v_and_b32_e32 v8, 3, v0
	v_lshrrev_b32_e32 v2, 2, v0
	s_lshl_b64 s[6:7], s[6:7], 4
	v_lshlrev_b32_e32 v4, 2, v8
	s_waitcnt lgkmcnt(0)
	s_sub_i32 s8, s0, s11
	s_sub_i32 s12, s1, s11
	s_lshl_b32 s9, s8, 4
	s_sub_i32 s1, s12, s8
	v_add_nc_u32_e32 v0, s8, v2
	s_lshl_b32 s1, s1, 2
	v_mul_lo_u32 v1, s1, v8
	s_add_i32 s1, s1, s10
	s_add_u32 s2, s2, s6
	s_addc_u32 s3, s3, s7
	v_add3_u32 v3, s1, s9, v1
	s_mov_b32 s1, exec_lo
	global_store_dword v4, v3, s[2:3] offset:4
	v_cmpx_gt_i32_e64 s12, v0
	s_cbranch_execz .LBB237_5
; %bb.3:
	s_clause 0x4
	s_load_dwordx2 s[2:3], s[4:5], 0x30
	s_load_dwordx2 s[6:7], s[4:5], 0x48
	s_load_dword s1, s[4:5], 0x0
	s_load_dwordx2 s[8:9], s[4:5], 0x20
	s_load_dwordx2 s[4:5], s[4:5], 0x58
	v_lshlrev_b32_e32 v2, 2, v2
	v_lshlrev_b32_e32 v4, 5, v8
	v_mov_b32_e32 v3, 0
	v_lshlrev_b32_e32 v6, 4, v0
	s_mov_b32 s13, 0
	s_waitcnt lgkmcnt(0)
	s_cmp_eq_u32 s1, 0
	s_cselect_b32 vcc_lo, -1, 0
	s_lshl_b32 s0, s0, 4
	s_lshl_b32 s1, s11, 4
	v_add3_u32 v1, v1, s0, v2
	v_add_co_u32 v9, s0, s8, v4
	v_add_co_ci_u32_e64 v10, null, s9, 0, s0
	v_subrev_nc_u32_e32 v4, s1, v1
.LBB237_4:                              ; =>This Inner Loop Header: Depth=1
	v_ashrrev_i32_e32 v1, 31, v0
	v_add_nc_u32_e32 v2, v8, v6
	v_mov_b32_e32 v7, v3
	v_lshlrev_b64 v[11:12], 3, v[0:1]
	v_lshlrev_b64 v[1:2], 3, v[2:3]
	;; [unrolled: 1-line block ×3, first 2 shown]
	v_add_nc_u32_e32 v0, 64, v0
	v_add_nc_u32_e32 v6, 0x400, v6
	v_add_co_u32 v11, s0, s2, v11
	v_add_co_ci_u32_e64 v12, null, s3, v12, s0
	v_add_co_u32 v5, s0, s8, v1
	v_add_co_ci_u32_e64 v7, null, s9, v2, s0
	global_load_dwordx2 v[1:2], v[11:12], off
	v_add_co_u32 v13, s0, v9, v13
	v_add_co_ci_u32_e64 v14, null, v10, v14, s0
	v_add_co_u32 v15, s0, v13, 8
	v_add_co_ci_u32_e64 v16, null, 0, v14, s0
	;; [unrolled: 2-line block ×5, first 2 shown]
	v_add_co_u32 v23, s0, v13, 24
	v_cndmask_b32_e32 v11, v5, v13, vcc_lo
	v_add_co_ci_u32_e64 v24, null, 0, v14, s0
	v_add_co_u32 v5, s0, 0x60, v5
	v_cndmask_b32_e32 v12, v7, v14, vcc_lo
	v_add_co_ci_u32_e64 v7, null, 0, v7, s0
	v_cndmask_b32_e32 v14, v18, v16, vcc_lo
	v_cndmask_b32_e32 v13, v17, v15, vcc_lo
	;; [unrolled: 1-line block ×6, first 2 shown]
	global_load_dwordx2 v[11:12], v[11:12], off
	global_load_dwordx2 v[13:14], v[13:14], off
	;; [unrolled: 1-line block ×4, first 2 shown]
	v_ashrrev_i32_e32 v5, 31, v4
	v_cmp_le_i32_e64 s0, s12, v0
	v_lshlrev_b64 v[19:20], 3, v[4:5]
	v_add_nc_u32_e32 v4, 0x100, v4
	s_or_b32 s13, s0, s13
	v_add_co_u32 v27, s1, s4, v19
	v_add_co_ci_u32_e64 v28, null, s5, v20, s1
	v_add_co_u32 v29, s1, s6, v19
	v_add_co_ci_u32_e64 v30, null, s7, v20, s1
	s_waitcnt vmcnt(4)
	v_sub_co_u32 v1, s1, v1, s11
	v_subrev_co_ci_u32_e64 v2, null, 0, v2, s1
	v_lshlrev_b64 v[1:2], 2, v[1:2]
	v_add_co_u32 v19, s1, v1, s10
	v_add_co_ci_u32_e64 v20, null, 0, v2, s1
	v_add_co_u32 v21, s1, v19, 1
	v_add_co_ci_u32_e64 v22, null, 0, v20, s1
	;; [unrolled: 2-line block ×4, first 2 shown]
	s_waitcnt vmcnt(2)
	global_store_dwordx4 v[29:30], v[11:14], off
	s_waitcnt vmcnt(0)
	global_store_dwordx4 v[29:30], v[15:18], off offset:16
	global_store_dwordx4 v[27:28], v[19:22], off
	global_store_dwordx4 v[27:28], v[23:26], off offset:16
	s_andn2_b32 exec_lo, exec_lo, s13
	s_cbranch_execnz .LBB237_4
.LBB237_5:
	s_endpgm
	.section	.rodata,"a",@progbits
	.p2align	6, 0x0
	.amdhsa_kernel _ZN9rocsparseL32bsr2csr_block_per_row_2_7_kernelILj256ELj4EdilEEv20rocsparse_direction_T3_S2_21rocsparse_index_base_PKT1_PKT2_PKS2_S2_S3_PS4_PS7_PS2_
		.amdhsa_group_segment_fixed_size 0
		.amdhsa_private_segment_fixed_size 0
		.amdhsa_kernarg_size 96
		.amdhsa_user_sgpr_count 6
		.amdhsa_user_sgpr_private_segment_buffer 1
		.amdhsa_user_sgpr_dispatch_ptr 0
		.amdhsa_user_sgpr_queue_ptr 0
		.amdhsa_user_sgpr_kernarg_segment_ptr 1
		.amdhsa_user_sgpr_dispatch_id 0
		.amdhsa_user_sgpr_flat_scratch_init 0
		.amdhsa_user_sgpr_private_segment_size 0
		.amdhsa_wavefront_size32 1
		.amdhsa_uses_dynamic_stack 0
		.amdhsa_system_sgpr_private_segment_wavefront_offset 0
		.amdhsa_system_sgpr_workgroup_id_x 1
		.amdhsa_system_sgpr_workgroup_id_y 0
		.amdhsa_system_sgpr_workgroup_id_z 0
		.amdhsa_system_sgpr_workgroup_info 0
		.amdhsa_system_vgpr_workitem_id 0
		.amdhsa_next_free_vgpr 31
		.amdhsa_next_free_sgpr 14
		.amdhsa_reserve_vcc 1
		.amdhsa_reserve_flat_scratch 0
		.amdhsa_float_round_mode_32 0
		.amdhsa_float_round_mode_16_64 0
		.amdhsa_float_denorm_mode_32 3
		.amdhsa_float_denorm_mode_16_64 3
		.amdhsa_dx10_clamp 1
		.amdhsa_ieee_mode 1
		.amdhsa_fp16_overflow 0
		.amdhsa_workgroup_processor_mode 1
		.amdhsa_memory_ordered 1
		.amdhsa_forward_progress 1
		.amdhsa_shared_vgpr_count 0
		.amdhsa_exception_fp_ieee_invalid_op 0
		.amdhsa_exception_fp_denorm_src 0
		.amdhsa_exception_fp_ieee_div_zero 0
		.amdhsa_exception_fp_ieee_overflow 0
		.amdhsa_exception_fp_ieee_underflow 0
		.amdhsa_exception_fp_ieee_inexact 0
		.amdhsa_exception_int_div_zero 0
	.end_amdhsa_kernel
	.section	.text._ZN9rocsparseL32bsr2csr_block_per_row_2_7_kernelILj256ELj4EdilEEv20rocsparse_direction_T3_S2_21rocsparse_index_base_PKT1_PKT2_PKS2_S2_S3_PS4_PS7_PS2_,"axG",@progbits,_ZN9rocsparseL32bsr2csr_block_per_row_2_7_kernelILj256ELj4EdilEEv20rocsparse_direction_T3_S2_21rocsparse_index_base_PKT1_PKT2_PKS2_S2_S3_PS4_PS7_PS2_,comdat
.Lfunc_end237:
	.size	_ZN9rocsparseL32bsr2csr_block_per_row_2_7_kernelILj256ELj4EdilEEv20rocsparse_direction_T3_S2_21rocsparse_index_base_PKT1_PKT2_PKS2_S2_S3_PS4_PS7_PS2_, .Lfunc_end237-_ZN9rocsparseL32bsr2csr_block_per_row_2_7_kernelILj256ELj4EdilEEv20rocsparse_direction_T3_S2_21rocsparse_index_base_PKT1_PKT2_PKS2_S2_S3_PS4_PS7_PS2_
                                        ; -- End function
	.set _ZN9rocsparseL32bsr2csr_block_per_row_2_7_kernelILj256ELj4EdilEEv20rocsparse_direction_T3_S2_21rocsparse_index_base_PKT1_PKT2_PKS2_S2_S3_PS4_PS7_PS2_.num_vgpr, 31
	.set _ZN9rocsparseL32bsr2csr_block_per_row_2_7_kernelILj256ELj4EdilEEv20rocsparse_direction_T3_S2_21rocsparse_index_base_PKT1_PKT2_PKS2_S2_S3_PS4_PS7_PS2_.num_agpr, 0
	.set _ZN9rocsparseL32bsr2csr_block_per_row_2_7_kernelILj256ELj4EdilEEv20rocsparse_direction_T3_S2_21rocsparse_index_base_PKT1_PKT2_PKS2_S2_S3_PS4_PS7_PS2_.numbered_sgpr, 14
	.set _ZN9rocsparseL32bsr2csr_block_per_row_2_7_kernelILj256ELj4EdilEEv20rocsparse_direction_T3_S2_21rocsparse_index_base_PKT1_PKT2_PKS2_S2_S3_PS4_PS7_PS2_.num_named_barrier, 0
	.set _ZN9rocsparseL32bsr2csr_block_per_row_2_7_kernelILj256ELj4EdilEEv20rocsparse_direction_T3_S2_21rocsparse_index_base_PKT1_PKT2_PKS2_S2_S3_PS4_PS7_PS2_.private_seg_size, 0
	.set _ZN9rocsparseL32bsr2csr_block_per_row_2_7_kernelILj256ELj4EdilEEv20rocsparse_direction_T3_S2_21rocsparse_index_base_PKT1_PKT2_PKS2_S2_S3_PS4_PS7_PS2_.uses_vcc, 1
	.set _ZN9rocsparseL32bsr2csr_block_per_row_2_7_kernelILj256ELj4EdilEEv20rocsparse_direction_T3_S2_21rocsparse_index_base_PKT1_PKT2_PKS2_S2_S3_PS4_PS7_PS2_.uses_flat_scratch, 0
	.set _ZN9rocsparseL32bsr2csr_block_per_row_2_7_kernelILj256ELj4EdilEEv20rocsparse_direction_T3_S2_21rocsparse_index_base_PKT1_PKT2_PKS2_S2_S3_PS4_PS7_PS2_.has_dyn_sized_stack, 0
	.set _ZN9rocsparseL32bsr2csr_block_per_row_2_7_kernelILj256ELj4EdilEEv20rocsparse_direction_T3_S2_21rocsparse_index_base_PKT1_PKT2_PKS2_S2_S3_PS4_PS7_PS2_.has_recursion, 0
	.set _ZN9rocsparseL32bsr2csr_block_per_row_2_7_kernelILj256ELj4EdilEEv20rocsparse_direction_T3_S2_21rocsparse_index_base_PKT1_PKT2_PKS2_S2_S3_PS4_PS7_PS2_.has_indirect_call, 0
	.section	.AMDGPU.csdata,"",@progbits
; Kernel info:
; codeLenInByte = 784
; TotalNumSgprs: 16
; NumVgprs: 31
; ScratchSize: 0
; MemoryBound: 0
; FloatMode: 240
; IeeeMode: 1
; LDSByteSize: 0 bytes/workgroup (compile time only)
; SGPRBlocks: 0
; VGPRBlocks: 3
; NumSGPRsForWavesPerEU: 16
; NumVGPRsForWavesPerEU: 31
; Occupancy: 16
; WaveLimiterHint : 0
; COMPUTE_PGM_RSRC2:SCRATCH_EN: 0
; COMPUTE_PGM_RSRC2:USER_SGPR: 6
; COMPUTE_PGM_RSRC2:TRAP_HANDLER: 0
; COMPUTE_PGM_RSRC2:TGID_X_EN: 1
; COMPUTE_PGM_RSRC2:TGID_Y_EN: 0
; COMPUTE_PGM_RSRC2:TGID_Z_EN: 0
; COMPUTE_PGM_RSRC2:TIDIG_COMP_CNT: 0
	.section	.text._ZN9rocsparseL32bsr2csr_block_per_row_2_7_kernelILj256ELj5EdilEEv20rocsparse_direction_T3_S2_21rocsparse_index_base_PKT1_PKT2_PKS2_S2_S3_PS4_PS7_PS2_,"axG",@progbits,_ZN9rocsparseL32bsr2csr_block_per_row_2_7_kernelILj256ELj5EdilEEv20rocsparse_direction_T3_S2_21rocsparse_index_base_PKT1_PKT2_PKS2_S2_S3_PS4_PS7_PS2_,comdat
	.globl	_ZN9rocsparseL32bsr2csr_block_per_row_2_7_kernelILj256ELj5EdilEEv20rocsparse_direction_T3_S2_21rocsparse_index_base_PKT1_PKT2_PKS2_S2_S3_PS4_PS7_PS2_ ; -- Begin function _ZN9rocsparseL32bsr2csr_block_per_row_2_7_kernelILj256ELj5EdilEEv20rocsparse_direction_T3_S2_21rocsparse_index_base_PKT1_PKT2_PKS2_S2_S3_PS4_PS7_PS2_
	.p2align	8
	.type	_ZN9rocsparseL32bsr2csr_block_per_row_2_7_kernelILj256ELj5EdilEEv20rocsparse_direction_T3_S2_21rocsparse_index_base_PKT1_PKT2_PKS2_S2_S3_PS4_PS7_PS2_,@function
_ZN9rocsparseL32bsr2csr_block_per_row_2_7_kernelILj256ELj5EdilEEv20rocsparse_direction_T3_S2_21rocsparse_index_base_PKT1_PKT2_PKS2_S2_S3_PS4_PS7_PS2_: ; @_ZN9rocsparseL32bsr2csr_block_per_row_2_7_kernelILj256ELj5EdilEEv20rocsparse_direction_T3_S2_21rocsparse_index_base_PKT1_PKT2_PKS2_S2_S3_PS4_PS7_PS2_
; %bb.0:
	s_clause 0x2
	s_load_dwordx2 s[2:3], s[4:5], 0x28
	s_load_dword s8, s[4:5], 0x40
	s_load_dwordx2 s[0:1], s[4:5], 0x50
	s_mov_b32 s7, 0
	v_or_b32_e32 v1, s6, v0
	s_lshl_b64 s[10:11], s[6:7], 2
	s_mov_b32 s7, exec_lo
	s_waitcnt lgkmcnt(0)
	s_add_u32 s2, s2, s10
	s_addc_u32 s3, s3, s11
	v_cmpx_eq_u32_e32 0, v1
	s_cbranch_execz .LBB238_2
; %bb.1:
	v_mov_b32_e32 v1, 0
	v_mov_b32_e32 v2, s8
	global_store_dword v1, v2, s[0:1]
.LBB238_2:
	s_or_b32 exec_lo, exec_lo, s7
	v_and_b32_e32 v1, 7, v0
	s_mov_b32 s7, exec_lo
	v_cmpx_gt_u32_e32 5, v1
	s_cbranch_execz .LBB238_6
; %bb.3:
	s_load_dwordx2 s[2:3], s[2:3], 0x0
	s_load_dword s12, s[4:5], 0x18
	v_lshrrev_b32_e32 v2, 3, v0
	s_mul_hi_u32 s9, s6, 20
	s_mul_i32 s6, s6, 20
	v_lshlrev_b32_e32 v5, 2, v1
	s_waitcnt lgkmcnt(0)
	s_sub_i32 s7, s2, s12
	s_sub_i32 s13, s3, s12
	v_add_nc_u32_e32 v0, s7, v2
	s_sub_i32 s3, s13, s7
	s_mul_i32 s10, s7, 25
	s_mul_i32 s3, s3, 5
	v_mul_lo_u32 v4, s3, v1
	s_add_i32 s3, s3, s8
	v_cmp_gt_i32_e32 vcc_lo, s13, v0
	s_add_u32 s0, s0, s6
	s_addc_u32 s1, s1, s9
	v_add3_u32 v3, s3, s10, v4
	global_store_dword v5, v3, s[0:1] offset:4
	s_and_b32 exec_lo, exec_lo, vcc_lo
	s_cbranch_execz .LBB238_6
; %bb.4:
	s_clause 0x4
	s_load_dwordx2 s[0:1], s[4:5], 0x20
	s_load_dwordx2 s[6:7], s[4:5], 0x30
	;; [unrolled: 1-line block ×3, first 2 shown]
	s_load_dword s3, s[4:5], 0x0
	s_load_dwordx2 s[4:5], s[4:5], 0x58
	v_lshlrev_b32_e32 v5, 3, v1
	v_mul_u32_u24_e32 v6, 5, v2
	s_mul_i32 s2, s2, 25
	v_lshlrev_b32_e32 v1, 5, v1
	v_mul_lo_u32 v2, v0, 25
	s_mul_i32 s9, s12, 25
	v_add3_u32 v4, v4, s2, v6
	v_mov_b32_e32 v3, 0
	v_subrev_nc_u32_e32 v4, s9, v4
	s_mov_b32 s9, 0
	s_mov_b32 s14, s9
	s_waitcnt lgkmcnt(0)
	v_add_co_u32 v6, s0, s0, v5
	v_add_co_ci_u32_e64 v7, null, s1, 0, s0
	s_cmp_eq_u32 s3, 0
	v_add_co_u32 v8, vcc_lo, v6, v1
	v_add_co_ci_u32_e64 v9, null, 0, v7, vcc_lo
	s_cselect_b32 vcc_lo, -1, 0
.LBB238_5:                              ; =>This Inner Loop Header: Depth=1
	v_lshlrev_b64 v[10:11], 3, v[2:3]
	v_ashrrev_i32_e32 v1, 31, v0
	v_add_nc_u32_e32 v2, 0x320, v2
	v_lshlrev_b64 v[12:13], 3, v[0:1]
	v_add_co_u32 v1, s0, v6, v10
	v_add_co_ci_u32_e64 v5, null, v7, v11, s0
	v_add_co_u32 v14, s0, v8, v10
	v_add_co_ci_u32_e64 v15, null, v9, v11, s0
	;; [unrolled: 2-line block ×3, first 2 shown]
	v_cndmask_b32_e32 v13, v5, v15, vcc_lo
	v_cndmask_b32_e32 v12, v1, v14, vcc_lo
	global_load_dwordx2 v[18:19], v[10:11], off
	global_load_dwordx2 v[10:11], v[12:13], off
	v_add_co_u32 v16, s0, v14, 8
	v_add_co_ci_u32_e64 v17, null, 0, v15, s0
	v_add_co_u32 v20, s0, v1, 40
	v_add_co_ci_u32_e64 v21, null, 0, v5, s0
	v_add_co_u32 v22, s0, v14, 16
	v_add_co_ci_u32_e64 v23, null, 0, v15, s0
	v_add_co_u32 v24, s0, 0x50, v1
	v_add_co_ci_u32_e64 v25, null, 0, v5, s0
	v_add_co_u32 v26, s0, v14, 24
	v_add_co_ci_u32_e64 v27, null, 0, v15, s0
	v_add_co_u32 v28, s0, 0x78, v1
	v_add_co_ci_u32_e64 v29, null, 0, v5, s0
	v_add_co_u32 v30, s0, v14, 32
	v_add_co_ci_u32_e64 v31, null, 0, v15, s0
	v_add_co_u32 v1, s0, 0xa0, v1
	v_add_co_ci_u32_e64 v5, null, 0, v5, s0
	v_cndmask_b32_e32 v13, v21, v17, vcc_lo
	v_cndmask_b32_e32 v12, v20, v16, vcc_lo
	;; [unrolled: 1-line block ×8, first 2 shown]
	global_load_dwordx2 v[12:13], v[12:13], off
	global_load_dwordx2 v[14:15], v[14:15], off
	;; [unrolled: 1-line block ×4, first 2 shown]
	v_add_nc_u32_e32 v0, 32, v0
	v_ashrrev_i32_e32 v5, 31, v4
	v_cmp_le_i32_e64 s0, s13, v0
	v_lshlrev_b64 v[20:21], 3, v[4:5]
	v_add_nc_u32_e32 v4, 0xa0, v4
	s_or_b32 s14, s0, s14
	v_add_co_u32 v24, s1, s4, v20
	v_add_co_ci_u32_e64 v25, null, s5, v21, s1
	v_add_co_u32 v26, s1, s10, v20
	v_add_co_ci_u32_e64 v27, null, s11, v21, s1
	s_waitcnt vmcnt(5)
	v_sub_co_u32 v1, s0, v18, s12
	v_subrev_co_ci_u32_e64 v5, null, 0, v19, s0
	v_mad_u64_u32 v[18:19], null, v1, 5, s[8:9]
	v_mov_b32_e32 v1, v19
	v_add_co_u32 v28, s2, v18, 4
	v_mad_u64_u32 v[19:20], null, v5, 5, v[1:2]
	v_add_co_u32 v20, s3, v18, 1
	v_add_co_ci_u32_e64 v21, null, 0, v19, s3
	v_add_co_ci_u32_e64 v29, null, 0, v19, s2
	s_waitcnt vmcnt(3)
	global_store_dwordx4 v[26:27], v[10:13], off
	v_add_co_u32 v10, s0, v18, 2
	v_add_co_u32 v12, s1, v18, 3
	v_add_co_ci_u32_e64 v11, null, 0, v19, s0
	v_add_co_ci_u32_e64 v13, null, 0, v19, s1
	s_waitcnt vmcnt(1)
	global_store_dwordx4 v[26:27], v[14:17], off offset:16
	s_waitcnt vmcnt(0)
	global_store_dwordx2 v[26:27], v[22:23], off offset:32
	global_store_dwordx4 v[24:25], v[18:21], off
	global_store_dwordx4 v[24:25], v[10:13], off offset:16
	global_store_dwordx2 v[24:25], v[28:29], off offset:32
	s_andn2_b32 exec_lo, exec_lo, s14
	s_cbranch_execnz .LBB238_5
.LBB238_6:
	s_endpgm
	.section	.rodata,"a",@progbits
	.p2align	6, 0x0
	.amdhsa_kernel _ZN9rocsparseL32bsr2csr_block_per_row_2_7_kernelILj256ELj5EdilEEv20rocsparse_direction_T3_S2_21rocsparse_index_base_PKT1_PKT2_PKS2_S2_S3_PS4_PS7_PS2_
		.amdhsa_group_segment_fixed_size 0
		.amdhsa_private_segment_fixed_size 0
		.amdhsa_kernarg_size 96
		.amdhsa_user_sgpr_count 6
		.amdhsa_user_sgpr_private_segment_buffer 1
		.amdhsa_user_sgpr_dispatch_ptr 0
		.amdhsa_user_sgpr_queue_ptr 0
		.amdhsa_user_sgpr_kernarg_segment_ptr 1
		.amdhsa_user_sgpr_dispatch_id 0
		.amdhsa_user_sgpr_flat_scratch_init 0
		.amdhsa_user_sgpr_private_segment_size 0
		.amdhsa_wavefront_size32 1
		.amdhsa_uses_dynamic_stack 0
		.amdhsa_system_sgpr_private_segment_wavefront_offset 0
		.amdhsa_system_sgpr_workgroup_id_x 1
		.amdhsa_system_sgpr_workgroup_id_y 0
		.amdhsa_system_sgpr_workgroup_id_z 0
		.amdhsa_system_sgpr_workgroup_info 0
		.amdhsa_system_vgpr_workitem_id 0
		.amdhsa_next_free_vgpr 32
		.amdhsa_next_free_sgpr 15
		.amdhsa_reserve_vcc 1
		.amdhsa_reserve_flat_scratch 0
		.amdhsa_float_round_mode_32 0
		.amdhsa_float_round_mode_16_64 0
		.amdhsa_float_denorm_mode_32 3
		.amdhsa_float_denorm_mode_16_64 3
		.amdhsa_dx10_clamp 1
		.amdhsa_ieee_mode 1
		.amdhsa_fp16_overflow 0
		.amdhsa_workgroup_processor_mode 1
		.amdhsa_memory_ordered 1
		.amdhsa_forward_progress 1
		.amdhsa_shared_vgpr_count 0
		.amdhsa_exception_fp_ieee_invalid_op 0
		.amdhsa_exception_fp_denorm_src 0
		.amdhsa_exception_fp_ieee_div_zero 0
		.amdhsa_exception_fp_ieee_overflow 0
		.amdhsa_exception_fp_ieee_underflow 0
		.amdhsa_exception_fp_ieee_inexact 0
		.amdhsa_exception_int_div_zero 0
	.end_amdhsa_kernel
	.section	.text._ZN9rocsparseL32bsr2csr_block_per_row_2_7_kernelILj256ELj5EdilEEv20rocsparse_direction_T3_S2_21rocsparse_index_base_PKT1_PKT2_PKS2_S2_S3_PS4_PS7_PS2_,"axG",@progbits,_ZN9rocsparseL32bsr2csr_block_per_row_2_7_kernelILj256ELj5EdilEEv20rocsparse_direction_T3_S2_21rocsparse_index_base_PKT1_PKT2_PKS2_S2_S3_PS4_PS7_PS2_,comdat
.Lfunc_end238:
	.size	_ZN9rocsparseL32bsr2csr_block_per_row_2_7_kernelILj256ELj5EdilEEv20rocsparse_direction_T3_S2_21rocsparse_index_base_PKT1_PKT2_PKS2_S2_S3_PS4_PS7_PS2_, .Lfunc_end238-_ZN9rocsparseL32bsr2csr_block_per_row_2_7_kernelILj256ELj5EdilEEv20rocsparse_direction_T3_S2_21rocsparse_index_base_PKT1_PKT2_PKS2_S2_S3_PS4_PS7_PS2_
                                        ; -- End function
	.set _ZN9rocsparseL32bsr2csr_block_per_row_2_7_kernelILj256ELj5EdilEEv20rocsparse_direction_T3_S2_21rocsparse_index_base_PKT1_PKT2_PKS2_S2_S3_PS4_PS7_PS2_.num_vgpr, 32
	.set _ZN9rocsparseL32bsr2csr_block_per_row_2_7_kernelILj256ELj5EdilEEv20rocsparse_direction_T3_S2_21rocsparse_index_base_PKT1_PKT2_PKS2_S2_S3_PS4_PS7_PS2_.num_agpr, 0
	.set _ZN9rocsparseL32bsr2csr_block_per_row_2_7_kernelILj256ELj5EdilEEv20rocsparse_direction_T3_S2_21rocsparse_index_base_PKT1_PKT2_PKS2_S2_S3_PS4_PS7_PS2_.numbered_sgpr, 15
	.set _ZN9rocsparseL32bsr2csr_block_per_row_2_7_kernelILj256ELj5EdilEEv20rocsparse_direction_T3_S2_21rocsparse_index_base_PKT1_PKT2_PKS2_S2_S3_PS4_PS7_PS2_.num_named_barrier, 0
	.set _ZN9rocsparseL32bsr2csr_block_per_row_2_7_kernelILj256ELj5EdilEEv20rocsparse_direction_T3_S2_21rocsparse_index_base_PKT1_PKT2_PKS2_S2_S3_PS4_PS7_PS2_.private_seg_size, 0
	.set _ZN9rocsparseL32bsr2csr_block_per_row_2_7_kernelILj256ELj5EdilEEv20rocsparse_direction_T3_S2_21rocsparse_index_base_PKT1_PKT2_PKS2_S2_S3_PS4_PS7_PS2_.uses_vcc, 1
	.set _ZN9rocsparseL32bsr2csr_block_per_row_2_7_kernelILj256ELj5EdilEEv20rocsparse_direction_T3_S2_21rocsparse_index_base_PKT1_PKT2_PKS2_S2_S3_PS4_PS7_PS2_.uses_flat_scratch, 0
	.set _ZN9rocsparseL32bsr2csr_block_per_row_2_7_kernelILj256ELj5EdilEEv20rocsparse_direction_T3_S2_21rocsparse_index_base_PKT1_PKT2_PKS2_S2_S3_PS4_PS7_PS2_.has_dyn_sized_stack, 0
	.set _ZN9rocsparseL32bsr2csr_block_per_row_2_7_kernelILj256ELj5EdilEEv20rocsparse_direction_T3_S2_21rocsparse_index_base_PKT1_PKT2_PKS2_S2_S3_PS4_PS7_PS2_.has_recursion, 0
	.set _ZN9rocsparseL32bsr2csr_block_per_row_2_7_kernelILj256ELj5EdilEEv20rocsparse_direction_T3_S2_21rocsparse_index_base_PKT1_PKT2_PKS2_S2_S3_PS4_PS7_PS2_.has_indirect_call, 0
	.section	.AMDGPU.csdata,"",@progbits
; Kernel info:
; codeLenInByte = 896
; TotalNumSgprs: 17
; NumVgprs: 32
; ScratchSize: 0
; MemoryBound: 0
; FloatMode: 240
; IeeeMode: 1
; LDSByteSize: 0 bytes/workgroup (compile time only)
; SGPRBlocks: 0
; VGPRBlocks: 3
; NumSGPRsForWavesPerEU: 17
; NumVGPRsForWavesPerEU: 32
; Occupancy: 16
; WaveLimiterHint : 0
; COMPUTE_PGM_RSRC2:SCRATCH_EN: 0
; COMPUTE_PGM_RSRC2:USER_SGPR: 6
; COMPUTE_PGM_RSRC2:TRAP_HANDLER: 0
; COMPUTE_PGM_RSRC2:TGID_X_EN: 1
; COMPUTE_PGM_RSRC2:TGID_Y_EN: 0
; COMPUTE_PGM_RSRC2:TGID_Z_EN: 0
; COMPUTE_PGM_RSRC2:TIDIG_COMP_CNT: 0
	.section	.text._ZN9rocsparseL32bsr2csr_block_per_row_2_7_kernelILj256ELj6EdilEEv20rocsparse_direction_T3_S2_21rocsparse_index_base_PKT1_PKT2_PKS2_S2_S3_PS4_PS7_PS2_,"axG",@progbits,_ZN9rocsparseL32bsr2csr_block_per_row_2_7_kernelILj256ELj6EdilEEv20rocsparse_direction_T3_S2_21rocsparse_index_base_PKT1_PKT2_PKS2_S2_S3_PS4_PS7_PS2_,comdat
	.globl	_ZN9rocsparseL32bsr2csr_block_per_row_2_7_kernelILj256ELj6EdilEEv20rocsparse_direction_T3_S2_21rocsparse_index_base_PKT1_PKT2_PKS2_S2_S3_PS4_PS7_PS2_ ; -- Begin function _ZN9rocsparseL32bsr2csr_block_per_row_2_7_kernelILj256ELj6EdilEEv20rocsparse_direction_T3_S2_21rocsparse_index_base_PKT1_PKT2_PKS2_S2_S3_PS4_PS7_PS2_
	.p2align	8
	.type	_ZN9rocsparseL32bsr2csr_block_per_row_2_7_kernelILj256ELj6EdilEEv20rocsparse_direction_T3_S2_21rocsparse_index_base_PKT1_PKT2_PKS2_S2_S3_PS4_PS7_PS2_,@function
_ZN9rocsparseL32bsr2csr_block_per_row_2_7_kernelILj256ELj6EdilEEv20rocsparse_direction_T3_S2_21rocsparse_index_base_PKT1_PKT2_PKS2_S2_S3_PS4_PS7_PS2_: ; @_ZN9rocsparseL32bsr2csr_block_per_row_2_7_kernelILj256ELj6EdilEEv20rocsparse_direction_T3_S2_21rocsparse_index_base_PKT1_PKT2_PKS2_S2_S3_PS4_PS7_PS2_
; %bb.0:
	s_clause 0x2
	s_load_dwordx2 s[2:3], s[4:5], 0x28
	s_load_dword s8, s[4:5], 0x40
	s_load_dwordx2 s[0:1], s[4:5], 0x50
	s_mov_b32 s7, 0
	v_or_b32_e32 v1, s6, v0
	s_lshl_b64 s[10:11], s[6:7], 2
	s_mov_b32 s7, exec_lo
	s_waitcnt lgkmcnt(0)
	s_add_u32 s2, s2, s10
	s_addc_u32 s3, s3, s11
	v_cmpx_eq_u32_e32 0, v1
	s_cbranch_execz .LBB239_2
; %bb.1:
	v_mov_b32_e32 v1, 0
	v_mov_b32_e32 v2, s8
	global_store_dword v1, v2, s[0:1]
.LBB239_2:
	s_or_b32 exec_lo, exec_lo, s7
	v_and_b32_e32 v1, 7, v0
	s_mov_b32 s7, exec_lo
	v_cmpx_gt_u32_e32 6, v1
	s_cbranch_execz .LBB239_6
; %bb.3:
	s_load_dwordx2 s[2:3], s[2:3], 0x0
	s_load_dword s14, s[4:5], 0x18
	v_lshrrev_b32_e32 v2, 3, v0
	s_mul_hi_u32 s9, s6, 24
	s_mul_i32 s6, s6, 24
	v_lshlrev_b32_e32 v5, 2, v1
	s_waitcnt lgkmcnt(0)
	s_sub_i32 s7, s2, s14
	s_sub_i32 s15, s3, s14
	v_add_nc_u32_e32 v0, s7, v2
	s_sub_i32 s3, s15, s7
	s_mul_i32 s10, s7, 36
	s_mul_i32 s3, s3, 6
	v_mul_lo_u32 v4, s3, v1
	s_add_i32 s3, s3, s8
	v_cmp_gt_i32_e32 vcc_lo, s15, v0
	s_add_u32 s0, s0, s6
	s_addc_u32 s1, s1, s9
	v_add3_u32 v3, s3, s10, v4
	global_store_dword v5, v3, s[0:1] offset:4
	s_and_b32 exec_lo, exec_lo, vcc_lo
	s_cbranch_execz .LBB239_6
; %bb.4:
	s_clause 0x3
	s_load_dwordx2 s[0:1], s[4:5], 0x20
	s_load_dwordx2 s[6:7], s[4:5], 0x30
	;; [unrolled: 1-line block ×3, first 2 shown]
	s_load_dword s3, s[4:5], 0x0
	v_lshlrev_b32_e32 v3, 3, v1
	s_load_dwordx2 s[12:13], s[4:5], 0x58
	v_mul_u32_u24_e32 v6, 6, v2
	v_mov_b32_e32 v5, 0
	s_mov_b32 s9, 0
	s_mov_b32 s5, s9
	s_waitcnt lgkmcnt(0)
	v_add_co_u32 v2, s0, s0, v3
	v_add_co_ci_u32_e64 v3, null, s1, 0, s0
	s_mul_i32 s0, s2, 36
	s_cmp_eq_u32 s3, 0
	v_add3_u32 v8, v4, s0, v6
	v_mad_u64_u32 v[6:7], null, v1, 40, v[2:3]
	v_mul_lo_u32 v4, v0, 36
	s_mul_i32 s0, s14, 36
	s_cselect_b32 vcc_lo, -1, 0
	v_subrev_nc_u32_e32 v8, s0, v8
.LBB239_5:                              ; =>This Inner Loop Header: Depth=1
	v_lshlrev_b64 v[9:10], 3, v[4:5]
	v_ashrrev_i32_e32 v1, 31, v0
	v_add_nc_u32_e32 v4, 0x480, v4
	v_lshlrev_b64 v[11:12], 3, v[0:1]
	v_add_co_u32 v1, s0, v2, v9
	v_add_co_ci_u32_e64 v13, null, v3, v10, s0
	v_add_co_u32 v14, s0, v6, v9
	v_add_co_ci_u32_e64 v15, null, v7, v10, s0
	;; [unrolled: 2-line block ×3, first 2 shown]
	v_cndmask_b32_e32 v12, v13, v15, vcc_lo
	v_cndmask_b32_e32 v11, v1, v14, vcc_lo
	global_load_dwordx2 v[22:23], v[9:10], off
	global_load_dwordx2 v[10:11], v[11:12], off
	v_add_co_u32 v16, s0, v14, 8
	v_add_co_ci_u32_e64 v17, null, 0, v15, s0
	v_add_co_u32 v18, s0, v1, 48
	v_add_co_ci_u32_e64 v19, null, 0, v13, s0
	;; [unrolled: 2-line block ×10, first 2 shown]
	v_cndmask_b32_e32 v13, v19, v17, vcc_lo
	v_cndmask_b32_e32 v12, v18, v16, vcc_lo
	;; [unrolled: 1-line block ×10, first 2 shown]
	global_load_dwordx2 v[12:13], v[12:13], off
	global_load_dwordx2 v[14:15], v[14:15], off
	global_load_dwordx2 v[16:17], v[16:17], off
	global_load_dwordx2 v[18:19], v[18:19], off
	global_load_dwordx2 v[20:21], v[20:21], off
	v_add_nc_u32_e32 v0, 32, v0
	v_ashrrev_i32_e32 v9, 31, v8
	v_cmp_le_i32_e64 s0, s15, v0
	v_lshlrev_b64 v[24:25], 3, v[8:9]
	v_add_nc_u32_e32 v8, 0xc0, v8
	s_or_b32 s5, s0, s5
	v_add_co_u32 v30, s1, s12, v24
	v_add_co_ci_u32_e64 v31, null, s13, v25, s1
	v_add_co_u32 v32, s1, s10, v24
	v_add_co_ci_u32_e64 v33, null, s11, v25, s1
	s_waitcnt vmcnt(6)
	v_sub_co_u32 v1, s0, v22, s14
	v_subrev_co_ci_u32_e64 v9, null, 0, v23, s0
	v_mad_u64_u32 v[22:23], null, v1, 6, s[8:9]
	v_mov_b32_e32 v1, v23
	v_add_co_u32 v26, s2, v22, 4
	v_add_co_u32 v28, s3, v22, 5
	v_mad_u64_u32 v[23:24], null, v9, 6, v[1:2]
	v_add_co_u32 v24, s4, v22, 1
	v_add_co_u32 v9, s0, v22, 2
	v_add_co_ci_u32_e64 v25, null, 0, v23, s4
	v_add_co_ci_u32_e64 v27, null, 0, v23, s2
	;; [unrolled: 1-line block ×3, first 2 shown]
	s_waitcnt vmcnt(4)
	global_store_dwordx4 v[32:33], v[10:13], off
	v_add_co_u32 v11, s1, v22, 3
	v_add_co_ci_u32_e64 v10, null, 0, v23, s0
	v_add_co_ci_u32_e64 v12, null, 0, v23, s1
	s_waitcnt vmcnt(2)
	global_store_dwordx4 v[32:33], v[14:17], off offset:16
	s_waitcnt vmcnt(0)
	global_store_dwordx4 v[32:33], v[18:21], off offset:32
	global_store_dwordx4 v[30:31], v[22:25], off
	global_store_dwordx4 v[30:31], v[9:12], off offset:16
	global_store_dwordx4 v[30:31], v[26:29], off offset:32
	s_andn2_b32 exec_lo, exec_lo, s5
	s_cbranch_execnz .LBB239_5
.LBB239_6:
	s_endpgm
	.section	.rodata,"a",@progbits
	.p2align	6, 0x0
	.amdhsa_kernel _ZN9rocsparseL32bsr2csr_block_per_row_2_7_kernelILj256ELj6EdilEEv20rocsparse_direction_T3_S2_21rocsparse_index_base_PKT1_PKT2_PKS2_S2_S3_PS4_PS7_PS2_
		.amdhsa_group_segment_fixed_size 0
		.amdhsa_private_segment_fixed_size 0
		.amdhsa_kernarg_size 96
		.amdhsa_user_sgpr_count 6
		.amdhsa_user_sgpr_private_segment_buffer 1
		.amdhsa_user_sgpr_dispatch_ptr 0
		.amdhsa_user_sgpr_queue_ptr 0
		.amdhsa_user_sgpr_kernarg_segment_ptr 1
		.amdhsa_user_sgpr_dispatch_id 0
		.amdhsa_user_sgpr_flat_scratch_init 0
		.amdhsa_user_sgpr_private_segment_size 0
		.amdhsa_wavefront_size32 1
		.amdhsa_uses_dynamic_stack 0
		.amdhsa_system_sgpr_private_segment_wavefront_offset 0
		.amdhsa_system_sgpr_workgroup_id_x 1
		.amdhsa_system_sgpr_workgroup_id_y 0
		.amdhsa_system_sgpr_workgroup_id_z 0
		.amdhsa_system_sgpr_workgroup_info 0
		.amdhsa_system_vgpr_workitem_id 0
		.amdhsa_next_free_vgpr 37
		.amdhsa_next_free_sgpr 16
		.amdhsa_reserve_vcc 1
		.amdhsa_reserve_flat_scratch 0
		.amdhsa_float_round_mode_32 0
		.amdhsa_float_round_mode_16_64 0
		.amdhsa_float_denorm_mode_32 3
		.amdhsa_float_denorm_mode_16_64 3
		.amdhsa_dx10_clamp 1
		.amdhsa_ieee_mode 1
		.amdhsa_fp16_overflow 0
		.amdhsa_workgroup_processor_mode 1
		.amdhsa_memory_ordered 1
		.amdhsa_forward_progress 1
		.amdhsa_shared_vgpr_count 0
		.amdhsa_exception_fp_ieee_invalid_op 0
		.amdhsa_exception_fp_denorm_src 0
		.amdhsa_exception_fp_ieee_div_zero 0
		.amdhsa_exception_fp_ieee_overflow 0
		.amdhsa_exception_fp_ieee_underflow 0
		.amdhsa_exception_fp_ieee_inexact 0
		.amdhsa_exception_int_div_zero 0
	.end_amdhsa_kernel
	.section	.text._ZN9rocsparseL32bsr2csr_block_per_row_2_7_kernelILj256ELj6EdilEEv20rocsparse_direction_T3_S2_21rocsparse_index_base_PKT1_PKT2_PKS2_S2_S3_PS4_PS7_PS2_,"axG",@progbits,_ZN9rocsparseL32bsr2csr_block_per_row_2_7_kernelILj256ELj6EdilEEv20rocsparse_direction_T3_S2_21rocsparse_index_base_PKT1_PKT2_PKS2_S2_S3_PS4_PS7_PS2_,comdat
.Lfunc_end239:
	.size	_ZN9rocsparseL32bsr2csr_block_per_row_2_7_kernelILj256ELj6EdilEEv20rocsparse_direction_T3_S2_21rocsparse_index_base_PKT1_PKT2_PKS2_S2_S3_PS4_PS7_PS2_, .Lfunc_end239-_ZN9rocsparseL32bsr2csr_block_per_row_2_7_kernelILj256ELj6EdilEEv20rocsparse_direction_T3_S2_21rocsparse_index_base_PKT1_PKT2_PKS2_S2_S3_PS4_PS7_PS2_
                                        ; -- End function
	.set _ZN9rocsparseL32bsr2csr_block_per_row_2_7_kernelILj256ELj6EdilEEv20rocsparse_direction_T3_S2_21rocsparse_index_base_PKT1_PKT2_PKS2_S2_S3_PS4_PS7_PS2_.num_vgpr, 37
	.set _ZN9rocsparseL32bsr2csr_block_per_row_2_7_kernelILj256ELj6EdilEEv20rocsparse_direction_T3_S2_21rocsparse_index_base_PKT1_PKT2_PKS2_S2_S3_PS4_PS7_PS2_.num_agpr, 0
	.set _ZN9rocsparseL32bsr2csr_block_per_row_2_7_kernelILj256ELj6EdilEEv20rocsparse_direction_T3_S2_21rocsparse_index_base_PKT1_PKT2_PKS2_S2_S3_PS4_PS7_PS2_.numbered_sgpr, 16
	.set _ZN9rocsparseL32bsr2csr_block_per_row_2_7_kernelILj256ELj6EdilEEv20rocsparse_direction_T3_S2_21rocsparse_index_base_PKT1_PKT2_PKS2_S2_S3_PS4_PS7_PS2_.num_named_barrier, 0
	.set _ZN9rocsparseL32bsr2csr_block_per_row_2_7_kernelILj256ELj6EdilEEv20rocsparse_direction_T3_S2_21rocsparse_index_base_PKT1_PKT2_PKS2_S2_S3_PS4_PS7_PS2_.private_seg_size, 0
	.set _ZN9rocsparseL32bsr2csr_block_per_row_2_7_kernelILj256ELj6EdilEEv20rocsparse_direction_T3_S2_21rocsparse_index_base_PKT1_PKT2_PKS2_S2_S3_PS4_PS7_PS2_.uses_vcc, 1
	.set _ZN9rocsparseL32bsr2csr_block_per_row_2_7_kernelILj256ELj6EdilEEv20rocsparse_direction_T3_S2_21rocsparse_index_base_PKT1_PKT2_PKS2_S2_S3_PS4_PS7_PS2_.uses_flat_scratch, 0
	.set _ZN9rocsparseL32bsr2csr_block_per_row_2_7_kernelILj256ELj6EdilEEv20rocsparse_direction_T3_S2_21rocsparse_index_base_PKT1_PKT2_PKS2_S2_S3_PS4_PS7_PS2_.has_dyn_sized_stack, 0
	.set _ZN9rocsparseL32bsr2csr_block_per_row_2_7_kernelILj256ELj6EdilEEv20rocsparse_direction_T3_S2_21rocsparse_index_base_PKT1_PKT2_PKS2_S2_S3_PS4_PS7_PS2_.has_recursion, 0
	.set _ZN9rocsparseL32bsr2csr_block_per_row_2_7_kernelILj256ELj6EdilEEv20rocsparse_direction_T3_S2_21rocsparse_index_base_PKT1_PKT2_PKS2_S2_S3_PS4_PS7_PS2_.has_indirect_call, 0
	.section	.AMDGPU.csdata,"",@progbits
; Kernel info:
; codeLenInByte = 952
; TotalNumSgprs: 18
; NumVgprs: 37
; ScratchSize: 0
; MemoryBound: 0
; FloatMode: 240
; IeeeMode: 1
; LDSByteSize: 0 bytes/workgroup (compile time only)
; SGPRBlocks: 0
; VGPRBlocks: 4
; NumSGPRsForWavesPerEU: 18
; NumVGPRsForWavesPerEU: 37
; Occupancy: 16
; WaveLimiterHint : 0
; COMPUTE_PGM_RSRC2:SCRATCH_EN: 0
; COMPUTE_PGM_RSRC2:USER_SGPR: 6
; COMPUTE_PGM_RSRC2:TRAP_HANDLER: 0
; COMPUTE_PGM_RSRC2:TGID_X_EN: 1
; COMPUTE_PGM_RSRC2:TGID_Y_EN: 0
; COMPUTE_PGM_RSRC2:TGID_Z_EN: 0
; COMPUTE_PGM_RSRC2:TIDIG_COMP_CNT: 0
	.section	.text._ZN9rocsparseL32bsr2csr_block_per_row_2_7_kernelILj256ELj7EdilEEv20rocsparse_direction_T3_S2_21rocsparse_index_base_PKT1_PKT2_PKS2_S2_S3_PS4_PS7_PS2_,"axG",@progbits,_ZN9rocsparseL32bsr2csr_block_per_row_2_7_kernelILj256ELj7EdilEEv20rocsparse_direction_T3_S2_21rocsparse_index_base_PKT1_PKT2_PKS2_S2_S3_PS4_PS7_PS2_,comdat
	.globl	_ZN9rocsparseL32bsr2csr_block_per_row_2_7_kernelILj256ELj7EdilEEv20rocsparse_direction_T3_S2_21rocsparse_index_base_PKT1_PKT2_PKS2_S2_S3_PS4_PS7_PS2_ ; -- Begin function _ZN9rocsparseL32bsr2csr_block_per_row_2_7_kernelILj256ELj7EdilEEv20rocsparse_direction_T3_S2_21rocsparse_index_base_PKT1_PKT2_PKS2_S2_S3_PS4_PS7_PS2_
	.p2align	8
	.type	_ZN9rocsparseL32bsr2csr_block_per_row_2_7_kernelILj256ELj7EdilEEv20rocsparse_direction_T3_S2_21rocsparse_index_base_PKT1_PKT2_PKS2_S2_S3_PS4_PS7_PS2_,@function
_ZN9rocsparseL32bsr2csr_block_per_row_2_7_kernelILj256ELj7EdilEEv20rocsparse_direction_T3_S2_21rocsparse_index_base_PKT1_PKT2_PKS2_S2_S3_PS4_PS7_PS2_: ; @_ZN9rocsparseL32bsr2csr_block_per_row_2_7_kernelILj256ELj7EdilEEv20rocsparse_direction_T3_S2_21rocsparse_index_base_PKT1_PKT2_PKS2_S2_S3_PS4_PS7_PS2_
; %bb.0:
	s_clause 0x2
	s_load_dwordx2 s[2:3], s[4:5], 0x28
	s_load_dword s8, s[4:5], 0x40
	s_load_dwordx2 s[0:1], s[4:5], 0x50
	s_mov_b32 s7, 0
	v_or_b32_e32 v1, s6, v0
	s_lshl_b64 s[10:11], s[6:7], 2
	s_mov_b32 s7, exec_lo
	s_waitcnt lgkmcnt(0)
	s_add_u32 s2, s2, s10
	s_addc_u32 s3, s3, s11
	v_cmpx_eq_u32_e32 0, v1
	s_cbranch_execz .LBB240_2
; %bb.1:
	v_mov_b32_e32 v1, 0
	v_mov_b32_e32 v2, s8
	global_store_dword v1, v2, s[0:1]
.LBB240_2:
	s_or_b32 exec_lo, exec_lo, s7
	v_and_b32_e32 v1, 7, v0
	s_mov_b32 s7, exec_lo
	v_cmpx_ne_u32_e32 7, v1
	s_cbranch_execz .LBB240_6
; %bb.3:
	s_load_dwordx2 s[2:3], s[2:3], 0x0
	s_load_dword s14, s[4:5], 0x18
	v_lshrrev_b32_e32 v2, 3, v0
	s_mul_hi_u32 s9, s6, 28
	s_mul_i32 s6, s6, 28
	v_lshlrev_b32_e32 v5, 2, v1
	s_waitcnt lgkmcnt(0)
	s_sub_i32 s7, s2, s14
	s_sub_i32 s15, s3, s14
	v_add_nc_u32_e32 v0, s7, v2
	s_sub_i32 s3, s15, s7
	s_mul_i32 s10, s7, 49
	s_mul_i32 s3, s3, 7
	v_mul_lo_u32 v4, s3, v1
	s_add_i32 s3, s3, s8
	v_cmp_gt_i32_e32 vcc_lo, s15, v0
	s_add_u32 s0, s0, s6
	s_addc_u32 s1, s1, s9
	v_add3_u32 v3, s3, s10, v4
	global_store_dword v5, v3, s[0:1] offset:4
	s_and_b32 exec_lo, exec_lo, vcc_lo
	s_cbranch_execz .LBB240_6
; %bb.4:
	s_clause 0x3
	s_load_dwordx2 s[0:1], s[4:5], 0x20
	s_load_dwordx2 s[6:7], s[4:5], 0x30
	;; [unrolled: 1-line block ×3, first 2 shown]
	s_load_dword s3, s[4:5], 0x0
	v_lshlrev_b32_e32 v3, 3, v1
	s_load_dwordx2 s[12:13], s[4:5], 0x58
	v_mul_u32_u24_e32 v6, 7, v2
	v_mov_b32_e32 v5, 0
	s_mov_b32 s9, 0
	s_mov_b32 s16, s9
	s_waitcnt lgkmcnt(0)
	v_add_co_u32 v2, s0, s0, v3
	v_add_co_ci_u32_e64 v3, null, s1, 0, s0
	s_mul_i32 s0, s2, 49
	s_cmp_eq_u32 s3, 0
	v_add3_u32 v8, v4, s0, v6
	v_mad_u64_u32 v[6:7], null, v1, 48, v[2:3]
	v_mul_lo_u32 v4, v0, 49
	s_mul_i32 s0, s14, 49
	s_cselect_b32 vcc_lo, -1, 0
	v_subrev_nc_u32_e32 v8, s0, v8
.LBB240_5:                              ; =>This Inner Loop Header: Depth=1
	v_lshlrev_b64 v[9:10], 3, v[4:5]
	v_ashrrev_i32_e32 v1, 31, v0
	v_add_nc_u32_e32 v4, 0x620, v4
	v_lshlrev_b64 v[11:12], 3, v[0:1]
	v_add_co_u32 v1, s0, v2, v9
	v_add_co_ci_u32_e64 v13, null, v3, v10, s0
	v_add_co_u32 v14, s0, v6, v9
	v_add_co_ci_u32_e64 v15, null, v7, v10, s0
	;; [unrolled: 2-line block ×3, first 2 shown]
	v_cndmask_b32_e32 v12, v13, v15, vcc_lo
	v_cndmask_b32_e32 v11, v1, v14, vcc_lo
	v_add_co_u32 v16, s0, v14, 8
	v_add_co_ci_u32_e64 v17, null, 0, v15, s0
	v_add_co_u32 v18, s0, v1, 56
	v_add_co_ci_u32_e64 v19, null, 0, v13, s0
	v_add_co_u32 v20, s0, v14, 16
	global_load_dwordx2 v[22:23], v[9:10], off
	global_load_dwordx2 v[10:11], v[11:12], off
	v_add_co_ci_u32_e64 v21, null, 0, v15, s0
	v_add_co_u32 v24, s0, 0x70, v1
	v_add_co_ci_u32_e64 v25, null, 0, v13, s0
	v_add_co_u32 v26, s0, v14, 24
	;; [unrolled: 2-line block ×9, first 2 shown]
	v_add_co_ci_u32_e64 v40, null, 0, v13, s0
	v_cndmask_b32_e32 v13, v19, v17, vcc_lo
	v_cndmask_b32_e32 v12, v18, v16, vcc_lo
	;; [unrolled: 1-line block ×12, first 2 shown]
	global_load_dwordx2 v[12:13], v[12:13], off
	global_load_dwordx2 v[14:15], v[14:15], off
	;; [unrolled: 1-line block ×6, first 2 shown]
	v_add_nc_u32_e32 v0, 32, v0
	v_ashrrev_i32_e32 v9, 31, v8
	v_cmp_le_i32_e64 s0, s15, v0
	v_lshlrev_b64 v[24:25], 3, v[8:9]
	v_add_nc_u32_e32 v8, 0xe0, v8
	s_or_b32 s16, s0, s16
	v_add_co_u32 v28, s1, s12, v24
	v_add_co_ci_u32_e64 v29, null, s13, v25, s1
	v_add_co_u32 v30, s1, s10, v24
	v_add_co_ci_u32_e64 v31, null, s11, v25, s1
	s_waitcnt vmcnt(5)
	global_store_dwordx4 v[30:31], v[10:13], off
	s_waitcnt vmcnt(3)
	global_store_dwordx4 v[30:31], v[14:17], off offset:16
	s_waitcnt vmcnt(1)
	global_store_dwordx4 v[30:31], v[18:21], off offset:32
	v_sub_co_u32 v1, s0, v22, s14
	v_subrev_co_ci_u32_e64 v9, null, 0, v23, s0
	v_mad_u64_u32 v[22:23], null, v1, 7, s[8:9]
	v_mov_b32_e32 v1, v23
	v_add_co_u32 v11, s1, v22, 3
	v_add_co_u32 v13, s2, v22, 4
	v_mad_u64_u32 v[23:24], null, v9, 7, v[1:2]
	v_add_co_u32 v24, s5, v22, 1
	v_add_co_u32 v9, s0, v22, 2
	;; [unrolled: 1-line block ×3, first 2 shown]
	v_add_co_ci_u32_e64 v25, null, 0, v23, s5
	v_add_co_u32 v17, s4, v22, 6
	v_add_co_ci_u32_e64 v10, null, 0, v23, s0
	v_add_co_ci_u32_e64 v12, null, 0, v23, s1
	;; [unrolled: 1-line block ×5, first 2 shown]
	s_waitcnt vmcnt(0)
	global_store_dwordx2 v[30:31], v[26:27], off offset:48
	global_store_dwordx4 v[28:29], v[22:25], off
	global_store_dwordx4 v[28:29], v[9:12], off offset:16
	global_store_dwordx4 v[28:29], v[13:16], off offset:32
	global_store_dwordx2 v[28:29], v[17:18], off offset:48
	s_andn2_b32 exec_lo, exec_lo, s16
	s_cbranch_execnz .LBB240_5
.LBB240_6:
	s_endpgm
	.section	.rodata,"a",@progbits
	.p2align	6, 0x0
	.amdhsa_kernel _ZN9rocsparseL32bsr2csr_block_per_row_2_7_kernelILj256ELj7EdilEEv20rocsparse_direction_T3_S2_21rocsparse_index_base_PKT1_PKT2_PKS2_S2_S3_PS4_PS7_PS2_
		.amdhsa_group_segment_fixed_size 0
		.amdhsa_private_segment_fixed_size 0
		.amdhsa_kernarg_size 96
		.amdhsa_user_sgpr_count 6
		.amdhsa_user_sgpr_private_segment_buffer 1
		.amdhsa_user_sgpr_dispatch_ptr 0
		.amdhsa_user_sgpr_queue_ptr 0
		.amdhsa_user_sgpr_kernarg_segment_ptr 1
		.amdhsa_user_sgpr_dispatch_id 0
		.amdhsa_user_sgpr_flat_scratch_init 0
		.amdhsa_user_sgpr_private_segment_size 0
		.amdhsa_wavefront_size32 1
		.amdhsa_uses_dynamic_stack 0
		.amdhsa_system_sgpr_private_segment_wavefront_offset 0
		.amdhsa_system_sgpr_workgroup_id_x 1
		.amdhsa_system_sgpr_workgroup_id_y 0
		.amdhsa_system_sgpr_workgroup_id_z 0
		.amdhsa_system_sgpr_workgroup_info 0
		.amdhsa_system_vgpr_workitem_id 0
		.amdhsa_next_free_vgpr 41
		.amdhsa_next_free_sgpr 17
		.amdhsa_reserve_vcc 1
		.amdhsa_reserve_flat_scratch 0
		.amdhsa_float_round_mode_32 0
		.amdhsa_float_round_mode_16_64 0
		.amdhsa_float_denorm_mode_32 3
		.amdhsa_float_denorm_mode_16_64 3
		.amdhsa_dx10_clamp 1
		.amdhsa_ieee_mode 1
		.amdhsa_fp16_overflow 0
		.amdhsa_workgroup_processor_mode 1
		.amdhsa_memory_ordered 1
		.amdhsa_forward_progress 1
		.amdhsa_shared_vgpr_count 0
		.amdhsa_exception_fp_ieee_invalid_op 0
		.amdhsa_exception_fp_denorm_src 0
		.amdhsa_exception_fp_ieee_div_zero 0
		.amdhsa_exception_fp_ieee_overflow 0
		.amdhsa_exception_fp_ieee_underflow 0
		.amdhsa_exception_fp_ieee_inexact 0
		.amdhsa_exception_int_div_zero 0
	.end_amdhsa_kernel
	.section	.text._ZN9rocsparseL32bsr2csr_block_per_row_2_7_kernelILj256ELj7EdilEEv20rocsparse_direction_T3_S2_21rocsparse_index_base_PKT1_PKT2_PKS2_S2_S3_PS4_PS7_PS2_,"axG",@progbits,_ZN9rocsparseL32bsr2csr_block_per_row_2_7_kernelILj256ELj7EdilEEv20rocsparse_direction_T3_S2_21rocsparse_index_base_PKT1_PKT2_PKS2_S2_S3_PS4_PS7_PS2_,comdat
.Lfunc_end240:
	.size	_ZN9rocsparseL32bsr2csr_block_per_row_2_7_kernelILj256ELj7EdilEEv20rocsparse_direction_T3_S2_21rocsparse_index_base_PKT1_PKT2_PKS2_S2_S3_PS4_PS7_PS2_, .Lfunc_end240-_ZN9rocsparseL32bsr2csr_block_per_row_2_7_kernelILj256ELj7EdilEEv20rocsparse_direction_T3_S2_21rocsparse_index_base_PKT1_PKT2_PKS2_S2_S3_PS4_PS7_PS2_
                                        ; -- End function
	.set _ZN9rocsparseL32bsr2csr_block_per_row_2_7_kernelILj256ELj7EdilEEv20rocsparse_direction_T3_S2_21rocsparse_index_base_PKT1_PKT2_PKS2_S2_S3_PS4_PS7_PS2_.num_vgpr, 41
	.set _ZN9rocsparseL32bsr2csr_block_per_row_2_7_kernelILj256ELj7EdilEEv20rocsparse_direction_T3_S2_21rocsparse_index_base_PKT1_PKT2_PKS2_S2_S3_PS4_PS7_PS2_.num_agpr, 0
	.set _ZN9rocsparseL32bsr2csr_block_per_row_2_7_kernelILj256ELj7EdilEEv20rocsparse_direction_T3_S2_21rocsparse_index_base_PKT1_PKT2_PKS2_S2_S3_PS4_PS7_PS2_.numbered_sgpr, 17
	.set _ZN9rocsparseL32bsr2csr_block_per_row_2_7_kernelILj256ELj7EdilEEv20rocsparse_direction_T3_S2_21rocsparse_index_base_PKT1_PKT2_PKS2_S2_S3_PS4_PS7_PS2_.num_named_barrier, 0
	.set _ZN9rocsparseL32bsr2csr_block_per_row_2_7_kernelILj256ELj7EdilEEv20rocsparse_direction_T3_S2_21rocsparse_index_base_PKT1_PKT2_PKS2_S2_S3_PS4_PS7_PS2_.private_seg_size, 0
	.set _ZN9rocsparseL32bsr2csr_block_per_row_2_7_kernelILj256ELj7EdilEEv20rocsparse_direction_T3_S2_21rocsparse_index_base_PKT1_PKT2_PKS2_S2_S3_PS4_PS7_PS2_.uses_vcc, 1
	.set _ZN9rocsparseL32bsr2csr_block_per_row_2_7_kernelILj256ELj7EdilEEv20rocsparse_direction_T3_S2_21rocsparse_index_base_PKT1_PKT2_PKS2_S2_S3_PS4_PS7_PS2_.uses_flat_scratch, 0
	.set _ZN9rocsparseL32bsr2csr_block_per_row_2_7_kernelILj256ELj7EdilEEv20rocsparse_direction_T3_S2_21rocsparse_index_base_PKT1_PKT2_PKS2_S2_S3_PS4_PS7_PS2_.has_dyn_sized_stack, 0
	.set _ZN9rocsparseL32bsr2csr_block_per_row_2_7_kernelILj256ELj7EdilEEv20rocsparse_direction_T3_S2_21rocsparse_index_base_PKT1_PKT2_PKS2_S2_S3_PS4_PS7_PS2_.has_recursion, 0
	.set _ZN9rocsparseL32bsr2csr_block_per_row_2_7_kernelILj256ELj7EdilEEv20rocsparse_direction_T3_S2_21rocsparse_index_base_PKT1_PKT2_PKS2_S2_S3_PS4_PS7_PS2_.has_indirect_call, 0
	.section	.AMDGPU.csdata,"",@progbits
; Kernel info:
; codeLenInByte = 1036
; TotalNumSgprs: 19
; NumVgprs: 41
; ScratchSize: 0
; MemoryBound: 0
; FloatMode: 240
; IeeeMode: 1
; LDSByteSize: 0 bytes/workgroup (compile time only)
; SGPRBlocks: 0
; VGPRBlocks: 5
; NumSGPRsForWavesPerEU: 19
; NumVGPRsForWavesPerEU: 41
; Occupancy: 16
; WaveLimiterHint : 0
; COMPUTE_PGM_RSRC2:SCRATCH_EN: 0
; COMPUTE_PGM_RSRC2:USER_SGPR: 6
; COMPUTE_PGM_RSRC2:TRAP_HANDLER: 0
; COMPUTE_PGM_RSRC2:TGID_X_EN: 1
; COMPUTE_PGM_RSRC2:TGID_Y_EN: 0
; COMPUTE_PGM_RSRC2:TGID_Z_EN: 0
; COMPUTE_PGM_RSRC2:TIDIG_COMP_CNT: 0
	.section	.text._ZN9rocsparseL33bsr2csr_block_per_row_8_32_kernelILj1024ELj8EdilEEv20rocsparse_direction_T3_S2_21rocsparse_index_base_PKT1_PKT2_PKS2_S2_S3_PS4_PS7_PS2_,"axG",@progbits,_ZN9rocsparseL33bsr2csr_block_per_row_8_32_kernelILj1024ELj8EdilEEv20rocsparse_direction_T3_S2_21rocsparse_index_base_PKT1_PKT2_PKS2_S2_S3_PS4_PS7_PS2_,comdat
	.globl	_ZN9rocsparseL33bsr2csr_block_per_row_8_32_kernelILj1024ELj8EdilEEv20rocsparse_direction_T3_S2_21rocsparse_index_base_PKT1_PKT2_PKS2_S2_S3_PS4_PS7_PS2_ ; -- Begin function _ZN9rocsparseL33bsr2csr_block_per_row_8_32_kernelILj1024ELj8EdilEEv20rocsparse_direction_T3_S2_21rocsparse_index_base_PKT1_PKT2_PKS2_S2_S3_PS4_PS7_PS2_
	.p2align	8
	.type	_ZN9rocsparseL33bsr2csr_block_per_row_8_32_kernelILj1024ELj8EdilEEv20rocsparse_direction_T3_S2_21rocsparse_index_base_PKT1_PKT2_PKS2_S2_S3_PS4_PS7_PS2_,@function
_ZN9rocsparseL33bsr2csr_block_per_row_8_32_kernelILj1024ELj8EdilEEv20rocsparse_direction_T3_S2_21rocsparse_index_base_PKT1_PKT2_PKS2_S2_S3_PS4_PS7_PS2_: ; @_ZN9rocsparseL33bsr2csr_block_per_row_8_32_kernelILj1024ELj8EdilEEv20rocsparse_direction_T3_S2_21rocsparse_index_base_PKT1_PKT2_PKS2_S2_S3_PS4_PS7_PS2_
; %bb.0:
	s_clause 0x2
	s_load_dwordx2 s[2:3], s[4:5], 0x28
	s_load_dword s1, s[4:5], 0x40
	s_load_dwordx2 s[8:9], s[4:5], 0x50
	s_mov_b32 s7, 0
	v_or_b32_e32 v1, s6, v0
	s_lshl_b64 s[10:11], s[6:7], 2
	s_mov_b32 s0, exec_lo
	s_waitcnt lgkmcnt(0)
	s_add_u32 s10, s2, s10
	s_addc_u32 s11, s3, s11
	v_cmpx_eq_u32_e32 0, v1
	s_cbranch_execz .LBB241_2
; %bb.1:
	v_mov_b32_e32 v1, 0
	v_mov_b32_e32 v2, s1
	global_store_dword v1, v2, s[8:9]
.LBB241_2:
	s_or_b32 exec_lo, exec_lo, s0
	s_load_dwordx2 s[2:3], s[4:5], 0x38
	v_mov_b32_e32 v2, 0
	v_bfe_u32 v3, v0, 3, 3
	v_and_b32_e32 v1, 7, v0
	v_mov_b32_e32 v4, v2
	s_waitcnt lgkmcnt(0)
	v_cmp_gt_i64_e32 vcc_lo, s[2:3], v[3:4]
	v_cmp_gt_i64_e64 s0, s[2:3], v[1:2]
	s_and_b32 s0, vcc_lo, s0
	s_and_saveexec_b32 s7, s0
	s_cbranch_execz .LBB241_6
; %bb.3:
	s_load_dwordx2 s[10:11], s[10:11], 0x0
	s_load_dword s12, s[4:5], 0x18
	v_lshrrev_b32_e32 v2, 6, v0
	s_mul_i32 s14, s2, s2
	s_mul_i32 s7, s3, s6
	v_lshlrev_b32_e32 v5, 2, v3
	s_waitcnt lgkmcnt(0)
	s_sub_i32 s0, s10, s12
	s_sub_i32 s13, s11, s12
	v_add_nc_u32_e32 v0, s0, v2
	s_sub_i32 s15, s13, s0
	s_mul_hi_u32 s11, s2, s6
	s_mul_i32 s10, s2, s15
	s_mul_i32 s6, s2, s6
	v_mul_lo_u32 v4, s10, v3
	s_add_i32 s7, s11, s7
	s_mul_i32 s11, s14, s0
	s_add_i32 s10, s1, s10
	s_lshl_b64 s[6:7], s[6:7], 2
	v_cmp_gt_i32_e32 vcc_lo, s13, v0
	s_add_u32 s6, s8, s6
	s_addc_u32 s7, s9, s7
	v_add3_u32 v4, s10, s11, v4
	global_store_dword v5, v4, s[6:7] offset:4
	s_and_b32 exec_lo, exec_lo, vcc_lo
	s_cbranch_execz .LBB241_6
; %bb.4:
	v_mad_u64_u32 v[4:5], null, s2, v1, 0
	v_mad_u64_u32 v[6:7], null, s2, v3, 0
	s_clause 0x4
	s_load_dwordx2 s[16:17], s[4:5], 0x20
	s_load_dwordx2 s[6:7], s[4:5], 0x58
	;; [unrolled: 1-line block ×4, first 2 shown]
	s_load_dword s5, s[4:5], 0x0
	v_mul_lo_u32 v10, s15, v3
	s_mul_i32 s0, s2, s0
	s_mul_i32 s18, s2, s3
	v_mad_u64_u32 v[8:9], null, s3, v1, v[5:6]
	v_lshlrev_b32_e32 v9, 3, v1
	s_mul_hi_u32 s19, s2, s2
	v_add3_u32 v2, v2, s0, v10
	s_add_i32 s4, s19, s18
	v_mov_b32_e32 v5, v8
	v_mad_u64_u32 v[7:8], null, s3, v3, v[7:8]
	v_lshlrev_b32_e32 v8, 3, v3
	s_add_i32 s4, s4, s18
	v_lshlrev_b64 v[4:5], 3, v[4:5]
	s_waitcnt lgkmcnt(0)
	s_cmp_eq_u32 s5, 0
	s_mov_b32 s5, 0
	v_add_co_u32 v11, vcc_lo, s16, v4
	v_lshlrev_b64 v[3:4], 3, v[6:7]
	v_add_co_ci_u32_e64 v5, null, s17, v5, vcc_lo
	v_add_co_u32 v7, vcc_lo, v11, v8
	v_add_co_ci_u32_e64 v8, null, 0, v5, vcc_lo
	v_add_co_u32 v3, vcc_lo, s16, v3
	v_add_co_ci_u32_e64 v4, null, s17, v4, vcc_lo
	v_mad_u64_u32 v[5:6], null, s2, v2, v[1:2]
	v_add_co_u32 v9, vcc_lo, v3, v9
	v_add_co_ci_u32_e64 v10, null, 0, v4, vcc_lo
	v_add_co_u32 v2, s0, v1, s1
	s_cselect_b32 vcc_lo, -1, 0
	v_add_co_ci_u32_e64 v3, null, 0, 0, s0
	v_mov_b32_e32 v4, 0
	v_cndmask_b32_e32 v6, v8, v10, vcc_lo
	v_cndmask_b32_e32 v7, v7, v9, vcc_lo
	s_lshl_b32 s15, s2, 4
.LBB241_5:                              ; =>This Inner Loop Header: Depth=1
	v_ashrrev_i32_e32 v1, 31, v0
	v_mul_lo_u32 v12, s4, v0
	v_mad_u64_u32 v[8:9], null, s14, v0, 0
	v_lshlrev_b64 v[10:11], 3, v[0:1]
	v_mul_lo_u32 v1, s14, v1
	v_add_nc_u32_e32 v0, 16, v0
	v_add_co_u32 v10, vcc_lo, s8, v10
	v_add_co_ci_u32_e64 v11, null, s9, v11, vcc_lo
	v_add3_u32 v9, v9, v1, v12
	v_ashrrev_i64 v[12:13], 29, v[4:5]
	global_load_dwordx2 v[10:11], v[10:11], off
	v_lshlrev_b64 v[8:9], 3, v[8:9]
	v_add_co_u32 v14, s0, s6, v12
	v_add_co_ci_u32_e64 v15, null, s7, v13, s0
	v_add_co_u32 v8, vcc_lo, v7, v8
	v_add_co_ci_u32_e64 v9, null, v6, v9, vcc_lo
	v_add_co_u32 v12, s0, s10, v12
	v_add_co_u32 v4, vcc_lo, v4, 0
	global_load_dwordx2 v[8:9], v[8:9], off
	v_add_co_ci_u32_e64 v13, null, s11, v13, s0
	v_cmp_le_i32_e64 s0, s13, v0
	v_add_co_ci_u32_e64 v5, null, s15, v5, vcc_lo
	s_or_b32 s5, s0, s5
	s_waitcnt vmcnt(1)
	v_sub_co_u32 v1, s1, v10, s12
	v_subrev_co_ci_u32_e64 v10, null, 0, v11, s1
	v_mul_lo_u32 v16, v1, s3
	v_mul_lo_u32 v17, v10, s2
	v_mad_u64_u32 v[10:11], null, v1, s2, v[2:3]
	v_add3_u32 v11, v17, v11, v16
	s_waitcnt vmcnt(0)
	global_store_dwordx2 v[12:13], v[8:9], off
	global_store_dwordx2 v[14:15], v[10:11], off
	s_andn2_b32 exec_lo, exec_lo, s5
	s_cbranch_execnz .LBB241_5
.LBB241_6:
	s_endpgm
	.section	.rodata,"a",@progbits
	.p2align	6, 0x0
	.amdhsa_kernel _ZN9rocsparseL33bsr2csr_block_per_row_8_32_kernelILj1024ELj8EdilEEv20rocsparse_direction_T3_S2_21rocsparse_index_base_PKT1_PKT2_PKS2_S2_S3_PS4_PS7_PS2_
		.amdhsa_group_segment_fixed_size 0
		.amdhsa_private_segment_fixed_size 0
		.amdhsa_kernarg_size 96
		.amdhsa_user_sgpr_count 6
		.amdhsa_user_sgpr_private_segment_buffer 1
		.amdhsa_user_sgpr_dispatch_ptr 0
		.amdhsa_user_sgpr_queue_ptr 0
		.amdhsa_user_sgpr_kernarg_segment_ptr 1
		.amdhsa_user_sgpr_dispatch_id 0
		.amdhsa_user_sgpr_flat_scratch_init 0
		.amdhsa_user_sgpr_private_segment_size 0
		.amdhsa_wavefront_size32 1
		.amdhsa_uses_dynamic_stack 0
		.amdhsa_system_sgpr_private_segment_wavefront_offset 0
		.amdhsa_system_sgpr_workgroup_id_x 1
		.amdhsa_system_sgpr_workgroup_id_y 0
		.amdhsa_system_sgpr_workgroup_id_z 0
		.amdhsa_system_sgpr_workgroup_info 0
		.amdhsa_system_vgpr_workitem_id 0
		.amdhsa_next_free_vgpr 18
		.amdhsa_next_free_sgpr 20
		.amdhsa_reserve_vcc 1
		.amdhsa_reserve_flat_scratch 0
		.amdhsa_float_round_mode_32 0
		.amdhsa_float_round_mode_16_64 0
		.amdhsa_float_denorm_mode_32 3
		.amdhsa_float_denorm_mode_16_64 3
		.amdhsa_dx10_clamp 1
		.amdhsa_ieee_mode 1
		.amdhsa_fp16_overflow 0
		.amdhsa_workgroup_processor_mode 1
		.amdhsa_memory_ordered 1
		.amdhsa_forward_progress 1
		.amdhsa_shared_vgpr_count 0
		.amdhsa_exception_fp_ieee_invalid_op 0
		.amdhsa_exception_fp_denorm_src 0
		.amdhsa_exception_fp_ieee_div_zero 0
		.amdhsa_exception_fp_ieee_overflow 0
		.amdhsa_exception_fp_ieee_underflow 0
		.amdhsa_exception_fp_ieee_inexact 0
		.amdhsa_exception_int_div_zero 0
	.end_amdhsa_kernel
	.section	.text._ZN9rocsparseL33bsr2csr_block_per_row_8_32_kernelILj1024ELj8EdilEEv20rocsparse_direction_T3_S2_21rocsparse_index_base_PKT1_PKT2_PKS2_S2_S3_PS4_PS7_PS2_,"axG",@progbits,_ZN9rocsparseL33bsr2csr_block_per_row_8_32_kernelILj1024ELj8EdilEEv20rocsparse_direction_T3_S2_21rocsparse_index_base_PKT1_PKT2_PKS2_S2_S3_PS4_PS7_PS2_,comdat
.Lfunc_end241:
	.size	_ZN9rocsparseL33bsr2csr_block_per_row_8_32_kernelILj1024ELj8EdilEEv20rocsparse_direction_T3_S2_21rocsparse_index_base_PKT1_PKT2_PKS2_S2_S3_PS4_PS7_PS2_, .Lfunc_end241-_ZN9rocsparseL33bsr2csr_block_per_row_8_32_kernelILj1024ELj8EdilEEv20rocsparse_direction_T3_S2_21rocsparse_index_base_PKT1_PKT2_PKS2_S2_S3_PS4_PS7_PS2_
                                        ; -- End function
	.set _ZN9rocsparseL33bsr2csr_block_per_row_8_32_kernelILj1024ELj8EdilEEv20rocsparse_direction_T3_S2_21rocsparse_index_base_PKT1_PKT2_PKS2_S2_S3_PS4_PS7_PS2_.num_vgpr, 18
	.set _ZN9rocsparseL33bsr2csr_block_per_row_8_32_kernelILj1024ELj8EdilEEv20rocsparse_direction_T3_S2_21rocsparse_index_base_PKT1_PKT2_PKS2_S2_S3_PS4_PS7_PS2_.num_agpr, 0
	.set _ZN9rocsparseL33bsr2csr_block_per_row_8_32_kernelILj1024ELj8EdilEEv20rocsparse_direction_T3_S2_21rocsparse_index_base_PKT1_PKT2_PKS2_S2_S3_PS4_PS7_PS2_.numbered_sgpr, 20
	.set _ZN9rocsparseL33bsr2csr_block_per_row_8_32_kernelILj1024ELj8EdilEEv20rocsparse_direction_T3_S2_21rocsparse_index_base_PKT1_PKT2_PKS2_S2_S3_PS4_PS7_PS2_.num_named_barrier, 0
	.set _ZN9rocsparseL33bsr2csr_block_per_row_8_32_kernelILj1024ELj8EdilEEv20rocsparse_direction_T3_S2_21rocsparse_index_base_PKT1_PKT2_PKS2_S2_S3_PS4_PS7_PS2_.private_seg_size, 0
	.set _ZN9rocsparseL33bsr2csr_block_per_row_8_32_kernelILj1024ELj8EdilEEv20rocsparse_direction_T3_S2_21rocsparse_index_base_PKT1_PKT2_PKS2_S2_S3_PS4_PS7_PS2_.uses_vcc, 1
	.set _ZN9rocsparseL33bsr2csr_block_per_row_8_32_kernelILj1024ELj8EdilEEv20rocsparse_direction_T3_S2_21rocsparse_index_base_PKT1_PKT2_PKS2_S2_S3_PS4_PS7_PS2_.uses_flat_scratch, 0
	.set _ZN9rocsparseL33bsr2csr_block_per_row_8_32_kernelILj1024ELj8EdilEEv20rocsparse_direction_T3_S2_21rocsparse_index_base_PKT1_PKT2_PKS2_S2_S3_PS4_PS7_PS2_.has_dyn_sized_stack, 0
	.set _ZN9rocsparseL33bsr2csr_block_per_row_8_32_kernelILj1024ELj8EdilEEv20rocsparse_direction_T3_S2_21rocsparse_index_base_PKT1_PKT2_PKS2_S2_S3_PS4_PS7_PS2_.has_recursion, 0
	.set _ZN9rocsparseL33bsr2csr_block_per_row_8_32_kernelILj1024ELj8EdilEEv20rocsparse_direction_T3_S2_21rocsparse_index_base_PKT1_PKT2_PKS2_S2_S3_PS4_PS7_PS2_.has_indirect_call, 0
	.section	.AMDGPU.csdata,"",@progbits
; Kernel info:
; codeLenInByte = 780
; TotalNumSgprs: 22
; NumVgprs: 18
; ScratchSize: 0
; MemoryBound: 0
; FloatMode: 240
; IeeeMode: 1
; LDSByteSize: 0 bytes/workgroup (compile time only)
; SGPRBlocks: 0
; VGPRBlocks: 2
; NumSGPRsForWavesPerEU: 22
; NumVGPRsForWavesPerEU: 18
; Occupancy: 16
; WaveLimiterHint : 0
; COMPUTE_PGM_RSRC2:SCRATCH_EN: 0
; COMPUTE_PGM_RSRC2:USER_SGPR: 6
; COMPUTE_PGM_RSRC2:TRAP_HANDLER: 0
; COMPUTE_PGM_RSRC2:TGID_X_EN: 1
; COMPUTE_PGM_RSRC2:TGID_Y_EN: 0
; COMPUTE_PGM_RSRC2:TGID_Z_EN: 0
; COMPUTE_PGM_RSRC2:TIDIG_COMP_CNT: 0
	.section	.text._ZN9rocsparseL33bsr2csr_block_per_row_8_32_kernelILj1024ELj16EdilEEv20rocsparse_direction_T3_S2_21rocsparse_index_base_PKT1_PKT2_PKS2_S2_S3_PS4_PS7_PS2_,"axG",@progbits,_ZN9rocsparseL33bsr2csr_block_per_row_8_32_kernelILj1024ELj16EdilEEv20rocsparse_direction_T3_S2_21rocsparse_index_base_PKT1_PKT2_PKS2_S2_S3_PS4_PS7_PS2_,comdat
	.globl	_ZN9rocsparseL33bsr2csr_block_per_row_8_32_kernelILj1024ELj16EdilEEv20rocsparse_direction_T3_S2_21rocsparse_index_base_PKT1_PKT2_PKS2_S2_S3_PS4_PS7_PS2_ ; -- Begin function _ZN9rocsparseL33bsr2csr_block_per_row_8_32_kernelILj1024ELj16EdilEEv20rocsparse_direction_T3_S2_21rocsparse_index_base_PKT1_PKT2_PKS2_S2_S3_PS4_PS7_PS2_
	.p2align	8
	.type	_ZN9rocsparseL33bsr2csr_block_per_row_8_32_kernelILj1024ELj16EdilEEv20rocsparse_direction_T3_S2_21rocsparse_index_base_PKT1_PKT2_PKS2_S2_S3_PS4_PS7_PS2_,@function
_ZN9rocsparseL33bsr2csr_block_per_row_8_32_kernelILj1024ELj16EdilEEv20rocsparse_direction_T3_S2_21rocsparse_index_base_PKT1_PKT2_PKS2_S2_S3_PS4_PS7_PS2_: ; @_ZN9rocsparseL33bsr2csr_block_per_row_8_32_kernelILj1024ELj16EdilEEv20rocsparse_direction_T3_S2_21rocsparse_index_base_PKT1_PKT2_PKS2_S2_S3_PS4_PS7_PS2_
; %bb.0:
	s_clause 0x2
	s_load_dwordx2 s[2:3], s[4:5], 0x28
	s_load_dword s1, s[4:5], 0x40
	s_load_dwordx2 s[8:9], s[4:5], 0x50
	s_mov_b32 s7, 0
	v_or_b32_e32 v1, s6, v0
	s_lshl_b64 s[10:11], s[6:7], 2
	s_mov_b32 s0, exec_lo
	s_waitcnt lgkmcnt(0)
	s_add_u32 s10, s2, s10
	s_addc_u32 s11, s3, s11
	v_cmpx_eq_u32_e32 0, v1
	s_cbranch_execz .LBB242_2
; %bb.1:
	v_mov_b32_e32 v1, 0
	v_mov_b32_e32 v2, s1
	global_store_dword v1, v2, s[8:9]
.LBB242_2:
	s_or_b32 exec_lo, exec_lo, s0
	s_load_dwordx2 s[2:3], s[4:5], 0x38
	v_mov_b32_e32 v2, 0
	v_bfe_u32 v3, v0, 4, 4
	v_and_b32_e32 v1, 15, v0
	v_mov_b32_e32 v4, v2
	s_waitcnt lgkmcnt(0)
	v_cmp_gt_i64_e32 vcc_lo, s[2:3], v[3:4]
	v_cmp_gt_i64_e64 s0, s[2:3], v[1:2]
	s_and_b32 s0, vcc_lo, s0
	s_and_saveexec_b32 s7, s0
	s_cbranch_execz .LBB242_6
; %bb.3:
	s_load_dwordx2 s[10:11], s[10:11], 0x0
	s_load_dword s12, s[4:5], 0x18
	v_lshrrev_b32_e32 v2, 8, v0
	s_mul_i32 s14, s2, s2
	s_mul_i32 s7, s3, s6
	v_lshlrev_b32_e32 v5, 2, v3
	s_waitcnt lgkmcnt(0)
	s_sub_i32 s0, s10, s12
	s_sub_i32 s13, s11, s12
	v_add_nc_u32_e32 v0, s0, v2
	s_sub_i32 s15, s13, s0
	s_mul_hi_u32 s11, s2, s6
	s_mul_i32 s10, s2, s15
	s_mul_i32 s6, s2, s6
	v_mul_lo_u32 v4, s10, v3
	s_add_i32 s7, s11, s7
	s_mul_i32 s11, s14, s0
	s_add_i32 s10, s1, s10
	s_lshl_b64 s[6:7], s[6:7], 2
	v_cmp_gt_i32_e32 vcc_lo, s13, v0
	s_add_u32 s6, s8, s6
	s_addc_u32 s7, s9, s7
	v_add3_u32 v4, s10, s11, v4
	global_store_dword v5, v4, s[6:7] offset:4
	s_and_b32 exec_lo, exec_lo, vcc_lo
	s_cbranch_execz .LBB242_6
; %bb.4:
	v_mad_u64_u32 v[4:5], null, s2, v1, 0
	v_mad_u64_u32 v[6:7], null, s2, v3, 0
	s_clause 0x4
	s_load_dwordx2 s[16:17], s[4:5], 0x20
	s_load_dwordx2 s[6:7], s[4:5], 0x58
	;; [unrolled: 1-line block ×4, first 2 shown]
	s_load_dword s5, s[4:5], 0x0
	v_mul_lo_u32 v10, s15, v3
	s_mul_i32 s0, s2, s0
	s_mul_i32 s18, s2, s3
	v_mad_u64_u32 v[8:9], null, s3, v1, v[5:6]
	v_lshlrev_b32_e32 v9, 3, v1
	s_mul_hi_u32 s19, s2, s2
	v_add3_u32 v2, v2, s0, v10
	s_add_i32 s4, s19, s18
	v_mov_b32_e32 v5, v8
	v_mad_u64_u32 v[7:8], null, s3, v3, v[7:8]
	v_lshlrev_b32_e32 v8, 3, v3
	s_add_i32 s4, s4, s18
	v_lshlrev_b64 v[4:5], 3, v[4:5]
	s_waitcnt lgkmcnt(0)
	s_cmp_eq_u32 s5, 0
	s_mov_b32 s5, 0
	v_add_co_u32 v11, vcc_lo, s16, v4
	v_lshlrev_b64 v[3:4], 3, v[6:7]
	v_add_co_ci_u32_e64 v5, null, s17, v5, vcc_lo
	v_add_co_u32 v7, vcc_lo, v11, v8
	v_add_co_ci_u32_e64 v8, null, 0, v5, vcc_lo
	v_add_co_u32 v3, vcc_lo, s16, v3
	v_add_co_ci_u32_e64 v4, null, s17, v4, vcc_lo
	v_mad_u64_u32 v[5:6], null, s2, v2, v[1:2]
	v_add_co_u32 v9, vcc_lo, v3, v9
	v_add_co_ci_u32_e64 v10, null, 0, v4, vcc_lo
	v_add_co_u32 v2, s0, v1, s1
	s_cselect_b32 vcc_lo, -1, 0
	v_add_co_ci_u32_e64 v3, null, 0, 0, s0
	v_mov_b32_e32 v4, 0
	v_cndmask_b32_e32 v6, v8, v10, vcc_lo
	v_cndmask_b32_e32 v7, v7, v9, vcc_lo
	s_lshl_b32 s15, s2, 2
.LBB242_5:                              ; =>This Inner Loop Header: Depth=1
	v_ashrrev_i32_e32 v1, 31, v0
	v_mul_lo_u32 v12, s4, v0
	v_mad_u64_u32 v[8:9], null, s14, v0, 0
	v_lshlrev_b64 v[10:11], 3, v[0:1]
	v_mul_lo_u32 v1, s14, v1
	v_add_nc_u32_e32 v0, 4, v0
	v_add_co_u32 v10, vcc_lo, s8, v10
	v_add_co_ci_u32_e64 v11, null, s9, v11, vcc_lo
	v_add3_u32 v9, v9, v1, v12
	v_ashrrev_i64 v[12:13], 29, v[4:5]
	global_load_dwordx2 v[10:11], v[10:11], off
	v_lshlrev_b64 v[8:9], 3, v[8:9]
	v_add_co_u32 v14, s0, s6, v12
	v_add_co_ci_u32_e64 v15, null, s7, v13, s0
	v_add_co_u32 v8, vcc_lo, v7, v8
	v_add_co_ci_u32_e64 v9, null, v6, v9, vcc_lo
	v_add_co_u32 v12, s0, s10, v12
	v_add_co_u32 v4, vcc_lo, v4, 0
	global_load_dwordx2 v[8:9], v[8:9], off
	v_add_co_ci_u32_e64 v13, null, s11, v13, s0
	v_cmp_le_i32_e64 s0, s13, v0
	v_add_co_ci_u32_e64 v5, null, s15, v5, vcc_lo
	s_or_b32 s5, s0, s5
	s_waitcnt vmcnt(1)
	v_sub_co_u32 v1, s1, v10, s12
	v_subrev_co_ci_u32_e64 v10, null, 0, v11, s1
	v_mul_lo_u32 v16, v1, s3
	v_mul_lo_u32 v17, v10, s2
	v_mad_u64_u32 v[10:11], null, v1, s2, v[2:3]
	v_add3_u32 v11, v17, v11, v16
	s_waitcnt vmcnt(0)
	global_store_dwordx2 v[12:13], v[8:9], off
	global_store_dwordx2 v[14:15], v[10:11], off
	s_andn2_b32 exec_lo, exec_lo, s5
	s_cbranch_execnz .LBB242_5
.LBB242_6:
	s_endpgm
	.section	.rodata,"a",@progbits
	.p2align	6, 0x0
	.amdhsa_kernel _ZN9rocsparseL33bsr2csr_block_per_row_8_32_kernelILj1024ELj16EdilEEv20rocsparse_direction_T3_S2_21rocsparse_index_base_PKT1_PKT2_PKS2_S2_S3_PS4_PS7_PS2_
		.amdhsa_group_segment_fixed_size 0
		.amdhsa_private_segment_fixed_size 0
		.amdhsa_kernarg_size 96
		.amdhsa_user_sgpr_count 6
		.amdhsa_user_sgpr_private_segment_buffer 1
		.amdhsa_user_sgpr_dispatch_ptr 0
		.amdhsa_user_sgpr_queue_ptr 0
		.amdhsa_user_sgpr_kernarg_segment_ptr 1
		.amdhsa_user_sgpr_dispatch_id 0
		.amdhsa_user_sgpr_flat_scratch_init 0
		.amdhsa_user_sgpr_private_segment_size 0
		.amdhsa_wavefront_size32 1
		.amdhsa_uses_dynamic_stack 0
		.amdhsa_system_sgpr_private_segment_wavefront_offset 0
		.amdhsa_system_sgpr_workgroup_id_x 1
		.amdhsa_system_sgpr_workgroup_id_y 0
		.amdhsa_system_sgpr_workgroup_id_z 0
		.amdhsa_system_sgpr_workgroup_info 0
		.amdhsa_system_vgpr_workitem_id 0
		.amdhsa_next_free_vgpr 18
		.amdhsa_next_free_sgpr 20
		.amdhsa_reserve_vcc 1
		.amdhsa_reserve_flat_scratch 0
		.amdhsa_float_round_mode_32 0
		.amdhsa_float_round_mode_16_64 0
		.amdhsa_float_denorm_mode_32 3
		.amdhsa_float_denorm_mode_16_64 3
		.amdhsa_dx10_clamp 1
		.amdhsa_ieee_mode 1
		.amdhsa_fp16_overflow 0
		.amdhsa_workgroup_processor_mode 1
		.amdhsa_memory_ordered 1
		.amdhsa_forward_progress 1
		.amdhsa_shared_vgpr_count 0
		.amdhsa_exception_fp_ieee_invalid_op 0
		.amdhsa_exception_fp_denorm_src 0
		.amdhsa_exception_fp_ieee_div_zero 0
		.amdhsa_exception_fp_ieee_overflow 0
		.amdhsa_exception_fp_ieee_underflow 0
		.amdhsa_exception_fp_ieee_inexact 0
		.amdhsa_exception_int_div_zero 0
	.end_amdhsa_kernel
	.section	.text._ZN9rocsparseL33bsr2csr_block_per_row_8_32_kernelILj1024ELj16EdilEEv20rocsparse_direction_T3_S2_21rocsparse_index_base_PKT1_PKT2_PKS2_S2_S3_PS4_PS7_PS2_,"axG",@progbits,_ZN9rocsparseL33bsr2csr_block_per_row_8_32_kernelILj1024ELj16EdilEEv20rocsparse_direction_T3_S2_21rocsparse_index_base_PKT1_PKT2_PKS2_S2_S3_PS4_PS7_PS2_,comdat
.Lfunc_end242:
	.size	_ZN9rocsparseL33bsr2csr_block_per_row_8_32_kernelILj1024ELj16EdilEEv20rocsparse_direction_T3_S2_21rocsparse_index_base_PKT1_PKT2_PKS2_S2_S3_PS4_PS7_PS2_, .Lfunc_end242-_ZN9rocsparseL33bsr2csr_block_per_row_8_32_kernelILj1024ELj16EdilEEv20rocsparse_direction_T3_S2_21rocsparse_index_base_PKT1_PKT2_PKS2_S2_S3_PS4_PS7_PS2_
                                        ; -- End function
	.set _ZN9rocsparseL33bsr2csr_block_per_row_8_32_kernelILj1024ELj16EdilEEv20rocsparse_direction_T3_S2_21rocsparse_index_base_PKT1_PKT2_PKS2_S2_S3_PS4_PS7_PS2_.num_vgpr, 18
	.set _ZN9rocsparseL33bsr2csr_block_per_row_8_32_kernelILj1024ELj16EdilEEv20rocsparse_direction_T3_S2_21rocsparse_index_base_PKT1_PKT2_PKS2_S2_S3_PS4_PS7_PS2_.num_agpr, 0
	.set _ZN9rocsparseL33bsr2csr_block_per_row_8_32_kernelILj1024ELj16EdilEEv20rocsparse_direction_T3_S2_21rocsparse_index_base_PKT1_PKT2_PKS2_S2_S3_PS4_PS7_PS2_.numbered_sgpr, 20
	.set _ZN9rocsparseL33bsr2csr_block_per_row_8_32_kernelILj1024ELj16EdilEEv20rocsparse_direction_T3_S2_21rocsparse_index_base_PKT1_PKT2_PKS2_S2_S3_PS4_PS7_PS2_.num_named_barrier, 0
	.set _ZN9rocsparseL33bsr2csr_block_per_row_8_32_kernelILj1024ELj16EdilEEv20rocsparse_direction_T3_S2_21rocsparse_index_base_PKT1_PKT2_PKS2_S2_S3_PS4_PS7_PS2_.private_seg_size, 0
	.set _ZN9rocsparseL33bsr2csr_block_per_row_8_32_kernelILj1024ELj16EdilEEv20rocsparse_direction_T3_S2_21rocsparse_index_base_PKT1_PKT2_PKS2_S2_S3_PS4_PS7_PS2_.uses_vcc, 1
	.set _ZN9rocsparseL33bsr2csr_block_per_row_8_32_kernelILj1024ELj16EdilEEv20rocsparse_direction_T3_S2_21rocsparse_index_base_PKT1_PKT2_PKS2_S2_S3_PS4_PS7_PS2_.uses_flat_scratch, 0
	.set _ZN9rocsparseL33bsr2csr_block_per_row_8_32_kernelILj1024ELj16EdilEEv20rocsparse_direction_T3_S2_21rocsparse_index_base_PKT1_PKT2_PKS2_S2_S3_PS4_PS7_PS2_.has_dyn_sized_stack, 0
	.set _ZN9rocsparseL33bsr2csr_block_per_row_8_32_kernelILj1024ELj16EdilEEv20rocsparse_direction_T3_S2_21rocsparse_index_base_PKT1_PKT2_PKS2_S2_S3_PS4_PS7_PS2_.has_recursion, 0
	.set _ZN9rocsparseL33bsr2csr_block_per_row_8_32_kernelILj1024ELj16EdilEEv20rocsparse_direction_T3_S2_21rocsparse_index_base_PKT1_PKT2_PKS2_S2_S3_PS4_PS7_PS2_.has_indirect_call, 0
	.section	.AMDGPU.csdata,"",@progbits
; Kernel info:
; codeLenInByte = 780
; TotalNumSgprs: 22
; NumVgprs: 18
; ScratchSize: 0
; MemoryBound: 0
; FloatMode: 240
; IeeeMode: 1
; LDSByteSize: 0 bytes/workgroup (compile time only)
; SGPRBlocks: 0
; VGPRBlocks: 2
; NumSGPRsForWavesPerEU: 22
; NumVGPRsForWavesPerEU: 18
; Occupancy: 16
; WaveLimiterHint : 0
; COMPUTE_PGM_RSRC2:SCRATCH_EN: 0
; COMPUTE_PGM_RSRC2:USER_SGPR: 6
; COMPUTE_PGM_RSRC2:TRAP_HANDLER: 0
; COMPUTE_PGM_RSRC2:TGID_X_EN: 1
; COMPUTE_PGM_RSRC2:TGID_Y_EN: 0
; COMPUTE_PGM_RSRC2:TGID_Z_EN: 0
; COMPUTE_PGM_RSRC2:TIDIG_COMP_CNT: 0
	.section	.text._ZN9rocsparseL33bsr2csr_block_per_row_8_32_kernelILj1024ELj32EdilEEv20rocsparse_direction_T3_S2_21rocsparse_index_base_PKT1_PKT2_PKS2_S2_S3_PS4_PS7_PS2_,"axG",@progbits,_ZN9rocsparseL33bsr2csr_block_per_row_8_32_kernelILj1024ELj32EdilEEv20rocsparse_direction_T3_S2_21rocsparse_index_base_PKT1_PKT2_PKS2_S2_S3_PS4_PS7_PS2_,comdat
	.globl	_ZN9rocsparseL33bsr2csr_block_per_row_8_32_kernelILj1024ELj32EdilEEv20rocsparse_direction_T3_S2_21rocsparse_index_base_PKT1_PKT2_PKS2_S2_S3_PS4_PS7_PS2_ ; -- Begin function _ZN9rocsparseL33bsr2csr_block_per_row_8_32_kernelILj1024ELj32EdilEEv20rocsparse_direction_T3_S2_21rocsparse_index_base_PKT1_PKT2_PKS2_S2_S3_PS4_PS7_PS2_
	.p2align	8
	.type	_ZN9rocsparseL33bsr2csr_block_per_row_8_32_kernelILj1024ELj32EdilEEv20rocsparse_direction_T3_S2_21rocsparse_index_base_PKT1_PKT2_PKS2_S2_S3_PS4_PS7_PS2_,@function
_ZN9rocsparseL33bsr2csr_block_per_row_8_32_kernelILj1024ELj32EdilEEv20rocsparse_direction_T3_S2_21rocsparse_index_base_PKT1_PKT2_PKS2_S2_S3_PS4_PS7_PS2_: ; @_ZN9rocsparseL33bsr2csr_block_per_row_8_32_kernelILj1024ELj32EdilEEv20rocsparse_direction_T3_S2_21rocsparse_index_base_PKT1_PKT2_PKS2_S2_S3_PS4_PS7_PS2_
; %bb.0:
	s_clause 0x2
	s_load_dwordx2 s[2:3], s[4:5], 0x28
	s_load_dword s1, s[4:5], 0x40
	s_load_dwordx2 s[10:11], s[4:5], 0x50
	s_mov_b32 s7, 0
	v_or_b32_e32 v1, s6, v0
	s_lshl_b64 s[8:9], s[6:7], 2
	s_mov_b32 s0, exec_lo
	s_waitcnt lgkmcnt(0)
	s_add_u32 s8, s2, s8
	s_addc_u32 s9, s3, s9
	v_cmpx_eq_u32_e32 0, v1
	s_cbranch_execz .LBB243_2
; %bb.1:
	v_mov_b32_e32 v1, 0
	v_mov_b32_e32 v2, s1
	global_store_dword v1, v2, s[10:11]
.LBB243_2:
	s_or_b32 exec_lo, exec_lo, s0
	s_load_dwordx2 s[2:3], s[4:5], 0x38
	v_mov_b32_e32 v1, 0
	v_lshrrev_b32_e32 v2, 5, v0
	v_and_b32_e32 v0, 31, v0
	v_mov_b32_e32 v3, v1
	s_waitcnt lgkmcnt(0)
	v_cmp_gt_i64_e32 vcc_lo, s[2:3], v[2:3]
	v_cmp_gt_i64_e64 s0, s[2:3], v[0:1]
	s_and_b32 s0, vcc_lo, s0
	s_and_saveexec_b32 s7, s0
	s_cbranch_execz .LBB243_6
; %bb.3:
	s_load_dwordx2 s[14:15], s[8:9], 0x0
	s_load_dword s12, s[4:5], 0x18
	s_mul_i32 s7, s3, s6
	s_mul_hi_u32 s17, s2, s6
	s_mul_i32 s8, s2, s2
	s_mul_i32 s6, s2, s6
	s_add_i32 s7, s17, s7
	v_lshlrev_b32_e32 v3, 2, v2
	s_lshl_b64 s[6:7], s[6:7], 2
	s_waitcnt lgkmcnt(0)
	s_sub_i32 s0, s14, s12
	s_sub_i32 s13, s15, s12
	s_mul_i32 s17, s8, s0
	s_sub_i32 s9, s13, s0
	s_mul_i32 s16, s2, s9
	v_mul_lo_u32 v1, s16, v2
	s_add_i32 s16, s1, s16
	s_add_u32 s6, s10, s6
	s_addc_u32 s7, s11, s7
	s_cmp_ge_i32 s14, s15
	v_add3_u32 v1, s16, s17, v1
	global_store_dword v3, v1, s[6:7] offset:4
	s_cbranch_scc1 .LBB243_6
; %bb.4:
	v_mad_u64_u32 v[3:4], null, s2, v0, 0
	v_mad_u64_u32 v[5:6], null, s2, v2, 0
	s_clause 0x3
	s_load_dwordx2 s[10:11], s[4:5], 0x30
	s_load_dwordx2 s[6:7], s[4:5], 0x48
	s_load_dword s16, s[4:5], 0x0
	s_load_dwordx2 s[14:15], s[4:5], 0x20
	v_lshlrev_b32_e32 v9, 3, v0
	s_mul_i32 s17, s2, s3
	s_mul_hi_u32 s18, s2, s2
	v_mov_b32_e32 v1, v4
	s_add_i32 s18, s18, s17
	v_mov_b32_e32 v4, v6
	s_load_dwordx2 s[4:5], s[4:5], 0x58
	v_mad_u64_u32 v[6:7], null, s3, v0, v[1:2]
	v_mad_u64_u32 v[7:8], null, s3, v2, v[4:5]
	v_lshlrev_b32_e32 v8, 3, v2
	v_mul_lo_u32 v1, v2, s9
	s_add_i32 s9, s18, s17
	v_mov_b32_e32 v4, v6
	v_mov_b32_e32 v6, v7
	s_waitcnt lgkmcnt(0)
	s_cmp_eq_u32 s16, 0
	v_lshlrev_b64 v[3:4], 3, v[3:4]
	v_lshlrev_b64 v[5:6], 3, v[5:6]
	v_add_co_u32 v2, vcc_lo, s14, v3
	v_add_co_ci_u32_e64 v3, null, s15, v4, vcc_lo
	v_add_co_u32 v4, vcc_lo, s14, v5
	v_add_co_ci_u32_e64 v5, null, s15, v6, vcc_lo
	;; [unrolled: 2-line block ×4, first 2 shown]
	v_mad_u64_u32 v[4:5], null, s2, s0, v[1:2]
	v_add_co_u32 v1, s1, v0, s1
	v_add_co_ci_u32_e64 v2, null, 0, 0, s1
	s_cselect_b32 vcc_lo, -1, 0
	s_ashr_i32 s1, s0, 31
	v_mad_u64_u32 v[4:5], null, s2, v4, v[0:1]
	s_lshl_b64 s[14:15], s[0:1], 3
	s_mul_i32 s1, s8, s1
	s_add_u32 s10, s10, s14
	s_mul_hi_u32 s14, s8, s0
	s_addc_u32 s11, s11, s15
	s_add_i32 s1, s14, s1
	s_mul_i32 s14, s9, s0
	v_cndmask_b32_e32 v0, v6, v8, vcc_lo
	s_add_i32 s15, s1, s14
	s_mul_i32 s14, s8, s0
	v_cndmask_b32_e32 v7, v7, v9, vcc_lo
	s_lshl_b64 s[14:15], s[14:15], 3
	v_mov_b32_e32 v3, 0
	v_add_co_u32 v5, vcc_lo, v0, s14
	v_add_co_ci_u32_e64 v6, null, s15, v7, vcc_lo
	s_mov_b32 s1, s2
	s_lshl_b64 s[8:9], s[8:9], 3
	s_inst_prefetch 0x1
	.p2align	6
.LBB243_5:                              ; =>This Inner Loop Header: Depth=1
	global_load_dwordx2 v[7:8], v[5:6], off
	s_load_dwordx2 s[14:15], s[10:11], 0x0
	v_ashrrev_i64 v[9:10], 29, v[3:4]
	v_add_co_u32 v3, vcc_lo, v3, 0
	v_add_co_ci_u32_e64 v4, null, s1, v4, vcc_lo
	v_add_co_u32 v5, vcc_lo, v5, s8
	v_add_co_ci_u32_e64 v6, null, s9, v6, vcc_lo
	;; [unrolled: 2-line block ×4, first 2 shown]
	s_waitcnt lgkmcnt(0)
	s_sub_u32 s14, s14, s12
	s_subb_u32 s15, s15, 0
	v_mad_u64_u32 v[13:14], null, s14, s2, v[1:2]
	s_mul_i32 s14, s14, s3
	s_mul_i32 s15, s15, s2
	s_add_i32 s0, s0, 1
	s_add_u32 s10, s10, 8
	s_addc_u32 s11, s11, 0
	s_cmp_lt_i32 s0, s13
	v_add3_u32 v14, s14, s15, v14
	global_store_dwordx2 v[11:12], v[13:14], off
	s_waitcnt vmcnt(0)
	global_store_dwordx2 v[9:10], v[7:8], off
	s_cbranch_scc1 .LBB243_5
.LBB243_6:
	s_inst_prefetch 0x2
	s_endpgm
	.section	.rodata,"a",@progbits
	.p2align	6, 0x0
	.amdhsa_kernel _ZN9rocsparseL33bsr2csr_block_per_row_8_32_kernelILj1024ELj32EdilEEv20rocsparse_direction_T3_S2_21rocsparse_index_base_PKT1_PKT2_PKS2_S2_S3_PS4_PS7_PS2_
		.amdhsa_group_segment_fixed_size 0
		.amdhsa_private_segment_fixed_size 0
		.amdhsa_kernarg_size 96
		.amdhsa_user_sgpr_count 6
		.amdhsa_user_sgpr_private_segment_buffer 1
		.amdhsa_user_sgpr_dispatch_ptr 0
		.amdhsa_user_sgpr_queue_ptr 0
		.amdhsa_user_sgpr_kernarg_segment_ptr 1
		.amdhsa_user_sgpr_dispatch_id 0
		.amdhsa_user_sgpr_flat_scratch_init 0
		.amdhsa_user_sgpr_private_segment_size 0
		.amdhsa_wavefront_size32 1
		.amdhsa_uses_dynamic_stack 0
		.amdhsa_system_sgpr_private_segment_wavefront_offset 0
		.amdhsa_system_sgpr_workgroup_id_x 1
		.amdhsa_system_sgpr_workgroup_id_y 0
		.amdhsa_system_sgpr_workgroup_id_z 0
		.amdhsa_system_sgpr_workgroup_info 0
		.amdhsa_system_vgpr_workitem_id 0
		.amdhsa_next_free_vgpr 15
		.amdhsa_next_free_sgpr 19
		.amdhsa_reserve_vcc 1
		.amdhsa_reserve_flat_scratch 0
		.amdhsa_float_round_mode_32 0
		.amdhsa_float_round_mode_16_64 0
		.amdhsa_float_denorm_mode_32 3
		.amdhsa_float_denorm_mode_16_64 3
		.amdhsa_dx10_clamp 1
		.amdhsa_ieee_mode 1
		.amdhsa_fp16_overflow 0
		.amdhsa_workgroup_processor_mode 1
		.amdhsa_memory_ordered 1
		.amdhsa_forward_progress 1
		.amdhsa_shared_vgpr_count 0
		.amdhsa_exception_fp_ieee_invalid_op 0
		.amdhsa_exception_fp_denorm_src 0
		.amdhsa_exception_fp_ieee_div_zero 0
		.amdhsa_exception_fp_ieee_overflow 0
		.amdhsa_exception_fp_ieee_underflow 0
		.amdhsa_exception_fp_ieee_inexact 0
		.amdhsa_exception_int_div_zero 0
	.end_amdhsa_kernel
	.section	.text._ZN9rocsparseL33bsr2csr_block_per_row_8_32_kernelILj1024ELj32EdilEEv20rocsparse_direction_T3_S2_21rocsparse_index_base_PKT1_PKT2_PKS2_S2_S3_PS4_PS7_PS2_,"axG",@progbits,_ZN9rocsparseL33bsr2csr_block_per_row_8_32_kernelILj1024ELj32EdilEEv20rocsparse_direction_T3_S2_21rocsparse_index_base_PKT1_PKT2_PKS2_S2_S3_PS4_PS7_PS2_,comdat
.Lfunc_end243:
	.size	_ZN9rocsparseL33bsr2csr_block_per_row_8_32_kernelILj1024ELj32EdilEEv20rocsparse_direction_T3_S2_21rocsparse_index_base_PKT1_PKT2_PKS2_S2_S3_PS4_PS7_PS2_, .Lfunc_end243-_ZN9rocsparseL33bsr2csr_block_per_row_8_32_kernelILj1024ELj32EdilEEv20rocsparse_direction_T3_S2_21rocsparse_index_base_PKT1_PKT2_PKS2_S2_S3_PS4_PS7_PS2_
                                        ; -- End function
	.set _ZN9rocsparseL33bsr2csr_block_per_row_8_32_kernelILj1024ELj32EdilEEv20rocsparse_direction_T3_S2_21rocsparse_index_base_PKT1_PKT2_PKS2_S2_S3_PS4_PS7_PS2_.num_vgpr, 15
	.set _ZN9rocsparseL33bsr2csr_block_per_row_8_32_kernelILj1024ELj32EdilEEv20rocsparse_direction_T3_S2_21rocsparse_index_base_PKT1_PKT2_PKS2_S2_S3_PS4_PS7_PS2_.num_agpr, 0
	.set _ZN9rocsparseL33bsr2csr_block_per_row_8_32_kernelILj1024ELj32EdilEEv20rocsparse_direction_T3_S2_21rocsparse_index_base_PKT1_PKT2_PKS2_S2_S3_PS4_PS7_PS2_.numbered_sgpr, 19
	.set _ZN9rocsparseL33bsr2csr_block_per_row_8_32_kernelILj1024ELj32EdilEEv20rocsparse_direction_T3_S2_21rocsparse_index_base_PKT1_PKT2_PKS2_S2_S3_PS4_PS7_PS2_.num_named_barrier, 0
	.set _ZN9rocsparseL33bsr2csr_block_per_row_8_32_kernelILj1024ELj32EdilEEv20rocsparse_direction_T3_S2_21rocsparse_index_base_PKT1_PKT2_PKS2_S2_S3_PS4_PS7_PS2_.private_seg_size, 0
	.set _ZN9rocsparseL33bsr2csr_block_per_row_8_32_kernelILj1024ELj32EdilEEv20rocsparse_direction_T3_S2_21rocsparse_index_base_PKT1_PKT2_PKS2_S2_S3_PS4_PS7_PS2_.uses_vcc, 1
	.set _ZN9rocsparseL33bsr2csr_block_per_row_8_32_kernelILj1024ELj32EdilEEv20rocsparse_direction_T3_S2_21rocsparse_index_base_PKT1_PKT2_PKS2_S2_S3_PS4_PS7_PS2_.uses_flat_scratch, 0
	.set _ZN9rocsparseL33bsr2csr_block_per_row_8_32_kernelILj1024ELj32EdilEEv20rocsparse_direction_T3_S2_21rocsparse_index_base_PKT1_PKT2_PKS2_S2_S3_PS4_PS7_PS2_.has_dyn_sized_stack, 0
	.set _ZN9rocsparseL33bsr2csr_block_per_row_8_32_kernelILj1024ELj32EdilEEv20rocsparse_direction_T3_S2_21rocsparse_index_base_PKT1_PKT2_PKS2_S2_S3_PS4_PS7_PS2_.has_recursion, 0
	.set _ZN9rocsparseL33bsr2csr_block_per_row_8_32_kernelILj1024ELj32EdilEEv20rocsparse_direction_T3_S2_21rocsparse_index_base_PKT1_PKT2_PKS2_S2_S3_PS4_PS7_PS2_.has_indirect_call, 0
	.section	.AMDGPU.csdata,"",@progbits
; Kernel info:
; codeLenInByte = 812
; TotalNumSgprs: 21
; NumVgprs: 15
; ScratchSize: 0
; MemoryBound: 0
; FloatMode: 240
; IeeeMode: 1
; LDSByteSize: 0 bytes/workgroup (compile time only)
; SGPRBlocks: 0
; VGPRBlocks: 1
; NumSGPRsForWavesPerEU: 21
; NumVGPRsForWavesPerEU: 15
; Occupancy: 16
; WaveLimiterHint : 0
; COMPUTE_PGM_RSRC2:SCRATCH_EN: 0
; COMPUTE_PGM_RSRC2:USER_SGPR: 6
; COMPUTE_PGM_RSRC2:TRAP_HANDLER: 0
; COMPUTE_PGM_RSRC2:TGID_X_EN: 1
; COMPUTE_PGM_RSRC2:TGID_Y_EN: 0
; COMPUTE_PGM_RSRC2:TGID_Z_EN: 0
; COMPUTE_PGM_RSRC2:TIDIG_COMP_CNT: 0
	.section	.text._ZN9rocsparseL35bsr2csr_block_per_row_33_256_kernelILj1024ELj64ELj32EdilEEv20rocsparse_direction_T4_S2_21rocsparse_index_base_PKT2_PKT3_PKS2_S2_S3_PS4_PS7_PS2_,"axG",@progbits,_ZN9rocsparseL35bsr2csr_block_per_row_33_256_kernelILj1024ELj64ELj32EdilEEv20rocsparse_direction_T4_S2_21rocsparse_index_base_PKT2_PKT3_PKS2_S2_S3_PS4_PS7_PS2_,comdat
	.globl	_ZN9rocsparseL35bsr2csr_block_per_row_33_256_kernelILj1024ELj64ELj32EdilEEv20rocsparse_direction_T4_S2_21rocsparse_index_base_PKT2_PKT3_PKS2_S2_S3_PS4_PS7_PS2_ ; -- Begin function _ZN9rocsparseL35bsr2csr_block_per_row_33_256_kernelILj1024ELj64ELj32EdilEEv20rocsparse_direction_T4_S2_21rocsparse_index_base_PKT2_PKT3_PKS2_S2_S3_PS4_PS7_PS2_
	.p2align	8
	.type	_ZN9rocsparseL35bsr2csr_block_per_row_33_256_kernelILj1024ELj64ELj32EdilEEv20rocsparse_direction_T4_S2_21rocsparse_index_base_PKT2_PKT3_PKS2_S2_S3_PS4_PS7_PS2_,@function
_ZN9rocsparseL35bsr2csr_block_per_row_33_256_kernelILj1024ELj64ELj32EdilEEv20rocsparse_direction_T4_S2_21rocsparse_index_base_PKT2_PKT3_PKS2_S2_S3_PS4_PS7_PS2_: ; @_ZN9rocsparseL35bsr2csr_block_per_row_33_256_kernelILj1024ELj64ELj32EdilEEv20rocsparse_direction_T4_S2_21rocsparse_index_base_PKT2_PKT3_PKS2_S2_S3_PS4_PS7_PS2_
; %bb.0:
	s_load_dwordx2 s[0:1], s[4:5], 0x28
	s_mov_b32 s7, 0
	s_clause 0x1
	s_load_dword s16, s[4:5], 0x40
	s_load_dwordx2 s[12:13], s[4:5], 0x50
	s_lshl_b64 s[2:3], s[6:7], 2
	v_or_b32_e32 v1, s6, v0
	s_waitcnt lgkmcnt(0)
	s_add_u32 s0, s0, s2
	s_addc_u32 s1, s1, s3
	s_load_dwordx2 s[2:3], s[0:1], 0x0
	s_mov_b32 s0, exec_lo
	v_cmpx_eq_u32_e32 0, v1
	s_cbranch_execz .LBB244_2
; %bb.1:
	v_mov_b32_e32 v1, 0
	v_mov_b32_e32 v2, s16
	global_store_dword v1, v2, s[12:13]
.LBB244_2:
	s_or_b32 exec_lo, exec_lo, s0
	s_clause 0x1
	s_load_dword s17, s[4:5], 0x18
	s_load_dwordx2 s[8:9], s[4:5], 0x38
	v_mov_b32_e32 v5, 0
	v_lshrrev_b32_e32 v4, 5, v0
	v_lshlrev_b32_e32 v1, 2, v4
	s_waitcnt lgkmcnt(0)
	s_sub_i32 s10, s2, s17
	s_sub_i32 s18, s3, s17
	s_mul_i32 s7, s8, s9
	s_mul_hi_u32 s1, s8, s8
	s_mul_i32 s15, s9, s6
	s_mul_hi_u32 s19, s8, s6
	s_mul_i32 s0, s8, s6
	s_add_i32 s6, s1, s7
	s_sub_i32 s22, s18, s10
	s_add_i32 s1, s19, s15
	s_add_i32 s15, s6, s7
	s_mul_i32 s19, s8, s22
	s_lshl_b64 s[6:7], s[0:1], 2
	v_cmp_gt_i64_e64 s0, s[8:9], v[4:5]
	s_mul_i32 s14, s8, s8
	s_add_i32 s20, s16, s19
	s_add_u32 s6, s12, s6
	s_mul_i32 s11, s14, s10
	s_addc_u32 s7, s13, s7
	s_and_saveexec_b32 s1, s0
	s_cbranch_execz .LBB244_4
; %bb.3:
	v_mul_lo_u32 v2, v4, s19
	v_add3_u32 v2, s20, s11, v2
	global_store_dword v1, v2, s[6:7] offset:4
.LBB244_4:
	s_or_b32 exec_lo, exec_lo, s1
	v_or_b32_e32 v6, 32, v4
	v_mov_b32_e32 v7, v5
	v_cmp_gt_i64_e64 s1, s[8:9], v[6:7]
	s_and_saveexec_b32 s12, s1
	s_cbranch_execz .LBB244_6
; %bb.5:
	v_mul_lo_u32 v2, v6, s19
	v_add3_u32 v2, s20, s11, v2
	global_store_dword v1, v2, s[6:7] offset:132
.LBB244_6:
	s_or_b32 exec_lo, exec_lo, s12
	s_cmp_lt_i32 s2, s3
	s_cbranch_scc0 .LBB244_17
; %bb.7:
	s_clause 0x2
	s_load_dwordx2 s[12:13], s[4:5], 0x30
	s_load_dwordx2 s[6:7], s[4:5], 0x48
	s_load_dword s11, s[4:5], 0x0
	v_and_b32_e32 v0, 31, v0
	v_mov_b32_e32 v1, 0
	s_mul_hi_u32 s23, s8, s10
	s_mul_i32 s24, s8, s10
	s_mul_i32 s25, s9, s10
	v_or_b32_e32 v2, 32, v0
	v_mov_b32_e32 v3, v1
	v_cmp_gt_i64_e64 s2, s[8:9], v[0:1]
	v_lshlrev_b32_e32 v9, 3, v4
	v_mad_u64_u32 v[11:12], null, v6, s22, s[24:25]
	v_cmp_gt_i64_e64 s3, s[8:9], v[2:3]
	v_mad_u64_u32 v[13:14], null, v4, s22, s[24:25]
	v_lshlrev_b32_e32 v5, 3, v0
	v_mov_b32_e32 v10, v1
	v_mov_b32_e32 v6, v1
	v_mul_lo_u32 v11, s8, v11
	s_waitcnt lgkmcnt(0)
	s_cmp_eq_u32 s11, 0
	v_mul_lo_u32 v13, s8, v13
	s_cselect_b32 vcc_lo, -1, 0
	s_ashr_i32 s11, s10, 31
	s_and_b32 s19, s0, s2
	s_and_b32 s20, s0, s3
	;; [unrolled: 1-line block ×4, first 2 shown]
	s_lshl_b64 s[2:3], s[10:11], 3
	s_mul_i32 s0, s8, s11
	s_add_u32 s2, s12, s2
	s_addc_u32 s3, s13, s3
	s_add_i32 s0, s23, s0
	s_load_dwordx2 s[12:13], s[4:5], 0x20
	s_add_i32 s25, s0, s25
	s_load_dwordx2 s[4:5], s[4:5], 0x58
	s_lshl_b64 s[22:23], s[24:25], 3
	s_mov_b32 s11, s8
	v_add_co_u32 v7, s0, s22, v9
	v_add_co_ci_u32_e64 v8, null, s23, 0, s0
	s_lshl_b64 s[14:15], s[14:15], 3
	v_add_co_u32 v3, s0, 0x100, v7
	v_add_co_ci_u32_e64 v4, null, 0, v8, s0
	v_add_co_u32 v12, s0, s22, v5
	v_add_co_ci_u32_e64 v16, null, s23, 0, s0
	v_mul_lo_u32 v14, s8, v4
	v_add_co_u32 v17, s0, 0x100, v12
	v_add_co_ci_u32_e64 v18, null, 0, v16, s0
	v_mul_lo_u32 v15, s9, v3
	v_mad_u64_u32 v[3:4], null, s8, v3, v[5:6]
	v_mul_lo_u32 v19, s8, v8
	v_mul_lo_u32 v20, s9, v7
	v_mad_u64_u32 v[5:6], null, s8, v7, v[5:6]
	v_mul_lo_u32 v18, s8, v18
	v_mul_lo_u32 v21, s9, v17
	v_mad_u64_u32 v[7:8], null, s8, v17, v[9:10]
	v_mul_lo_u32 v16, s8, v16
	v_mul_lo_u32 v17, s9, v12
	v_mad_u64_u32 v[9:10], null, s8, v12, v[9:10]
	v_mov_b32_e32 v12, v0
	v_add3_u32 v4, v15, v4, v14
	v_add3_u32 v6, v20, v6, v19
	;; [unrolled: 1-line block ×4, first 2 shown]
	s_branch .LBB244_9
.LBB244_8:                              ;   in Loop: Header=BB244_9 Depth=1
	s_or_b32 exec_lo, exec_lo, s24
	s_add_i32 s10, s10, 1
	v_add_co_u32 v1, s0, v1, 0
	s_add_u32 s2, s2, 8
	v_add_co_ci_u32_e64 v12, null, s11, v12, s0
	s_addc_u32 s3, s3, 0
	s_add_u32 s12, s12, s14
	s_addc_u32 s13, s13, s15
	s_cmp_ge_i32 s10, s18
	s_cbranch_scc1 .LBB244_17
.LBB244_9:                              ; =>This Inner Loop Header: Depth=1
	s_load_dwordx2 s[22:23], s[2:3], 0x0
	s_waitcnt lgkmcnt(0)
	s_sub_u32 s0, s22, s17
	s_subb_u32 s23, s23, 0
	s_mul_i32 s22, s0, s9
	s_mul_hi_u32 s24, s0, s8
	s_mul_i32 s23, s23, s8
	s_add_i32 s22, s24, s22
	s_mul_i32 s0, s0, s8
	s_add_i32 s23, s22, s23
	s_add_u32 s22, s0, s16
	s_addc_u32 s23, s23, 0
	s_and_saveexec_b32 s24, s19
	s_cbranch_execnz .LBB244_13
; %bb.10:                               ;   in Loop: Header=BB244_9 Depth=1
	s_or_b32 exec_lo, exec_lo, s24
	s_and_saveexec_b32 s24, s20
	s_cbranch_execnz .LBB244_14
.LBB244_11:                             ;   in Loop: Header=BB244_9 Depth=1
	s_or_b32 exec_lo, exec_lo, s24
	s_and_saveexec_b32 s24, s21
	s_cbranch_execnz .LBB244_15
.LBB244_12:                             ;   in Loop: Header=BB244_9 Depth=1
	s_or_b32 exec_lo, exec_lo, s24
	s_and_saveexec_b32 s24, s1
	s_cbranch_execz .LBB244_8
	s_branch .LBB244_16
.LBB244_13:                             ;   in Loop: Header=BB244_9 Depth=1
	v_add_co_u32 v14, s0, s12, v5
	v_add_co_ci_u32_e64 v15, null, s13, v6, s0
	v_add_co_u32 v16, s0, s12, v9
	v_add_co_ci_u32_e64 v17, null, s13, v10, s0
	v_cndmask_b32_e32 v14, v16, v14, vcc_lo
	v_add_co_u32 v16, s0, 0, v1
	v_cndmask_b32_e32 v15, v17, v15, vcc_lo
	v_add_co_ci_u32_e64 v17, null, v13, v12, s0
	v_add_co_u32 v18, s0, s22, v0
	global_load_dwordx2 v[14:15], v[14:15], off
	v_ashrrev_i64 v[16:17], 29, v[16:17]
	v_add_co_ci_u32_e64 v19, null, s23, 0, s0
	v_add_co_u32 v20, s0, s4, v16
	v_add_co_ci_u32_e64 v21, null, s5, v17, s0
	v_add_co_u32 v16, s0, s6, v16
	v_add_co_ci_u32_e64 v17, null, s7, v17, s0
	global_store_dwordx2 v[20:21], v[18:19], off
	s_waitcnt vmcnt(0)
	global_store_dwordx2 v[16:17], v[14:15], off
	s_or_b32 exec_lo, exec_lo, s24
	s_and_saveexec_b32 s24, s20
	s_cbranch_execz .LBB244_11
.LBB244_14:                             ;   in Loop: Header=BB244_9 Depth=1
	v_add_co_u32 v14, s0, s12, v5
	v_add_co_ci_u32_e64 v15, null, s13, v6, s0
	v_add_co_u32 v14, s0, 0x100, v14
	v_add_co_ci_u32_e64 v15, null, 0, v15, s0
	;; [unrolled: 2-line block ×3, first 2 shown]
	v_cndmask_b32_e32 v14, v16, v14, vcc_lo
	v_add_co_u32 v16, s0, 0, v1
	v_cndmask_b32_e32 v15, v17, v15, vcc_lo
	v_add_co_ci_u32_e64 v17, null, v13, v12, s0
	v_add_co_u32 v18, s0, s22, v2
	global_load_dwordx2 v[14:15], v[14:15], off
	v_add_nc_u32_e32 v17, 32, v17
	v_add_co_ci_u32_e64 v19, null, s23, 0, s0
	v_ashrrev_i64 v[16:17], 29, v[16:17]
	v_add_co_u32 v20, s0, s4, v16
	v_add_co_ci_u32_e64 v21, null, s5, v17, s0
	v_add_co_u32 v16, s0, s6, v16
	v_add_co_ci_u32_e64 v17, null, s7, v17, s0
	global_store_dwordx2 v[20:21], v[18:19], off
	s_waitcnt vmcnt(0)
	global_store_dwordx2 v[16:17], v[14:15], off
	s_or_b32 exec_lo, exec_lo, s24
	s_and_saveexec_b32 s24, s21
	s_cbranch_execz .LBB244_12
.LBB244_15:                             ;   in Loop: Header=BB244_9 Depth=1
	v_add_co_u32 v14, s0, s12, v9
	v_add_co_ci_u32_e64 v15, null, s13, v10, s0
	v_add_co_u32 v16, s0, s12, v3
	v_add_co_ci_u32_e64 v17, null, s13, v4, s0
	;; [unrolled: 2-line block ×3, first 2 shown]
	v_cndmask_b32_e32 v14, v14, v16, vcc_lo
	v_add_co_u32 v16, s0, 0, v1
	v_cndmask_b32_e32 v15, v15, v17, vcc_lo
	v_add_co_ci_u32_e64 v17, null, v11, v12, s0
	v_add_co_u32 v18, s0, s22, v0
	global_load_dwordx2 v[14:15], v[14:15], off
	v_ashrrev_i64 v[16:17], 29, v[16:17]
	v_add_co_ci_u32_e64 v19, null, s23, 0, s0
	v_add_co_u32 v20, s0, s4, v16
	v_add_co_ci_u32_e64 v21, null, s5, v17, s0
	v_add_co_u32 v16, s0, s6, v16
	v_add_co_ci_u32_e64 v17, null, s7, v17, s0
	global_store_dwordx2 v[20:21], v[18:19], off
	s_waitcnt vmcnt(0)
	global_store_dwordx2 v[16:17], v[14:15], off
	s_or_b32 exec_lo, exec_lo, s24
	s_and_saveexec_b32 s24, s1
	s_cbranch_execz .LBB244_8
.LBB244_16:                             ;   in Loop: Header=BB244_9 Depth=1
	v_add_co_u32 v14, s0, s12, v3
	v_add_co_ci_u32_e64 v15, null, s13, v4, s0
	v_add_co_u32 v16, s0, s12, v7
	v_add_co_ci_u32_e64 v17, null, s13, v8, s0
	v_cndmask_b32_e32 v14, v16, v14, vcc_lo
	v_add_co_u32 v16, s0, 0, v1
	v_cndmask_b32_e32 v15, v17, v15, vcc_lo
	v_add_co_ci_u32_e64 v17, null, v11, v12, s0
	v_add_co_u32 v18, s0, s22, v2
	global_load_dwordx2 v[14:15], v[14:15], off offset:256
	v_add_nc_u32_e32 v17, 32, v17
	v_add_co_ci_u32_e64 v19, null, s23, 0, s0
	v_ashrrev_i64 v[16:17], 29, v[16:17]
	v_add_co_u32 v20, s0, s4, v16
	v_add_co_ci_u32_e64 v21, null, s5, v17, s0
	v_add_co_u32 v16, s0, s6, v16
	v_add_co_ci_u32_e64 v17, null, s7, v17, s0
	global_store_dwordx2 v[20:21], v[18:19], off
	s_waitcnt vmcnt(0)
	global_store_dwordx2 v[16:17], v[14:15], off
	s_branch .LBB244_8
.LBB244_17:
	s_endpgm
	.section	.rodata,"a",@progbits
	.p2align	6, 0x0
	.amdhsa_kernel _ZN9rocsparseL35bsr2csr_block_per_row_33_256_kernelILj1024ELj64ELj32EdilEEv20rocsparse_direction_T4_S2_21rocsparse_index_base_PKT2_PKT3_PKS2_S2_S3_PS4_PS7_PS2_
		.amdhsa_group_segment_fixed_size 0
		.amdhsa_private_segment_fixed_size 0
		.amdhsa_kernarg_size 96
		.amdhsa_user_sgpr_count 6
		.amdhsa_user_sgpr_private_segment_buffer 1
		.amdhsa_user_sgpr_dispatch_ptr 0
		.amdhsa_user_sgpr_queue_ptr 0
		.amdhsa_user_sgpr_kernarg_segment_ptr 1
		.amdhsa_user_sgpr_dispatch_id 0
		.amdhsa_user_sgpr_flat_scratch_init 0
		.amdhsa_user_sgpr_private_segment_size 0
		.amdhsa_wavefront_size32 1
		.amdhsa_uses_dynamic_stack 0
		.amdhsa_system_sgpr_private_segment_wavefront_offset 0
		.amdhsa_system_sgpr_workgroup_id_x 1
		.amdhsa_system_sgpr_workgroup_id_y 0
		.amdhsa_system_sgpr_workgroup_id_z 0
		.amdhsa_system_sgpr_workgroup_info 0
		.amdhsa_system_vgpr_workitem_id 0
		.amdhsa_next_free_vgpr 22
		.amdhsa_next_free_sgpr 26
		.amdhsa_reserve_vcc 1
		.amdhsa_reserve_flat_scratch 0
		.amdhsa_float_round_mode_32 0
		.amdhsa_float_round_mode_16_64 0
		.amdhsa_float_denorm_mode_32 3
		.amdhsa_float_denorm_mode_16_64 3
		.amdhsa_dx10_clamp 1
		.amdhsa_ieee_mode 1
		.amdhsa_fp16_overflow 0
		.amdhsa_workgroup_processor_mode 1
		.amdhsa_memory_ordered 1
		.amdhsa_forward_progress 1
		.amdhsa_shared_vgpr_count 0
		.amdhsa_exception_fp_ieee_invalid_op 0
		.amdhsa_exception_fp_denorm_src 0
		.amdhsa_exception_fp_ieee_div_zero 0
		.amdhsa_exception_fp_ieee_overflow 0
		.amdhsa_exception_fp_ieee_underflow 0
		.amdhsa_exception_fp_ieee_inexact 0
		.amdhsa_exception_int_div_zero 0
	.end_amdhsa_kernel
	.section	.text._ZN9rocsparseL35bsr2csr_block_per_row_33_256_kernelILj1024ELj64ELj32EdilEEv20rocsparse_direction_T4_S2_21rocsparse_index_base_PKT2_PKT3_PKS2_S2_S3_PS4_PS7_PS2_,"axG",@progbits,_ZN9rocsparseL35bsr2csr_block_per_row_33_256_kernelILj1024ELj64ELj32EdilEEv20rocsparse_direction_T4_S2_21rocsparse_index_base_PKT2_PKT3_PKS2_S2_S3_PS4_PS7_PS2_,comdat
.Lfunc_end244:
	.size	_ZN9rocsparseL35bsr2csr_block_per_row_33_256_kernelILj1024ELj64ELj32EdilEEv20rocsparse_direction_T4_S2_21rocsparse_index_base_PKT2_PKT3_PKS2_S2_S3_PS4_PS7_PS2_, .Lfunc_end244-_ZN9rocsparseL35bsr2csr_block_per_row_33_256_kernelILj1024ELj64ELj32EdilEEv20rocsparse_direction_T4_S2_21rocsparse_index_base_PKT2_PKT3_PKS2_S2_S3_PS4_PS7_PS2_
                                        ; -- End function
	.set _ZN9rocsparseL35bsr2csr_block_per_row_33_256_kernelILj1024ELj64ELj32EdilEEv20rocsparse_direction_T4_S2_21rocsparse_index_base_PKT2_PKT3_PKS2_S2_S3_PS4_PS7_PS2_.num_vgpr, 22
	.set _ZN9rocsparseL35bsr2csr_block_per_row_33_256_kernelILj1024ELj64ELj32EdilEEv20rocsparse_direction_T4_S2_21rocsparse_index_base_PKT2_PKT3_PKS2_S2_S3_PS4_PS7_PS2_.num_agpr, 0
	.set _ZN9rocsparseL35bsr2csr_block_per_row_33_256_kernelILj1024ELj64ELj32EdilEEv20rocsparse_direction_T4_S2_21rocsparse_index_base_PKT2_PKT3_PKS2_S2_S3_PS4_PS7_PS2_.numbered_sgpr, 26
	.set _ZN9rocsparseL35bsr2csr_block_per_row_33_256_kernelILj1024ELj64ELj32EdilEEv20rocsparse_direction_T4_S2_21rocsparse_index_base_PKT2_PKT3_PKS2_S2_S3_PS4_PS7_PS2_.num_named_barrier, 0
	.set _ZN9rocsparseL35bsr2csr_block_per_row_33_256_kernelILj1024ELj64ELj32EdilEEv20rocsparse_direction_T4_S2_21rocsparse_index_base_PKT2_PKT3_PKS2_S2_S3_PS4_PS7_PS2_.private_seg_size, 0
	.set _ZN9rocsparseL35bsr2csr_block_per_row_33_256_kernelILj1024ELj64ELj32EdilEEv20rocsparse_direction_T4_S2_21rocsparse_index_base_PKT2_PKT3_PKS2_S2_S3_PS4_PS7_PS2_.uses_vcc, 1
	.set _ZN9rocsparseL35bsr2csr_block_per_row_33_256_kernelILj1024ELj64ELj32EdilEEv20rocsparse_direction_T4_S2_21rocsparse_index_base_PKT2_PKT3_PKS2_S2_S3_PS4_PS7_PS2_.uses_flat_scratch, 0
	.set _ZN9rocsparseL35bsr2csr_block_per_row_33_256_kernelILj1024ELj64ELj32EdilEEv20rocsparse_direction_T4_S2_21rocsparse_index_base_PKT2_PKT3_PKS2_S2_S3_PS4_PS7_PS2_.has_dyn_sized_stack, 0
	.set _ZN9rocsparseL35bsr2csr_block_per_row_33_256_kernelILj1024ELj64ELj32EdilEEv20rocsparse_direction_T4_S2_21rocsparse_index_base_PKT2_PKT3_PKS2_S2_S3_PS4_PS7_PS2_.has_recursion, 0
	.set _ZN9rocsparseL35bsr2csr_block_per_row_33_256_kernelILj1024ELj64ELj32EdilEEv20rocsparse_direction_T4_S2_21rocsparse_index_base_PKT2_PKT3_PKS2_S2_S3_PS4_PS7_PS2_.has_indirect_call, 0
	.section	.AMDGPU.csdata,"",@progbits
; Kernel info:
; codeLenInByte = 1516
; TotalNumSgprs: 28
; NumVgprs: 22
; ScratchSize: 0
; MemoryBound: 0
; FloatMode: 240
; IeeeMode: 1
; LDSByteSize: 0 bytes/workgroup (compile time only)
; SGPRBlocks: 0
; VGPRBlocks: 2
; NumSGPRsForWavesPerEU: 28
; NumVGPRsForWavesPerEU: 22
; Occupancy: 16
; WaveLimiterHint : 1
; COMPUTE_PGM_RSRC2:SCRATCH_EN: 0
; COMPUTE_PGM_RSRC2:USER_SGPR: 6
; COMPUTE_PGM_RSRC2:TRAP_HANDLER: 0
; COMPUTE_PGM_RSRC2:TGID_X_EN: 1
; COMPUTE_PGM_RSRC2:TGID_Y_EN: 0
; COMPUTE_PGM_RSRC2:TGID_Z_EN: 0
; COMPUTE_PGM_RSRC2:TIDIG_COMP_CNT: 0
	.section	.text._ZN9rocsparseL35bsr2csr_block_per_row_33_256_kernelILj1024ELj128ELj32EdilEEv20rocsparse_direction_T4_S2_21rocsparse_index_base_PKT2_PKT3_PKS2_S2_S3_PS4_PS7_PS2_,"axG",@progbits,_ZN9rocsparseL35bsr2csr_block_per_row_33_256_kernelILj1024ELj128ELj32EdilEEv20rocsparse_direction_T4_S2_21rocsparse_index_base_PKT2_PKT3_PKS2_S2_S3_PS4_PS7_PS2_,comdat
	.globl	_ZN9rocsparseL35bsr2csr_block_per_row_33_256_kernelILj1024ELj128ELj32EdilEEv20rocsparse_direction_T4_S2_21rocsparse_index_base_PKT2_PKT3_PKS2_S2_S3_PS4_PS7_PS2_ ; -- Begin function _ZN9rocsparseL35bsr2csr_block_per_row_33_256_kernelILj1024ELj128ELj32EdilEEv20rocsparse_direction_T4_S2_21rocsparse_index_base_PKT2_PKT3_PKS2_S2_S3_PS4_PS7_PS2_
	.p2align	8
	.type	_ZN9rocsparseL35bsr2csr_block_per_row_33_256_kernelILj1024ELj128ELj32EdilEEv20rocsparse_direction_T4_S2_21rocsparse_index_base_PKT2_PKT3_PKS2_S2_S3_PS4_PS7_PS2_,@function
_ZN9rocsparseL35bsr2csr_block_per_row_33_256_kernelILj1024ELj128ELj32EdilEEv20rocsparse_direction_T4_S2_21rocsparse_index_base_PKT2_PKT3_PKS2_S2_S3_PS4_PS7_PS2_: ; @_ZN9rocsparseL35bsr2csr_block_per_row_33_256_kernelILj1024ELj128ELj32EdilEEv20rocsparse_direction_T4_S2_21rocsparse_index_base_PKT2_PKT3_PKS2_S2_S3_PS4_PS7_PS2_
; %bb.0:
	s_load_dwordx2 s[0:1], s[4:5], 0x28
	s_mov_b32 s7, 0
	s_clause 0x1
	s_load_dword s22, s[4:5], 0x40
	s_load_dwordx2 s[2:3], s[4:5], 0x50
	s_lshl_b64 s[8:9], s[6:7], 2
	v_or_b32_e32 v1, s6, v0
	s_waitcnt lgkmcnt(0)
	s_add_u32 s0, s0, s8
	s_addc_u32 s1, s1, s9
	s_load_dwordx2 s[8:9], s[0:1], 0x0
	s_mov_b32 s0, exec_lo
	v_cmpx_eq_u32_e32 0, v1
	s_cbranch_execz .LBB245_2
; %bb.1:
	v_mov_b32_e32 v1, 0
	v_mov_b32_e32 v2, s22
	global_store_dword v1, v2, s[2:3]
.LBB245_2:
	s_or_b32 exec_lo, exec_lo, s0
	s_clause 0x1
	s_load_dword s23, s[4:5], 0x18
	s_load_dwordx2 s[10:11], s[4:5], 0x38
	v_mov_b32_e32 v9, 0
	v_lshrrev_b32_e32 v8, 5, v0
	v_lshlrev_b32_e32 v1, 2, v8
	s_waitcnt lgkmcnt(0)
	s_sub_i32 s12, s8, s23
	s_sub_i32 s24, s9, s23
	s_mul_i32 s7, s10, s11
	s_mul_hi_u32 s1, s10, s10
	s_mul_i32 s14, s11, s6
	s_mul_hi_u32 s15, s10, s6
	s_mul_i32 s0, s10, s6
	s_add_i32 s6, s1, s7
	s_sub_i32 s39, s24, s12
	s_add_i32 s1, s15, s14
	s_add_i32 s19, s6, s7
	s_mul_i32 s14, s10, s39
	s_lshl_b64 s[6:7], s[0:1], 2
	v_cmp_gt_i64_e64 s0, s[10:11], v[8:9]
	s_mul_i32 s18, s10, s10
	s_add_i32 s15, s22, s14
	s_add_u32 s6, s2, s6
	s_mul_i32 s13, s18, s12
	s_addc_u32 s7, s3, s7
	s_and_saveexec_b32 s1, s0
	s_cbranch_execz .LBB245_4
; %bb.3:
	v_mul_lo_u32 v2, v8, s14
	v_add3_u32 v2, s15, s13, v2
	global_store_dword v1, v2, s[6:7] offset:4
.LBB245_4:
	s_or_b32 exec_lo, exec_lo, s1
	v_or_b32_e32 v10, 32, v8
	v_mov_b32_e32 v11, v9
	v_cmp_gt_i64_e64 s3, s[10:11], v[10:11]
	s_and_saveexec_b32 s1, s3
	s_cbranch_execz .LBB245_6
; %bb.5:
	v_mul_lo_u32 v2, v10, s14
	v_add3_u32 v2, s15, s13, v2
	global_store_dword v1, v2, s[6:7] offset:132
.LBB245_6:
	s_or_b32 exec_lo, exec_lo, s1
	v_or_b32_e32 v11, 64, v8
	v_mov_b32_e32 v12, v9
	v_cmp_gt_i64_e64 s1, s[10:11], v[11:12]
	;; [unrolled: 11-line block ×3, first 2 shown]
	s_and_saveexec_b32 s16, s2
	s_cbranch_execz .LBB245_10
; %bb.9:
	v_mul_lo_u32 v2, v12, s14
	v_add3_u32 v2, s15, s13, v2
	global_store_dword v1, v2, s[6:7] offset:388
.LBB245_10:
	s_or_b32 exec_lo, exec_lo, s16
	s_cmp_lt_i32 s8, s9
	s_cbranch_scc0 .LBB245_45
; %bb.11:
	s_clause 0x2
	s_load_dwordx2 s[20:21], s[4:5], 0x30
	s_load_dwordx2 s[14:15], s[4:5], 0x48
	s_load_dword s13, s[4:5], 0x0
	v_and_b32_e32 v0, 31, v0
	v_mov_b32_e32 v1, 0
	s_mul_i32 s40, s10, s12
	v_lshlrev_b32_e32 v21, 3, v8
	v_mad_u64_u32 v[12:13], null, v12, s39, s[40:41]
	v_or_b32_e32 v2, 32, v0
	v_mov_b32_e32 v3, v1
	v_or_b32_e32 v4, 64, v0
	v_mov_b32_e32 v5, v1
	v_or_b32_e32 v6, 0x60, v0
	v_mov_b32_e32 v7, v1
	v_cmp_gt_i64_e64 s6, s[10:11], v[0:1]
	v_cmp_gt_i64_e64 s7, s[10:11], v[2:3]
	;; [unrolled: 1-line block ×3, first 2 shown]
	v_mad_u64_u32 v[9:10], null, v10, s39, s[40:41]
	v_cmp_gt_i64_e64 s9, s[10:11], v[6:7]
	v_mad_u64_u32 v[12:13], null, s10, v12, 0x60
	s_waitcnt lgkmcnt(0)
	s_cmp_eq_u32 s13, 0
	v_mad_u64_u32 v[13:14], null, v11, s39, s[40:41]
	s_cselect_b32 vcc_lo, -1, 0
	s_ashr_i32 s13, s12, 31
	s_and_b32 s27, s0, s8
	s_and_b32 s28, s0, s9
	;; [unrolled: 1-line block ×14, first 2 shown]
	s_lshl_b64 s[2:3], s[12:13], 3
	s_and_b32 s25, s0, s6
	s_and_b32 s26, s0, s7
	s_mul_hi_u32 s0, s10, s12
	s_mul_i32 s6, s10, s13
	s_add_u32 s2, s20, s2
	s_addc_u32 s3, s21, s3
	s_add_i32 s0, s0, s6
	s_mul_i32 s6, s11, s12
	v_mul_lo_u32 v26, s10, v9
	v_mad_u64_u32 v[9:10], null, v8, s39, s[40:41]
	s_add_i32 s41, s0, s6
	v_mul_lo_u32 v24, s10, v13
	s_lshl_b64 s[6:7], s[40:41], 3
	v_lshlrev_b32_e32 v13, 3, v0
	v_add_co_u32 v15, s0, s6, v21
	v_add_co_ci_u32_e64 v16, null, s7, 0, s0
	v_mul_lo_u32 v28, s10, v9
	v_add_co_u32 v7, s0, 0x300, v15
	v_add_co_ci_u32_e64 v8, null, 0, v16, s0
	v_add_co_u32 v9, s0, 0x200, v15
	v_add_co_ci_u32_e64 v10, null, 0, v16, s0
	v_add_co_u32 v11, s0, 0x100, v15
	v_mov_b32_e32 v23, v12
	v_add_co_ci_u32_e64 v12, null, 0, v16, s0
	v_add_co_u32 v35, s0, s6, v13
	v_add_co_ci_u32_e64 v36, null, s7, 0, s0
	v_mov_b32_e32 v14, v1
	v_mov_b32_e32 v22, v1
	v_add_co_u32 v17, s0, 0x300, v35
	v_add_co_ci_u32_e64 v18, null, 0, v36, s0
	v_mov_b32_e32 v25, v1
	v_mov_b32_e32 v27, v1
	;; [unrolled: 1-line block ×3, first 2 shown]
	v_mul_lo_u32 v1, s10, v8
	v_mul_lo_u32 v30, s11, v7
	v_mad_u64_u32 v[7:8], null, s10, v7, v[13:14]
	v_mul_lo_u32 v31, s10, v10
	v_mul_lo_u32 v32, s11, v9
	v_mad_u64_u32 v[9:10], null, s10, v9, v[13:14]
	;; [unrolled: 3-line block ×4, first 2 shown]
	v_mul_lo_u32 v40, s11, v17
	v_mad_u64_u32 v[15:16], null, s10, v17, v[21:22]
	v_add_co_u32 v17, s0, 0x200, v35
	s_clause 0x1
	s_load_dwordx2 s[16:17], s[4:5], 0x20
	s_load_dwordx2 s[4:5], s[4:5], 0x58
	v_mul_lo_u32 v39, s10, v18
	v_add_co_ci_u32_e64 v18, null, 0, v36, s0
	v_add_co_u32 v19, s0, 0x100, v35
	v_add_co_ci_u32_e64 v20, null, 0, v36, s0
	v_mul_lo_u32 v41, s10, v18
	v_mul_lo_u32 v42, s11, v17
	v_mad_u64_u32 v[17:18], null, s10, v17, v[21:22]
	v_mul_lo_u32 v43, s10, v20
	v_mul_lo_u32 v44, s11, v19
	v_mad_u64_u32 v[19:20], null, s10, v19, v[21:22]
	;; [unrolled: 3-line block ×3, first 2 shown]
	v_mov_b32_e32 v3, v0
	v_add3_u32 v8, v30, v8, v1
	v_add3_u32 v10, v32, v10, v31
	;; [unrolled: 1-line block ×8, first 2 shown]
	s_mov_b32 s13, s10
	s_lshl_b64 s[6:7], s[18:19], 3
	s_branch .LBB245_13
.LBB245_12:                             ;   in Loop: Header=BB245_13 Depth=1
	s_or_b32 exec_lo, exec_lo, s20
	v_add_co_u32 v5, s0, v5, 0
	v_add_co_ci_u32_e64 v23, null, s13, v23, s0
	v_add_co_u32 v25, s0, v25, 0
	v_add_co_ci_u32_e64 v24, null, s13, v24, s0
	v_add_co_u32 v27, s0, v27, 0
	s_add_i32 s12, s12, 1
	v_add_co_ci_u32_e64 v26, null, s13, v26, s0
	v_add_co_u32 v29, s0, v29, 0
	s_add_u32 s2, s2, 8
	v_add_co_ci_u32_e64 v28, null, s13, v28, s0
	s_addc_u32 s3, s3, 0
	s_add_u32 s16, s16, s6
	s_addc_u32 s17, s17, s7
	s_cmp_ge_i32 s12, s24
	s_cbranch_scc1 .LBB245_45
.LBB245_13:                             ; =>This Inner Loop Header: Depth=1
	s_load_dwordx2 s[18:19], s[2:3], 0x0
	s_waitcnt lgkmcnt(0)
	s_sub_u32 s0, s18, s23
	s_subb_u32 s19, s19, 0
	s_mul_i32 s18, s0, s11
	s_mul_hi_u32 s20, s0, s10
	s_mul_i32 s19, s19, s10
	s_add_i32 s18, s20, s18
	s_mul_i32 s0, s0, s10
	s_add_i32 s19, s18, s19
	s_add_u32 s18, s0, s22
	s_addc_u32 s19, s19, 0
	s_and_saveexec_b32 s20, s25
	s_cbranch_execnz .LBB245_29
; %bb.14:                               ;   in Loop: Header=BB245_13 Depth=1
	s_or_b32 exec_lo, exec_lo, s20
	s_and_saveexec_b32 s20, s26
	s_cbranch_execnz .LBB245_30
.LBB245_15:                             ;   in Loop: Header=BB245_13 Depth=1
	s_or_b32 exec_lo, exec_lo, s20
	s_and_saveexec_b32 s20, s27
	s_cbranch_execnz .LBB245_31
.LBB245_16:                             ;   in Loop: Header=BB245_13 Depth=1
	s_or_b32 exec_lo, exec_lo, s20
	s_and_saveexec_b32 s20, s28
	s_cbranch_execnz .LBB245_32
.LBB245_17:                             ;   in Loop: Header=BB245_13 Depth=1
	s_or_b32 exec_lo, exec_lo, s20
	s_and_saveexec_b32 s20, s29
	s_cbranch_execnz .LBB245_33
.LBB245_18:                             ;   in Loop: Header=BB245_13 Depth=1
	s_or_b32 exec_lo, exec_lo, s20
	s_and_saveexec_b32 s20, s30
	s_cbranch_execnz .LBB245_34
.LBB245_19:                             ;   in Loop: Header=BB245_13 Depth=1
	s_or_b32 exec_lo, exec_lo, s20
	s_and_saveexec_b32 s20, s31
	s_cbranch_execnz .LBB245_35
.LBB245_20:                             ;   in Loop: Header=BB245_13 Depth=1
	s_or_b32 exec_lo, exec_lo, s20
	s_and_saveexec_b32 s20, s33
	s_cbranch_execnz .LBB245_36
.LBB245_21:                             ;   in Loop: Header=BB245_13 Depth=1
	s_or_b32 exec_lo, exec_lo, s20
	s_and_saveexec_b32 s20, s34
	s_cbranch_execnz .LBB245_37
.LBB245_22:                             ;   in Loop: Header=BB245_13 Depth=1
	s_or_b32 exec_lo, exec_lo, s20
	s_and_saveexec_b32 s20, s35
	s_cbranch_execnz .LBB245_38
.LBB245_23:                             ;   in Loop: Header=BB245_13 Depth=1
	s_or_b32 exec_lo, exec_lo, s20
	s_and_saveexec_b32 s20, s36
	s_cbranch_execnz .LBB245_39
.LBB245_24:                             ;   in Loop: Header=BB245_13 Depth=1
	s_or_b32 exec_lo, exec_lo, s20
	s_and_saveexec_b32 s20, s1
	s_cbranch_execnz .LBB245_40
.LBB245_25:                             ;   in Loop: Header=BB245_13 Depth=1
	s_or_b32 exec_lo, exec_lo, s20
	s_and_saveexec_b32 s20, s37
	s_cbranch_execnz .LBB245_41
.LBB245_26:                             ;   in Loop: Header=BB245_13 Depth=1
	s_or_b32 exec_lo, exec_lo, s20
	s_and_saveexec_b32 s20, s38
	s_cbranch_execnz .LBB245_42
.LBB245_27:                             ;   in Loop: Header=BB245_13 Depth=1
	s_or_b32 exec_lo, exec_lo, s20
	s_and_saveexec_b32 s20, s8
	s_cbranch_execnz .LBB245_43
.LBB245_28:                             ;   in Loop: Header=BB245_13 Depth=1
	s_or_b32 exec_lo, exec_lo, s20
	s_and_saveexec_b32 s20, s9
	s_cbranch_execz .LBB245_12
	s_branch .LBB245_44
.LBB245_29:                             ;   in Loop: Header=BB245_13 Depth=1
	v_add_co_u32 v1, s0, s16, v13
	v_add_co_ci_u32_e64 v30, null, s17, v14, s0
	v_add_co_u32 v32, s0, s16, v21
	v_add_co_ci_u32_e64 v31, null, s17, v22, s0
	v_cndmask_b32_e32 v31, v31, v30, vcc_lo
	v_cndmask_b32_e32 v30, v32, v1, vcc_lo
	v_add_co_u32 v32, s0, 0, v29
	v_add_co_ci_u32_e64 v33, null, v3, v28, s0
	global_load_dwordx2 v[30:31], v[30:31], off
	v_add_co_u32 v34, s0, s18, v0
	v_ashrrev_i64 v[32:33], 29, v[32:33]
	v_add_co_ci_u32_e64 v35, null, s19, 0, s0
	v_add_co_u32 v36, s0, s4, v32
	v_add_co_ci_u32_e64 v37, null, s5, v33, s0
	v_add_co_u32 v32, s0, s14, v32
	v_add_co_ci_u32_e64 v33, null, s15, v33, s0
	global_store_dwordx2 v[36:37], v[34:35], off
	s_waitcnt vmcnt(0)
	global_store_dwordx2 v[32:33], v[30:31], off
	s_or_b32 exec_lo, exec_lo, s20
	s_and_saveexec_b32 s20, s26
	s_cbranch_execz .LBB245_15
.LBB245_30:                             ;   in Loop: Header=BB245_13 Depth=1
	v_add_co_u32 v1, s0, s16, v13
	v_add_co_ci_u32_e64 v30, null, s17, v14, s0
	v_add_co_u32 v1, s0, 0x100, v1
	v_add_co_ci_u32_e64 v30, null, 0, v30, s0
	v_add_co_u32 v32, s0, s16, v19
	v_add_co_ci_u32_e64 v31, null, s17, v20, s0
	v_cndmask_b32_e32 v31, v31, v30, vcc_lo
	v_cndmask_b32_e32 v30, v32, v1, vcc_lo
	v_add_co_u32 v32, s0, 0, v29
	v_add_co_ci_u32_e64 v1, null, v3, v28, s0
	global_load_dwordx2 v[30:31], v[30:31], off
	v_add_co_u32 v34, s0, s18, v2
	v_add_nc_u32_e32 v33, 32, v1
	v_add_co_ci_u32_e64 v35, null, s19, 0, s0
	v_ashrrev_i64 v[32:33], 29, v[32:33]
	v_add_co_u32 v36, s0, s4, v32
	v_add_co_ci_u32_e64 v37, null, s5, v33, s0
	v_add_co_u32 v32, s0, s14, v32
	v_add_co_ci_u32_e64 v33, null, s15, v33, s0
	global_store_dwordx2 v[36:37], v[34:35], off
	s_waitcnt vmcnt(0)
	global_store_dwordx2 v[32:33], v[30:31], off
	s_or_b32 exec_lo, exec_lo, s20
	s_and_saveexec_b32 s20, s27
	s_cbranch_execz .LBB245_16
.LBB245_31:                             ;   in Loop: Header=BB245_13 Depth=1
	v_add_co_u32 v1, s0, s16, v13
	v_add_co_ci_u32_e64 v30, null, s17, v14, s0
	v_add_co_u32 v1, s0, 0x200, v1
	v_add_co_ci_u32_e64 v30, null, 0, v30, s0
	;; [unrolled: 2-line block ×3, first 2 shown]
	v_cndmask_b32_e32 v31, v31, v30, vcc_lo
	v_cndmask_b32_e32 v30, v32, v1, vcc_lo
	v_add_co_u32 v32, s0, 0, v29
	v_add_co_ci_u32_e64 v1, null, v3, v28, s0
	global_load_dwordx2 v[30:31], v[30:31], off
	v_add_co_u32 v34, s0, s18, v4
	v_add_nc_u32_e32 v33, 64, v1
	v_add_co_ci_u32_e64 v35, null, s19, 0, s0
	v_ashrrev_i64 v[32:33], 29, v[32:33]
	v_add_co_u32 v36, s0, s4, v32
	v_add_co_ci_u32_e64 v37, null, s5, v33, s0
	v_add_co_u32 v32, s0, s14, v32
	v_add_co_ci_u32_e64 v33, null, s15, v33, s0
	global_store_dwordx2 v[36:37], v[34:35], off
	s_waitcnt vmcnt(0)
	global_store_dwordx2 v[32:33], v[30:31], off
	s_or_b32 exec_lo, exec_lo, s20
	s_and_saveexec_b32 s20, s28
	s_cbranch_execz .LBB245_17
.LBB245_32:                             ;   in Loop: Header=BB245_13 Depth=1
	v_add_co_u32 v1, s0, s16, v13
	v_add_co_ci_u32_e64 v30, null, s17, v14, s0
	v_add_co_u32 v1, s0, 0x300, v1
	v_add_co_ci_u32_e64 v30, null, 0, v30, s0
	;; [unrolled: 2-line block ×3, first 2 shown]
	v_cndmask_b32_e32 v31, v31, v30, vcc_lo
	v_cndmask_b32_e32 v30, v32, v1, vcc_lo
	v_add_co_u32 v32, s0, 0, v29
	v_add_co_ci_u32_e64 v1, null, v3, v28, s0
	global_load_dwordx2 v[30:31], v[30:31], off
	v_add_co_u32 v34, s0, s18, v6
	v_add_nc_u32_e32 v33, 0x60, v1
	v_add_co_ci_u32_e64 v35, null, s19, 0, s0
	v_ashrrev_i64 v[32:33], 29, v[32:33]
	v_add_co_u32 v36, s0, s4, v32
	v_add_co_ci_u32_e64 v37, null, s5, v33, s0
	v_add_co_u32 v32, s0, s14, v32
	v_add_co_ci_u32_e64 v33, null, s15, v33, s0
	global_store_dwordx2 v[36:37], v[34:35], off
	s_waitcnt vmcnt(0)
	global_store_dwordx2 v[32:33], v[30:31], off
	s_or_b32 exec_lo, exec_lo, s20
	s_and_saveexec_b32 s20, s29
	s_cbranch_execz .LBB245_18
.LBB245_33:                             ;   in Loop: Header=BB245_13 Depth=1
	v_add_co_u32 v1, s0, s16, v21
	v_add_co_ci_u32_e64 v30, null, s17, v22, s0
	v_add_co_u32 v32, s0, s16, v11
	v_add_co_ci_u32_e64 v31, null, s17, v12, s0
	;; [unrolled: 2-line block ×3, first 2 shown]
	v_cndmask_b32_e32 v31, v30, v31, vcc_lo
	v_cndmask_b32_e32 v30, v1, v32, vcc_lo
	v_add_co_u32 v32, s0, 0, v27
	v_add_co_ci_u32_e64 v33, null, v3, v26, s0
	global_load_dwordx2 v[30:31], v[30:31], off
	v_add_co_u32 v34, s0, s18, v0
	v_ashrrev_i64 v[32:33], 29, v[32:33]
	v_add_co_ci_u32_e64 v35, null, s19, 0, s0
	v_add_co_u32 v36, s0, s4, v32
	v_add_co_ci_u32_e64 v37, null, s5, v33, s0
	v_add_co_u32 v32, s0, s14, v32
	v_add_co_ci_u32_e64 v33, null, s15, v33, s0
	global_store_dwordx2 v[36:37], v[34:35], off
	s_waitcnt vmcnt(0)
	global_store_dwordx2 v[32:33], v[30:31], off
	s_or_b32 exec_lo, exec_lo, s20
	s_and_saveexec_b32 s20, s30
	s_cbranch_execz .LBB245_19
.LBB245_34:                             ;   in Loop: Header=BB245_13 Depth=1
	v_add_co_u32 v1, s0, s16, v11
	v_add_co_ci_u32_e64 v30, null, s17, v12, s0
	v_add_co_u32 v32, s0, s16, v19
	v_add_co_ci_u32_e64 v31, null, s17, v20, s0
	v_cndmask_b32_e32 v31, v31, v30, vcc_lo
	v_cndmask_b32_e32 v30, v32, v1, vcc_lo
	v_add_co_u32 v32, s0, 0, v27
	v_add_co_ci_u32_e64 v1, null, v3, v26, s0
	global_load_dwordx2 v[30:31], v[30:31], off offset:256
	v_add_co_u32 v34, s0, s18, v2
	v_add_nc_u32_e32 v33, 32, v1
	v_add_co_ci_u32_e64 v35, null, s19, 0, s0
	v_ashrrev_i64 v[32:33], 29, v[32:33]
	v_add_co_u32 v36, s0, s4, v32
	v_add_co_ci_u32_e64 v37, null, s5, v33, s0
	v_add_co_u32 v32, s0, s14, v32
	v_add_co_ci_u32_e64 v33, null, s15, v33, s0
	global_store_dwordx2 v[36:37], v[34:35], off
	s_waitcnt vmcnt(0)
	global_store_dwordx2 v[32:33], v[30:31], off
	s_or_b32 exec_lo, exec_lo, s20
	s_and_saveexec_b32 s20, s31
	s_cbranch_execz .LBB245_20
.LBB245_35:                             ;   in Loop: Header=BB245_13 Depth=1
	v_add_co_u32 v1, s0, s16, v11
	v_add_co_ci_u32_e64 v30, null, s17, v12, s0
	v_add_co_u32 v31, s0, s16, v17
	v_add_co_ci_u32_e64 v32, null, s17, v18, s0
	;; [unrolled: 2-line block ×4, first 2 shown]
	v_add_co_u32 v32, s0, 0, v27
	v_cndmask_b32_e32 v31, v31, v30, vcc_lo
	v_cndmask_b32_e32 v30, v33, v1, vcc_lo
	v_add_co_ci_u32_e64 v1, null, v3, v26, s0
	v_add_co_u32 v34, s0, s18, v4
	global_load_dwordx2 v[30:31], v[30:31], off
	v_add_nc_u32_e32 v33, 64, v1
	v_add_co_ci_u32_e64 v35, null, s19, 0, s0
	v_ashrrev_i64 v[32:33], 29, v[32:33]
	v_add_co_u32 v36, s0, s4, v32
	v_add_co_ci_u32_e64 v37, null, s5, v33, s0
	v_add_co_u32 v32, s0, s14, v32
	v_add_co_ci_u32_e64 v33, null, s15, v33, s0
	global_store_dwordx2 v[36:37], v[34:35], off
	s_waitcnt vmcnt(0)
	global_store_dwordx2 v[32:33], v[30:31], off
	s_or_b32 exec_lo, exec_lo, s20
	s_and_saveexec_b32 s20, s33
	s_cbranch_execz .LBB245_21
.LBB245_36:                             ;   in Loop: Header=BB245_13 Depth=1
	v_add_co_u32 v1, s0, s16, v11
	v_add_co_ci_u32_e64 v30, null, s17, v12, s0
	v_add_co_u32 v31, s0, s16, v15
	v_add_co_ci_u32_e64 v32, null, s17, v16, s0
	;; [unrolled: 2-line block ×4, first 2 shown]
	v_add_co_u32 v32, s0, 0, v27
	v_cndmask_b32_e32 v31, v31, v30, vcc_lo
	v_cndmask_b32_e32 v30, v33, v1, vcc_lo
	v_add_co_ci_u32_e64 v1, null, v3, v26, s0
	v_add_co_u32 v34, s0, s18, v6
	global_load_dwordx2 v[30:31], v[30:31], off
	v_add_nc_u32_e32 v33, 0x60, v1
	v_add_co_ci_u32_e64 v35, null, s19, 0, s0
	v_ashrrev_i64 v[32:33], 29, v[32:33]
	v_add_co_u32 v36, s0, s4, v32
	v_add_co_ci_u32_e64 v37, null, s5, v33, s0
	v_add_co_u32 v32, s0, s14, v32
	v_add_co_ci_u32_e64 v33, null, s15, v33, s0
	global_store_dwordx2 v[36:37], v[34:35], off
	s_waitcnt vmcnt(0)
	global_store_dwordx2 v[32:33], v[30:31], off
	s_or_b32 exec_lo, exec_lo, s20
	s_and_saveexec_b32 s20, s34
	s_cbranch_execz .LBB245_22
.LBB245_37:                             ;   in Loop: Header=BB245_13 Depth=1
	v_add_co_u32 v1, s0, s16, v21
	v_add_co_ci_u32_e64 v30, null, s17, v22, s0
	v_add_co_u32 v32, s0, s16, v9
	v_add_co_ci_u32_e64 v31, null, s17, v10, s0
	;; [unrolled: 2-line block ×3, first 2 shown]
	v_cndmask_b32_e32 v31, v30, v31, vcc_lo
	v_cndmask_b32_e32 v30, v1, v32, vcc_lo
	v_add_co_u32 v32, s0, 0, v25
	v_add_co_ci_u32_e64 v33, null, v3, v24, s0
	global_load_dwordx2 v[30:31], v[30:31], off
	v_add_co_u32 v34, s0, s18, v0
	v_ashrrev_i64 v[32:33], 29, v[32:33]
	v_add_co_ci_u32_e64 v35, null, s19, 0, s0
	v_add_co_u32 v36, s0, s4, v32
	v_add_co_ci_u32_e64 v37, null, s5, v33, s0
	v_add_co_u32 v32, s0, s14, v32
	v_add_co_ci_u32_e64 v33, null, s15, v33, s0
	global_store_dwordx2 v[36:37], v[34:35], off
	s_waitcnt vmcnt(0)
	global_store_dwordx2 v[32:33], v[30:31], off
	s_or_b32 exec_lo, exec_lo, s20
	s_and_saveexec_b32 s20, s35
	s_cbranch_execz .LBB245_23
.LBB245_38:                             ;   in Loop: Header=BB245_13 Depth=1
	v_add_co_u32 v1, s0, s16, v9
	v_add_co_ci_u32_e64 v30, null, s17, v10, s0
	v_add_co_u32 v31, s0, s16, v19
	v_add_co_ci_u32_e64 v32, null, s17, v20, s0
	;; [unrolled: 2-line block ×4, first 2 shown]
	v_add_co_u32 v32, s0, 0, v25
	v_cndmask_b32_e32 v31, v31, v30, vcc_lo
	v_cndmask_b32_e32 v30, v33, v1, vcc_lo
	v_add_co_ci_u32_e64 v1, null, v3, v24, s0
	v_add_co_u32 v34, s0, s18, v2
	global_load_dwordx2 v[30:31], v[30:31], off
	v_add_nc_u32_e32 v33, 32, v1
	v_add_co_ci_u32_e64 v35, null, s19, 0, s0
	v_ashrrev_i64 v[32:33], 29, v[32:33]
	v_add_co_u32 v36, s0, s4, v32
	v_add_co_ci_u32_e64 v37, null, s5, v33, s0
	v_add_co_u32 v32, s0, s14, v32
	v_add_co_ci_u32_e64 v33, null, s15, v33, s0
	global_store_dwordx2 v[36:37], v[34:35], off
	s_waitcnt vmcnt(0)
	global_store_dwordx2 v[32:33], v[30:31], off
	s_or_b32 exec_lo, exec_lo, s20
	s_and_saveexec_b32 s20, s36
	s_cbranch_execz .LBB245_24
.LBB245_39:                             ;   in Loop: Header=BB245_13 Depth=1
	v_add_co_u32 v1, s0, s16, v9
	v_add_co_ci_u32_e64 v30, null, s17, v10, s0
	v_add_co_u32 v32, s0, s16, v17
	v_add_co_ci_u32_e64 v31, null, s17, v18, s0
	v_cndmask_b32_e32 v31, v31, v30, vcc_lo
	v_cndmask_b32_e32 v30, v32, v1, vcc_lo
	v_add_co_u32 v32, s0, 0, v25
	v_add_co_ci_u32_e64 v1, null, v3, v24, s0
	global_load_dwordx2 v[30:31], v[30:31], off offset:512
	v_add_co_u32 v34, s0, s18, v4
	v_add_nc_u32_e32 v33, 64, v1
	v_add_co_ci_u32_e64 v35, null, s19, 0, s0
	v_ashrrev_i64 v[32:33], 29, v[32:33]
	v_add_co_u32 v36, s0, s4, v32
	v_add_co_ci_u32_e64 v37, null, s5, v33, s0
	v_add_co_u32 v32, s0, s14, v32
	v_add_co_ci_u32_e64 v33, null, s15, v33, s0
	global_store_dwordx2 v[36:37], v[34:35], off
	s_waitcnt vmcnt(0)
	global_store_dwordx2 v[32:33], v[30:31], off
	s_or_b32 exec_lo, exec_lo, s20
	s_and_saveexec_b32 s20, s1
	s_cbranch_execz .LBB245_25
.LBB245_40:                             ;   in Loop: Header=BB245_13 Depth=1
	v_add_co_u32 v1, s0, s16, v9
	v_add_co_ci_u32_e64 v30, null, s17, v10, s0
	v_add_co_u32 v31, s0, s16, v15
	v_add_co_ci_u32_e64 v32, null, s17, v16, s0
	;; [unrolled: 2-line block ×4, first 2 shown]
	v_add_co_u32 v32, s0, 0, v25
	v_cndmask_b32_e32 v31, v31, v30, vcc_lo
	v_cndmask_b32_e32 v30, v33, v1, vcc_lo
	v_add_co_ci_u32_e64 v1, null, v3, v24, s0
	v_add_co_u32 v34, s0, s18, v6
	global_load_dwordx2 v[30:31], v[30:31], off
	v_add_nc_u32_e32 v33, 0x60, v1
	v_add_co_ci_u32_e64 v35, null, s19, 0, s0
	v_ashrrev_i64 v[32:33], 29, v[32:33]
	v_add_co_u32 v36, s0, s4, v32
	v_add_co_ci_u32_e64 v37, null, s5, v33, s0
	v_add_co_u32 v32, s0, s14, v32
	v_add_co_ci_u32_e64 v33, null, s15, v33, s0
	global_store_dwordx2 v[36:37], v[34:35], off
	s_waitcnt vmcnt(0)
	global_store_dwordx2 v[32:33], v[30:31], off
	s_or_b32 exec_lo, exec_lo, s20
	s_and_saveexec_b32 s20, s37
	s_cbranch_execz .LBB245_26
.LBB245_41:                             ;   in Loop: Header=BB245_13 Depth=1
	v_add_co_u32 v1, s0, s16, v21
	v_add_co_ci_u32_e64 v30, null, s17, v22, s0
	v_add_co_u32 v32, s0, s16, v7
	v_add_co_ci_u32_e64 v31, null, s17, v8, s0
	;; [unrolled: 2-line block ×3, first 2 shown]
	v_cndmask_b32_e32 v31, v30, v31, vcc_lo
	v_cndmask_b32_e32 v30, v1, v32, vcc_lo
	v_add_co_u32 v32, s0, 0, v5
	v_add_co_ci_u32_e64 v1, null, v3, v23, s0
	global_load_dwordx2 v[30:31], v[30:31], off
	v_add_co_u32 v34, s0, s18, v0
	v_add_nc_u32_e32 v33, 0xffffffa0, v1
	v_add_co_ci_u32_e64 v35, null, s19, 0, s0
	v_ashrrev_i64 v[32:33], 29, v[32:33]
	v_add_co_u32 v36, s0, s4, v32
	v_add_co_ci_u32_e64 v37, null, s5, v33, s0
	v_add_co_u32 v32, s0, s14, v32
	v_add_co_ci_u32_e64 v33, null, s15, v33, s0
	global_store_dwordx2 v[36:37], v[34:35], off
	s_waitcnt vmcnt(0)
	global_store_dwordx2 v[32:33], v[30:31], off
	s_or_b32 exec_lo, exec_lo, s20
	s_and_saveexec_b32 s20, s38
	s_cbranch_execz .LBB245_27
.LBB245_42:                             ;   in Loop: Header=BB245_13 Depth=1
	v_add_co_u32 v1, s0, s16, v7
	v_add_co_ci_u32_e64 v30, null, s17, v8, s0
	v_add_co_u32 v31, s0, s16, v19
	v_add_co_ci_u32_e64 v32, null, s17, v20, s0
	;; [unrolled: 2-line block ×4, first 2 shown]
	v_add_co_u32 v32, s0, 0, v5
	v_cndmask_b32_e32 v31, v31, v30, vcc_lo
	v_cndmask_b32_e32 v30, v33, v1, vcc_lo
	v_add_co_ci_u32_e64 v1, null, v3, v23, s0
	v_add_co_u32 v34, s0, s18, v2
	global_load_dwordx2 v[30:31], v[30:31], off
	v_subrev_nc_u32_e32 v33, 64, v1
	v_add_co_ci_u32_e64 v35, null, s19, 0, s0
	v_ashrrev_i64 v[32:33], 29, v[32:33]
	v_add_co_u32 v36, s0, s4, v32
	v_add_co_ci_u32_e64 v37, null, s5, v33, s0
	v_add_co_u32 v32, s0, s14, v32
	v_add_co_ci_u32_e64 v33, null, s15, v33, s0
	global_store_dwordx2 v[36:37], v[34:35], off
	s_waitcnt vmcnt(0)
	global_store_dwordx2 v[32:33], v[30:31], off
	s_or_b32 exec_lo, exec_lo, s20
	s_and_saveexec_b32 s20, s8
	s_cbranch_execz .LBB245_28
.LBB245_43:                             ;   in Loop: Header=BB245_13 Depth=1
	v_add_co_u32 v1, s0, s16, v7
	v_add_co_ci_u32_e64 v30, null, s17, v8, s0
	v_add_co_u32 v31, s0, s16, v17
	v_add_co_ci_u32_e64 v32, null, s17, v18, s0
	;; [unrolled: 2-line block ×4, first 2 shown]
	v_add_co_u32 v32, s0, 0, v5
	v_cndmask_b32_e32 v31, v31, v30, vcc_lo
	v_cndmask_b32_e32 v30, v33, v1, vcc_lo
	v_add_co_ci_u32_e64 v1, null, v3, v23, s0
	v_add_co_u32 v34, s0, s18, v4
	global_load_dwordx2 v[30:31], v[30:31], off
	v_subrev_nc_u32_e32 v33, 32, v1
	v_add_co_ci_u32_e64 v35, null, s19, 0, s0
	v_ashrrev_i64 v[32:33], 29, v[32:33]
	v_add_co_u32 v36, s0, s4, v32
	v_add_co_ci_u32_e64 v37, null, s5, v33, s0
	v_add_co_u32 v32, s0, s14, v32
	v_add_co_ci_u32_e64 v33, null, s15, v33, s0
	global_store_dwordx2 v[36:37], v[34:35], off
	s_waitcnt vmcnt(0)
	global_store_dwordx2 v[32:33], v[30:31], off
	s_or_b32 exec_lo, exec_lo, s20
	s_and_saveexec_b32 s20, s9
	s_cbranch_execz .LBB245_12
.LBB245_44:                             ;   in Loop: Header=BB245_13 Depth=1
	v_add_co_u32 v1, s0, s16, v7
	v_add_co_ci_u32_e64 v30, null, s17, v8, s0
	v_add_co_u32 v32, s0, s16, v15
	v_add_co_ci_u32_e64 v31, null, s17, v16, s0
	v_cndmask_b32_e32 v31, v31, v30, vcc_lo
	v_cndmask_b32_e32 v30, v32, v1, vcc_lo
	v_add_co_u32 v32, s0, 0, v5
	v_add_co_ci_u32_e64 v33, null, v3, v23, s0
	global_load_dwordx2 v[30:31], v[30:31], off offset:768
	v_add_co_u32 v34, s0, s18, v6
	v_ashrrev_i64 v[32:33], 29, v[32:33]
	v_add_co_ci_u32_e64 v35, null, s19, 0, s0
	v_add_co_u32 v36, s0, s4, v32
	v_add_co_ci_u32_e64 v37, null, s5, v33, s0
	v_add_co_u32 v32, s0, s14, v32
	v_add_co_ci_u32_e64 v33, null, s15, v33, s0
	global_store_dwordx2 v[36:37], v[34:35], off
	s_waitcnt vmcnt(0)
	global_store_dwordx2 v[32:33], v[30:31], off
	s_branch .LBB245_12
.LBB245_45:
	s_endpgm
	.section	.rodata,"a",@progbits
	.p2align	6, 0x0
	.amdhsa_kernel _ZN9rocsparseL35bsr2csr_block_per_row_33_256_kernelILj1024ELj128ELj32EdilEEv20rocsparse_direction_T4_S2_21rocsparse_index_base_PKT2_PKT3_PKS2_S2_S3_PS4_PS7_PS2_
		.amdhsa_group_segment_fixed_size 0
		.amdhsa_private_segment_fixed_size 0
		.amdhsa_kernarg_size 96
		.amdhsa_user_sgpr_count 6
		.amdhsa_user_sgpr_private_segment_buffer 1
		.amdhsa_user_sgpr_dispatch_ptr 0
		.amdhsa_user_sgpr_queue_ptr 0
		.amdhsa_user_sgpr_kernarg_segment_ptr 1
		.amdhsa_user_sgpr_dispatch_id 0
		.amdhsa_user_sgpr_flat_scratch_init 0
		.amdhsa_user_sgpr_private_segment_size 0
		.amdhsa_wavefront_size32 1
		.amdhsa_uses_dynamic_stack 0
		.amdhsa_system_sgpr_private_segment_wavefront_offset 0
		.amdhsa_system_sgpr_workgroup_id_x 1
		.amdhsa_system_sgpr_workgroup_id_y 0
		.amdhsa_system_sgpr_workgroup_id_z 0
		.amdhsa_system_sgpr_workgroup_info 0
		.amdhsa_system_vgpr_workitem_id 0
		.amdhsa_next_free_vgpr 46
		.amdhsa_next_free_sgpr 42
		.amdhsa_reserve_vcc 1
		.amdhsa_reserve_flat_scratch 0
		.amdhsa_float_round_mode_32 0
		.amdhsa_float_round_mode_16_64 0
		.amdhsa_float_denorm_mode_32 3
		.amdhsa_float_denorm_mode_16_64 3
		.amdhsa_dx10_clamp 1
		.amdhsa_ieee_mode 1
		.amdhsa_fp16_overflow 0
		.amdhsa_workgroup_processor_mode 1
		.amdhsa_memory_ordered 1
		.amdhsa_forward_progress 1
		.amdhsa_shared_vgpr_count 0
		.amdhsa_exception_fp_ieee_invalid_op 0
		.amdhsa_exception_fp_denorm_src 0
		.amdhsa_exception_fp_ieee_div_zero 0
		.amdhsa_exception_fp_ieee_overflow 0
		.amdhsa_exception_fp_ieee_underflow 0
		.amdhsa_exception_fp_ieee_inexact 0
		.amdhsa_exception_int_div_zero 0
	.end_amdhsa_kernel
	.section	.text._ZN9rocsparseL35bsr2csr_block_per_row_33_256_kernelILj1024ELj128ELj32EdilEEv20rocsparse_direction_T4_S2_21rocsparse_index_base_PKT2_PKT3_PKS2_S2_S3_PS4_PS7_PS2_,"axG",@progbits,_ZN9rocsparseL35bsr2csr_block_per_row_33_256_kernelILj1024ELj128ELj32EdilEEv20rocsparse_direction_T4_S2_21rocsparse_index_base_PKT2_PKT3_PKS2_S2_S3_PS4_PS7_PS2_,comdat
.Lfunc_end245:
	.size	_ZN9rocsparseL35bsr2csr_block_per_row_33_256_kernelILj1024ELj128ELj32EdilEEv20rocsparse_direction_T4_S2_21rocsparse_index_base_PKT2_PKT3_PKS2_S2_S3_PS4_PS7_PS2_, .Lfunc_end245-_ZN9rocsparseL35bsr2csr_block_per_row_33_256_kernelILj1024ELj128ELj32EdilEEv20rocsparse_direction_T4_S2_21rocsparse_index_base_PKT2_PKT3_PKS2_S2_S3_PS4_PS7_PS2_
                                        ; -- End function
	.set _ZN9rocsparseL35bsr2csr_block_per_row_33_256_kernelILj1024ELj128ELj32EdilEEv20rocsparse_direction_T4_S2_21rocsparse_index_base_PKT2_PKT3_PKS2_S2_S3_PS4_PS7_PS2_.num_vgpr, 46
	.set _ZN9rocsparseL35bsr2csr_block_per_row_33_256_kernelILj1024ELj128ELj32EdilEEv20rocsparse_direction_T4_S2_21rocsparse_index_base_PKT2_PKT3_PKS2_S2_S3_PS4_PS7_PS2_.num_agpr, 0
	.set _ZN9rocsparseL35bsr2csr_block_per_row_33_256_kernelILj1024ELj128ELj32EdilEEv20rocsparse_direction_T4_S2_21rocsparse_index_base_PKT2_PKT3_PKS2_S2_S3_PS4_PS7_PS2_.numbered_sgpr, 42
	.set _ZN9rocsparseL35bsr2csr_block_per_row_33_256_kernelILj1024ELj128ELj32EdilEEv20rocsparse_direction_T4_S2_21rocsparse_index_base_PKT2_PKT3_PKS2_S2_S3_PS4_PS7_PS2_.num_named_barrier, 0
	.set _ZN9rocsparseL35bsr2csr_block_per_row_33_256_kernelILj1024ELj128ELj32EdilEEv20rocsparse_direction_T4_S2_21rocsparse_index_base_PKT2_PKT3_PKS2_S2_S3_PS4_PS7_PS2_.private_seg_size, 0
	.set _ZN9rocsparseL35bsr2csr_block_per_row_33_256_kernelILj1024ELj128ELj32EdilEEv20rocsparse_direction_T4_S2_21rocsparse_index_base_PKT2_PKT3_PKS2_S2_S3_PS4_PS7_PS2_.uses_vcc, 1
	.set _ZN9rocsparseL35bsr2csr_block_per_row_33_256_kernelILj1024ELj128ELj32EdilEEv20rocsparse_direction_T4_S2_21rocsparse_index_base_PKT2_PKT3_PKS2_S2_S3_PS4_PS7_PS2_.uses_flat_scratch, 0
	.set _ZN9rocsparseL35bsr2csr_block_per_row_33_256_kernelILj1024ELj128ELj32EdilEEv20rocsparse_direction_T4_S2_21rocsparse_index_base_PKT2_PKT3_PKS2_S2_S3_PS4_PS7_PS2_.has_dyn_sized_stack, 0
	.set _ZN9rocsparseL35bsr2csr_block_per_row_33_256_kernelILj1024ELj128ELj32EdilEEv20rocsparse_direction_T4_S2_21rocsparse_index_base_PKT2_PKT3_PKS2_S2_S3_PS4_PS7_PS2_.has_recursion, 0
	.set _ZN9rocsparseL35bsr2csr_block_per_row_33_256_kernelILj1024ELj128ELj32EdilEEv20rocsparse_direction_T4_S2_21rocsparse_index_base_PKT2_PKT3_PKS2_S2_S3_PS4_PS7_PS2_.has_indirect_call, 0
	.section	.AMDGPU.csdata,"",@progbits
; Kernel info:
; codeLenInByte = 4364
; TotalNumSgprs: 44
; NumVgprs: 46
; ScratchSize: 0
; MemoryBound: 0
; FloatMode: 240
; IeeeMode: 1
; LDSByteSize: 0 bytes/workgroup (compile time only)
; SGPRBlocks: 0
; VGPRBlocks: 5
; NumSGPRsForWavesPerEU: 44
; NumVGPRsForWavesPerEU: 46
; Occupancy: 16
; WaveLimiterHint : 1
; COMPUTE_PGM_RSRC2:SCRATCH_EN: 0
; COMPUTE_PGM_RSRC2:USER_SGPR: 6
; COMPUTE_PGM_RSRC2:TRAP_HANDLER: 0
; COMPUTE_PGM_RSRC2:TGID_X_EN: 1
; COMPUTE_PGM_RSRC2:TGID_Y_EN: 0
; COMPUTE_PGM_RSRC2:TGID_Z_EN: 0
; COMPUTE_PGM_RSRC2:TIDIG_COMP_CNT: 0
	.section	.text._ZN9rocsparseL35bsr2csr_block_per_row_33_256_kernelILj1024ELj256ELj32EdilEEv20rocsparse_direction_T4_S2_21rocsparse_index_base_PKT2_PKT3_PKS2_S2_S3_PS4_PS7_PS2_,"axG",@progbits,_ZN9rocsparseL35bsr2csr_block_per_row_33_256_kernelILj1024ELj256ELj32EdilEEv20rocsparse_direction_T4_S2_21rocsparse_index_base_PKT2_PKT3_PKS2_S2_S3_PS4_PS7_PS2_,comdat
	.globl	_ZN9rocsparseL35bsr2csr_block_per_row_33_256_kernelILj1024ELj256ELj32EdilEEv20rocsparse_direction_T4_S2_21rocsparse_index_base_PKT2_PKT3_PKS2_S2_S3_PS4_PS7_PS2_ ; -- Begin function _ZN9rocsparseL35bsr2csr_block_per_row_33_256_kernelILj1024ELj256ELj32EdilEEv20rocsparse_direction_T4_S2_21rocsparse_index_base_PKT2_PKT3_PKS2_S2_S3_PS4_PS7_PS2_
	.p2align	8
	.type	_ZN9rocsparseL35bsr2csr_block_per_row_33_256_kernelILj1024ELj256ELj32EdilEEv20rocsparse_direction_T4_S2_21rocsparse_index_base_PKT2_PKT3_PKS2_S2_S3_PS4_PS7_PS2_,@function
_ZN9rocsparseL35bsr2csr_block_per_row_33_256_kernelILj1024ELj256ELj32EdilEEv20rocsparse_direction_T4_S2_21rocsparse_index_base_PKT2_PKT3_PKS2_S2_S3_PS4_PS7_PS2_: ; @_ZN9rocsparseL35bsr2csr_block_per_row_33_256_kernelILj1024ELj256ELj32EdilEEv20rocsparse_direction_T4_S2_21rocsparse_index_base_PKT2_PKT3_PKS2_S2_S3_PS4_PS7_PS2_
; %bb.0:
	s_load_dwordx2 s[0:1], s[4:5], 0x28
	s_mov_b32 s7, 0
	s_clause 0x1
	s_load_dword s30, s[4:5], 0x40
	s_load_dwordx2 s[2:3], s[4:5], 0x50
	s_lshl_b64 s[8:9], s[6:7], 2
	v_or_b32_e32 v1, s6, v0
	s_waitcnt lgkmcnt(0)
	s_add_u32 s0, s0, s8
	s_addc_u32 s1, s1, s9
	s_load_dwordx2 s[10:11], s[0:1], 0x0
	s_mov_b32 s0, exec_lo
	v_cmpx_eq_u32_e32 0, v1
	s_cbranch_execz .LBB246_2
; %bb.1:
	v_mov_b32_e32 v1, 0
	v_mov_b32_e32 v2, s30
	global_store_dword v1, v2, s[2:3]
.LBB246_2:
	s_or_b32 exec_lo, exec_lo, s0
	s_clause 0x1
	s_load_dword s31, s[4:5], 0x18
	s_load_dwordx2 s[18:19], s[4:5], 0x38
	v_mov_b32_e32 v17, 0
	v_lshrrev_b32_e32 v16, 5, v0
	v_lshlrev_b32_e32 v1, 2, v16
	s_waitcnt lgkmcnt(0)
	s_sub_i32 s20, s10, s31
	s_sub_i32 s33, s11, s31
	s_mul_i32 s7, s18, s19
	s_mul_hi_u32 s1, s18, s18
	s_mul_i32 s8, s19, s6
	s_mul_hi_u32 s9, s18, s6
	s_mul_i32 s0, s18, s6
	s_add_i32 s6, s1, s7
	s_sub_i32 s88, s33, s20
	s_add_i32 s1, s9, s8
	s_add_i32 s27, s6, s7
	s_mul_i32 s15, s18, s88
	s_lshl_b64 s[6:7], s[0:1], 2
	v_cmp_gt_i64_e64 s0, s[18:19], v[16:17]
	s_mul_i32 s26, s18, s18
	s_add_i32 s16, s30, s15
	s_add_u32 s12, s2, s6
	s_mul_i32 s14, s26, s20
	s_addc_u32 s13, s3, s7
	s_and_saveexec_b32 s1, s0
	s_cbranch_execz .LBB246_4
; %bb.3:
	v_mul_lo_u32 v2, v16, s15
	v_add3_u32 v2, s16, s14, v2
	global_store_dword v1, v2, s[12:13] offset:4
.LBB246_4:
	s_or_b32 exec_lo, exec_lo, s1
	v_or_b32_e32 v18, 32, v16
	v_mov_b32_e32 v19, v17
	v_cmp_gt_i64_e64 s1, s[18:19], v[18:19]
	s_and_saveexec_b32 s2, s1
	s_cbranch_execz .LBB246_6
; %bb.5:
	v_mul_lo_u32 v2, v18, s15
	v_add3_u32 v2, s16, s14, v2
	global_store_dword v1, v2, s[12:13] offset:132
.LBB246_6:
	s_or_b32 exec_lo, exec_lo, s2
	v_or_b32_e32 v19, 64, v16
	v_mov_b32_e32 v20, v17
	v_cmp_gt_i64_e64 s2, s[18:19], v[19:20]
	;; [unrolled: 11-line block ×7, first 2 shown]
	s_and_saveexec_b32 s17, s9
	s_cbranch_execz .LBB246_18
; %bb.17:
	v_mul_lo_u32 v2, v24, s15
	v_add3_u32 v2, s16, s14, v2
	global_store_dword v1, v2, s[12:13] offset:900
.LBB246_18:
	s_or_b32 exec_lo, exec_lo, s17
	s_cmp_lt_i32 s10, s11
	s_cbranch_scc0 .LBB246_149
; %bb.19:
	s_load_dword s12, s[4:5], 0x0
	v_and_b32_e32 v0, 31, v0
	v_mov_b32_e32 v1, 0
	s_clause 0x2
	s_load_dwordx2 s[28:29], s[4:5], 0x30
	s_load_dwordx2 s[22:23], s[4:5], 0x48
	;; [unrolled: 1-line block ×3, first 2 shown]
	v_lshlrev_b32_e32 v45, 3, v16
	s_load_dwordx2 s[4:5], s[4:5], 0x58
	v_or_b32_e32 v2, 32, v0
	v_mov_b32_e32 v3, v1
	v_or_b32_e32 v4, 64, v0
	v_mov_b32_e32 v5, v1
	;; [unrolled: 2-line block ×7, first 2 shown]
	v_cmp_gt_i64_e64 s10, s[18:19], v[0:1]
	v_cmp_gt_i64_e64 s11, s[18:19], v[2:3]
	s_waitcnt lgkmcnt(0)
	s_cmp_eq_u32 s12, 0
	v_cmp_gt_i64_e64 s12, s[18:19], v[4:5]
	v_cmp_gt_i64_e64 s13, s[18:19], v[6:7]
	;; [unrolled: 1-line block ×6, first 2 shown]
	s_cselect_b32 vcc_lo, -1, 0
	s_and_b32 s65, s6, s10
	s_and_b32 s66, s6, s11
	;; [unrolled: 1-line block ×8, first 2 shown]
	s_mul_i32 s6, s18, s20
	s_ashr_i32 s21, s20, 31
	v_mad_u64_u32 v[47:48], null, v24, s88, s[6:7]
	v_mad_u64_u32 v[48:49], null, v23, s88, s[6:7]
	v_mad_u64_u32 v[49:50], null, v22, s88, s[6:7]
	v_mad_u64_u32 v[50:51], null, v21, s88, s[6:7]
	v_mad_u64_u32 v[51:52], null, v20, s88, s[6:7]
	v_mad_u64_u32 v[52:53], null, v19, s88, s[6:7]
	s_and_b32 s49, s2, s10
	s_and_b32 s50, s2, s11
	;; [unrolled: 1-line block ×16, first 2 shown]
	v_mad_u64_u32 v[53:54], null, v18, s88, s[6:7]
	s_lshl_b64 s[2:3], s[20:21], 3
	s_and_b32 s34, s0, s10
	s_and_b32 s35, s0, s11
	;; [unrolled: 1-line block ×40, first 2 shown]
	v_mad_u64_u32 v[54:55], null, v16, s88, s[6:7]
	s_mul_hi_u32 s0, s18, s20
	s_mul_i32 s7, s18, s21
	s_add_u32 s2, s28, s2
	s_addc_u32 s3, s29, s3
	s_add_i32 s0, s0, s7
	s_mul_i32 s7, s19, s20
	v_lshlrev_b32_e32 v29, 3, v0
	s_add_i32 s7, s0, s7
	v_mov_b32_e32 v30, v1
	s_lshl_b64 s[6:7], s[6:7], 3
	v_mov_b32_e32 v46, v1
	v_add_co_u32 v3, s0, s6, v45
	v_add_co_ci_u32_e64 v5, null, s7, 0, s0
	v_mul_lo_u32 v63, s18, v52
	v_add_co_u32 v7, s0, 0x700, v3
	v_add_co_ci_u32_e64 v9, null, 0, v5, s0
	v_mul_lo_u32 v65, s18, v53
	v_mul_lo_u32 v11, s19, v7
	v_mad_u64_u32 v[15:16], null, s18, v7, v[29:30]
	v_add_co_u32 v7, s0, 0x600, v3
	v_add_co_ci_u32_e64 v13, null, 0, v5, s0
	v_add_co_u32 v19, s0, 0x500, v3
	v_add_co_ci_u32_e64 v20, null, 0, v5, s0
	v_mul_lo_u32 v21, s19, v7
	v_mad_u64_u32 v[17:18], null, s18, v7, v[29:30]
	v_mul_lo_u32 v7, s18, v20
	v_mul_lo_u32 v22, s19, v19
	v_mad_u64_u32 v[19:20], null, s18, v19, v[29:30]
	v_mul_lo_u32 v9, s18, v9
	v_mul_lo_u32 v13, s18, v13
	;; [unrolled: 1-line block ×3, first 2 shown]
	v_mov_b32_e32 v64, v1
	v_mov_b32_e32 v66, v1
	;; [unrolled: 1-line block ×3, first 2 shown]
	v_add3_u32 v20, v22, v20, v7
	v_add_co_u32 v7, s0, 0x400, v3
	v_add3_u32 v16, v11, v16, v9
	v_add_co_ci_u32_e64 v9, null, 0, v5, s0
	v_add_co_u32 v11, s0, 0x300, v3
	v_add3_u32 v18, v21, v18, v13
	v_add_co_ci_u32_e64 v13, null, 0, v5, s0
	v_mul_lo_u32 v31, s19, v7
	v_mad_u64_u32 v[21:22], null, s18, v7, v[29:30]
	v_mul_lo_u32 v7, s18, v13
	v_mul_lo_u32 v13, s19, v11
	v_mad_u64_u32 v[23:24], null, s18, v11, v[29:30]
	v_mul_lo_u32 v9, s18, v9
	v_add_co_u32 v11, s0, 0x200, v3
	v_add_co_ci_u32_e64 v25, null, 0, v5, s0
	v_add_co_u32 v27, s0, 0x100, v3
	v_add_co_ci_u32_e64 v28, null, 0, v5, s0
	v_add3_u32 v24, v13, v24, v7
	v_add_co_u32 v7, s0, s6, v29
	v_add3_u32 v22, v31, v22, v9
	v_add_co_ci_u32_e64 v9, null, s7, 0, s0
	v_mul_lo_u32 v33, s18, v25
	v_mul_lo_u32 v34, s19, v11
	v_mad_u64_u32 v[25:26], null, s18, v11, v[29:30]
	v_mul_lo_u32 v11, s18, v28
	v_mul_lo_u32 v35, s19, v27
	v_mad_u64_u32 v[27:28], null, s18, v27, v[29:30]
	v_mul_lo_u32 v13, s19, v3
	v_mad_u64_u32 v[29:30], null, s18, v3, v[29:30]
	v_mul_lo_u32 v3, s18, v9
	v_mul_lo_u32 v38, s19, v7
	v_mad_u64_u32 v[31:32], null, s18, v7, v[45:46]
	v_mul_lo_u32 v5, s18, v5
	v_add_co_u32 v36, s0, 0x100, v7
	v_add_co_ci_u32_e64 v37, null, 0, v9, s0
	v_add3_u32 v26, v34, v26, v33
	v_add3_u32 v32, v38, v32, v3
	v_add_co_u32 v3, s0, 0x200, v7
	v_mul_lo_u32 v37, s18, v37
	v_mul_lo_u32 v39, s19, v36
	v_mad_u64_u32 v[33:34], null, s18, v36, v[45:46]
	v_add3_u32 v28, v35, v28, v11
	v_add3_u32 v30, v13, v30, v5
	v_add_co_ci_u32_e64 v5, null, 0, v9, s0
	v_add_co_u32 v11, s0, 0x300, v7
	v_add_co_ci_u32_e64 v13, null, 0, v9, s0
	v_add3_u32 v34, v39, v34, v37
	v_mul_lo_u32 v55, s19, v3
	v_mad_u64_u32 v[35:36], null, s18, v3, v[45:46]
	v_mul_lo_u32 v3, s18, v13
	v_mul_lo_u32 v13, s19, v11
	v_mad_u64_u32 v[37:38], null, s18, v11, v[45:46]
	v_add_co_u32 v11, s0, 0x400, v7
	v_add_co_ci_u32_e64 v39, null, 0, v9, s0
	v_add_co_u32 v41, s0, 0x500, v7
	v_add_co_ci_u32_e64 v42, null, 0, v9, s0
	v_add_co_u32 v43, s0, 0x600, v7
	v_add_co_ci_u32_e64 v44, null, 0, v9, s0
	v_add_co_u32 v7, s0, 0x700, v7
	v_add_co_ci_u32_e64 v9, null, 0, v9, s0
	v_mul_lo_u32 v5, s18, v5
	v_mul_lo_u32 v56, s18, v39
	;; [unrolled: 1-line block ×3, first 2 shown]
	v_mad_u64_u32 v[39:40], null, s18, v11, v[45:46]
	v_mul_lo_u32 v11, s18, v42
	v_mul_lo_u32 v58, s19, v41
	v_mad_u64_u32 v[41:42], null, s18, v41, v[45:46]
	v_mul_lo_u32 v59, s18, v44
	v_mul_lo_u32 v60, s19, v43
	v_mad_u64_u32 v[43:44], null, s18, v43, v[45:46]
	v_mul_lo_u32 v9, s18, v9
	v_mad_u64_u32 v[45:46], null, s18, v7, v[45:46]
	v_mul_lo_u32 v7, s19, v7
	v_add3_u32 v36, v55, v36, v5
	v_add3_u32 v38, v13, v38, v3
	;; [unrolled: 1-line block ×3, first 2 shown]
	v_mul_lo_u32 v3, s18, v47
	v_mul_lo_u32 v5, s18, v48
	;; [unrolled: 1-line block ×3, first 2 shown]
	v_add3_u32 v40, v57, v40, v56
	v_add3_u32 v46, v7, v46, v9
	v_mul_lo_u32 v7, s18, v49
	v_mul_lo_u32 v9, s18, v50
	v_add3_u32 v44, v60, v44, v59
	v_mov_b32_e32 v13, v0
	v_mov_b32_e32 v69, v1
	;; [unrolled: 1-line block ×5, first 2 shown]
	s_mov_b32 s17, s18
	s_lshl_b64 s[6:7], s[26:27], 3
	s_branch .LBB246_21
.LBB246_20:                             ;   in Loop: Header=BB246_21 Depth=1
	s_or_b32 exec_lo, exec_lo, s21
	v_add_co_u32 v64, s0, v64, 0
	v_add_co_ci_u32_e64 v3, null, s17, v3, s0
	v_add_co_u32 v66, s0, v66, 0
	v_add_co_ci_u32_e64 v5, null, s17, v5, s0
	;; [unrolled: 2-line block ×6, first 2 shown]
	v_add_co_u32 v72, s0, v72, 0
	s_add_i32 s20, s20, 1
	v_add_co_ci_u32_e64 v65, null, s17, v65, s0
	v_add_co_u32 v1, s0, v1, 0
	s_add_u32 s2, s2, 8
	v_add_co_ci_u32_e64 v67, null, s17, v67, s0
	s_addc_u32 s3, s3, 0
	s_add_u32 s24, s24, s6
	s_addc_u32 s25, s25, s7
	s_cmp_ge_i32 s20, s33
	s_cbranch_scc1 .LBB246_149
.LBB246_21:                             ; =>This Inner Loop Header: Depth=1
	s_load_dwordx2 s[26:27], s[2:3], 0x0
	s_waitcnt lgkmcnt(0)
	s_sub_u32 s0, s26, s31
	s_subb_u32 s21, s27, 0
	s_mul_i32 s26, s0, s19
	s_mul_hi_u32 s27, s0, s18
	s_mul_i32 s21, s21, s18
	s_add_i32 s26, s27, s26
	s_mul_i32 s0, s0, s18
	s_add_i32 s26, s26, s21
	s_add_u32 s21, s0, s30
	s_addc_u32 s26, s26, 0
	v_add_co_u32 v59, s0, s21, v0
	v_add_co_ci_u32_e64 v60, null, s26, 0, s0
	s_and_saveexec_b32 s27, s34
	s_cbranch_execz .LBB246_23
; %bb.22:                               ;   in Loop: Header=BB246_21 Depth=1
	v_add_co_u32 v47, s0, s24, v29
	v_add_co_ci_u32_e64 v48, null, s25, v30, s0
	v_add_co_u32 v49, s0, s24, v31
	v_add_co_ci_u32_e64 v50, null, s25, v32, s0
	v_cndmask_b32_e32 v47, v49, v47, vcc_lo
	v_add_co_u32 v49, s0, 0, v1
	v_cndmask_b32_e32 v48, v50, v48, vcc_lo
	v_add_co_ci_u32_e64 v50, null, v13, v67, s0
	global_load_dwordx2 v[47:48], v[47:48], off
	v_ashrrev_i64 v[49:50], 29, v[49:50]
	v_add_co_u32 v51, s0, s4, v49
	v_add_co_ci_u32_e64 v52, null, s5, v50, s0
	v_add_co_u32 v49, s0, s22, v49
	v_add_co_ci_u32_e64 v50, null, s23, v50, s0
	global_store_dwordx2 v[51:52], v[59:60], off
	s_waitcnt vmcnt(0)
	global_store_dwordx2 v[49:50], v[47:48], off
.LBB246_23:                             ;   in Loop: Header=BB246_21 Depth=1
	s_or_b32 exec_lo, exec_lo, s27
	v_add_co_u32 v47, s0, s21, v2
	v_add_co_ci_u32_e64 v48, null, s26, 0, s0
	s_and_saveexec_b32 s27, s35
	s_cbranch_execz .LBB246_25
; %bb.24:                               ;   in Loop: Header=BB246_21 Depth=1
	v_add_co_u32 v49, s0, s24, v29
	v_add_co_ci_u32_e64 v50, null, s25, v30, s0
	v_add_co_u32 v49, s0, 0x100, v49
	v_add_co_ci_u32_e64 v50, null, 0, v50, s0
	v_add_co_u32 v51, s0, s24, v33
	v_add_co_ci_u32_e64 v52, null, s25, v34, s0
	v_cndmask_b32_e32 v49, v51, v49, vcc_lo
	v_add_co_u32 v51, s0, 0, v1
	v_cndmask_b32_e32 v50, v52, v50, vcc_lo
	v_add_co_ci_u32_e64 v52, null, v13, v67, s0
	global_load_dwordx2 v[49:50], v[49:50], off
	v_add_nc_u32_e32 v52, 32, v52
	v_ashrrev_i64 v[51:52], 29, v[51:52]
	v_add_co_u32 v53, s0, s4, v51
	v_add_co_ci_u32_e64 v54, null, s5, v52, s0
	v_add_co_u32 v51, s0, s22, v51
	v_add_co_ci_u32_e64 v52, null, s23, v52, s0
	global_store_dwordx2 v[53:54], v[47:48], off
	s_waitcnt vmcnt(0)
	global_store_dwordx2 v[51:52], v[49:50], off
.LBB246_25:                             ;   in Loop: Header=BB246_21 Depth=1
	s_or_b32 exec_lo, exec_lo, s27
	v_add_co_u32 v49, s0, s21, v4
	v_add_co_ci_u32_e64 v50, null, s26, 0, s0
	s_and_saveexec_b32 s27, s36
	s_cbranch_execz .LBB246_27
; %bb.26:                               ;   in Loop: Header=BB246_21 Depth=1
	v_add_co_u32 v51, s0, s24, v29
	v_add_co_ci_u32_e64 v52, null, s25, v30, s0
	v_add_co_u32 v51, s0, 0x200, v51
	v_add_co_ci_u32_e64 v52, null, 0, v52, s0
	v_add_co_u32 v53, s0, s24, v35
	v_add_co_ci_u32_e64 v54, null, s25, v36, s0
	v_cndmask_b32_e32 v51, v53, v51, vcc_lo
	v_add_co_u32 v53, s0, 0, v1
	v_cndmask_b32_e32 v52, v54, v52, vcc_lo
	v_add_co_ci_u32_e64 v54, null, v13, v67, s0
	global_load_dwordx2 v[51:52], v[51:52], off
	v_add_nc_u32_e32 v54, 64, v54
	v_ashrrev_i64 v[53:54], 29, v[53:54]
	v_add_co_u32 v55, s0, s4, v53
	v_add_co_ci_u32_e64 v56, null, s5, v54, s0
	v_add_co_u32 v53, s0, s22, v53
	v_add_co_ci_u32_e64 v54, null, s23, v54, s0
	global_store_dwordx2 v[55:56], v[49:50], off
	s_waitcnt vmcnt(0)
	global_store_dwordx2 v[53:54], v[51:52], off
.LBB246_27:                             ;   in Loop: Header=BB246_21 Depth=1
	;; [unrolled: 27-line block ×6, first 2 shown]
	s_or_b32 exec_lo, exec_lo, s27
	v_add_co_u32 v61, s0, s21, v14
	v_add_co_ci_u32_e64 v62, null, s26, 0, s0
	s_and_saveexec_b32 s21, s41
	s_cbranch_execnz .LBB246_92
; %bb.36:                               ;   in Loop: Header=BB246_21 Depth=1
	s_or_b32 exec_lo, exec_lo, s21
	s_and_saveexec_b32 s21, s42
	s_cbranch_execnz .LBB246_93
.LBB246_37:                             ;   in Loop: Header=BB246_21 Depth=1
	s_or_b32 exec_lo, exec_lo, s21
	s_and_saveexec_b32 s21, s43
	s_cbranch_execnz .LBB246_94
.LBB246_38:                             ;   in Loop: Header=BB246_21 Depth=1
	s_or_b32 exec_lo, exec_lo, s21
	s_and_saveexec_b32 s21, s44
	s_cbranch_execnz .LBB246_95
.LBB246_39:                             ;   in Loop: Header=BB246_21 Depth=1
	s_or_b32 exec_lo, exec_lo, s21
	s_and_saveexec_b32 s21, s45
	s_cbranch_execnz .LBB246_96
.LBB246_40:                             ;   in Loop: Header=BB246_21 Depth=1
	s_or_b32 exec_lo, exec_lo, s21
	s_and_saveexec_b32 s21, s46
	s_cbranch_execnz .LBB246_97
.LBB246_41:                             ;   in Loop: Header=BB246_21 Depth=1
	s_or_b32 exec_lo, exec_lo, s21
	s_and_saveexec_b32 s21, s47
	s_cbranch_execnz .LBB246_98
.LBB246_42:                             ;   in Loop: Header=BB246_21 Depth=1
	s_or_b32 exec_lo, exec_lo, s21
	s_and_saveexec_b32 s21, s48
	s_cbranch_execnz .LBB246_99
.LBB246_43:                             ;   in Loop: Header=BB246_21 Depth=1
	s_or_b32 exec_lo, exec_lo, s21
	s_and_saveexec_b32 s21, s1
	s_cbranch_execnz .LBB246_100
.LBB246_44:                             ;   in Loop: Header=BB246_21 Depth=1
	s_or_b32 exec_lo, exec_lo, s21
	s_and_saveexec_b32 s21, s49
	s_cbranch_execnz .LBB246_101
.LBB246_45:                             ;   in Loop: Header=BB246_21 Depth=1
	s_or_b32 exec_lo, exec_lo, s21
	s_and_saveexec_b32 s21, s50
	s_cbranch_execnz .LBB246_102
.LBB246_46:                             ;   in Loop: Header=BB246_21 Depth=1
	s_or_b32 exec_lo, exec_lo, s21
	s_and_saveexec_b32 s21, s51
	s_cbranch_execnz .LBB246_103
.LBB246_47:                             ;   in Loop: Header=BB246_21 Depth=1
	s_or_b32 exec_lo, exec_lo, s21
	s_and_saveexec_b32 s21, s52
	s_cbranch_execnz .LBB246_104
.LBB246_48:                             ;   in Loop: Header=BB246_21 Depth=1
	s_or_b32 exec_lo, exec_lo, s21
	s_and_saveexec_b32 s21, s53
	s_cbranch_execnz .LBB246_105
.LBB246_49:                             ;   in Loop: Header=BB246_21 Depth=1
	s_or_b32 exec_lo, exec_lo, s21
	s_and_saveexec_b32 s21, s54
	s_cbranch_execnz .LBB246_106
.LBB246_50:                             ;   in Loop: Header=BB246_21 Depth=1
	s_or_b32 exec_lo, exec_lo, s21
	s_and_saveexec_b32 s21, s55
	s_cbranch_execnz .LBB246_107
.LBB246_51:                             ;   in Loop: Header=BB246_21 Depth=1
	s_or_b32 exec_lo, exec_lo, s21
	s_and_saveexec_b32 s21, s56
	s_cbranch_execnz .LBB246_108
.LBB246_52:                             ;   in Loop: Header=BB246_21 Depth=1
	s_or_b32 exec_lo, exec_lo, s21
	s_and_saveexec_b32 s21, s57
	s_cbranch_execnz .LBB246_109
.LBB246_53:                             ;   in Loop: Header=BB246_21 Depth=1
	s_or_b32 exec_lo, exec_lo, s21
	s_and_saveexec_b32 s21, s58
	s_cbranch_execnz .LBB246_110
.LBB246_54:                             ;   in Loop: Header=BB246_21 Depth=1
	s_or_b32 exec_lo, exec_lo, s21
	s_and_saveexec_b32 s21, s59
	s_cbranch_execnz .LBB246_111
.LBB246_55:                             ;   in Loop: Header=BB246_21 Depth=1
	s_or_b32 exec_lo, exec_lo, s21
	s_and_saveexec_b32 s21, s60
	s_cbranch_execnz .LBB246_112
.LBB246_56:                             ;   in Loop: Header=BB246_21 Depth=1
	s_or_b32 exec_lo, exec_lo, s21
	s_and_saveexec_b32 s21, s61
	s_cbranch_execnz .LBB246_113
.LBB246_57:                             ;   in Loop: Header=BB246_21 Depth=1
	s_or_b32 exec_lo, exec_lo, s21
	s_and_saveexec_b32 s21, s62
	s_cbranch_execnz .LBB246_114
.LBB246_58:                             ;   in Loop: Header=BB246_21 Depth=1
	s_or_b32 exec_lo, exec_lo, s21
	s_and_saveexec_b32 s21, s63
	s_cbranch_execnz .LBB246_115
.LBB246_59:                             ;   in Loop: Header=BB246_21 Depth=1
	s_or_b32 exec_lo, exec_lo, s21
	s_and_saveexec_b32 s21, s64
	s_cbranch_execnz .LBB246_116
.LBB246_60:                             ;   in Loop: Header=BB246_21 Depth=1
	s_or_b32 exec_lo, exec_lo, s21
	s_and_saveexec_b32 s21, s65
	s_cbranch_execnz .LBB246_117
.LBB246_61:                             ;   in Loop: Header=BB246_21 Depth=1
	s_or_b32 exec_lo, exec_lo, s21
	s_and_saveexec_b32 s21, s66
	s_cbranch_execnz .LBB246_118
.LBB246_62:                             ;   in Loop: Header=BB246_21 Depth=1
	s_or_b32 exec_lo, exec_lo, s21
	s_and_saveexec_b32 s21, s67
	s_cbranch_execnz .LBB246_119
.LBB246_63:                             ;   in Loop: Header=BB246_21 Depth=1
	s_or_b32 exec_lo, exec_lo, s21
	s_and_saveexec_b32 s21, s68
	s_cbranch_execnz .LBB246_120
.LBB246_64:                             ;   in Loop: Header=BB246_21 Depth=1
	s_or_b32 exec_lo, exec_lo, s21
	s_and_saveexec_b32 s21, s69
	s_cbranch_execnz .LBB246_121
.LBB246_65:                             ;   in Loop: Header=BB246_21 Depth=1
	s_or_b32 exec_lo, exec_lo, s21
	s_and_saveexec_b32 s21, s70
	s_cbranch_execnz .LBB246_122
.LBB246_66:                             ;   in Loop: Header=BB246_21 Depth=1
	s_or_b32 exec_lo, exec_lo, s21
	s_and_saveexec_b32 s21, s71
	s_cbranch_execnz .LBB246_123
.LBB246_67:                             ;   in Loop: Header=BB246_21 Depth=1
	s_or_b32 exec_lo, exec_lo, s21
	s_and_saveexec_b32 s21, s72
	s_cbranch_execnz .LBB246_124
.LBB246_68:                             ;   in Loop: Header=BB246_21 Depth=1
	s_or_b32 exec_lo, exec_lo, s21
	s_and_saveexec_b32 s21, s73
	s_cbranch_execnz .LBB246_125
.LBB246_69:                             ;   in Loop: Header=BB246_21 Depth=1
	s_or_b32 exec_lo, exec_lo, s21
	s_and_saveexec_b32 s21, s74
	s_cbranch_execnz .LBB246_126
.LBB246_70:                             ;   in Loop: Header=BB246_21 Depth=1
	s_or_b32 exec_lo, exec_lo, s21
	s_and_saveexec_b32 s21, s75
	s_cbranch_execnz .LBB246_127
.LBB246_71:                             ;   in Loop: Header=BB246_21 Depth=1
	s_or_b32 exec_lo, exec_lo, s21
	s_and_saveexec_b32 s21, s76
	s_cbranch_execnz .LBB246_128
.LBB246_72:                             ;   in Loop: Header=BB246_21 Depth=1
	s_or_b32 exec_lo, exec_lo, s21
	s_and_saveexec_b32 s21, s77
	s_cbranch_execnz .LBB246_129
.LBB246_73:                             ;   in Loop: Header=BB246_21 Depth=1
	s_or_b32 exec_lo, exec_lo, s21
	s_and_saveexec_b32 s21, s78
	s_cbranch_execnz .LBB246_130
.LBB246_74:                             ;   in Loop: Header=BB246_21 Depth=1
	s_or_b32 exec_lo, exec_lo, s21
	s_and_saveexec_b32 s21, s79
	s_cbranch_execnz .LBB246_131
.LBB246_75:                             ;   in Loop: Header=BB246_21 Depth=1
	s_or_b32 exec_lo, exec_lo, s21
	s_and_saveexec_b32 s21, s80
	s_cbranch_execnz .LBB246_132
.LBB246_76:                             ;   in Loop: Header=BB246_21 Depth=1
	s_or_b32 exec_lo, exec_lo, s21
	s_and_saveexec_b32 s21, s81
	s_cbranch_execnz .LBB246_133
.LBB246_77:                             ;   in Loop: Header=BB246_21 Depth=1
	s_or_b32 exec_lo, exec_lo, s21
	s_and_saveexec_b32 s21, s82
	s_cbranch_execnz .LBB246_134
.LBB246_78:                             ;   in Loop: Header=BB246_21 Depth=1
	s_or_b32 exec_lo, exec_lo, s21
	s_and_saveexec_b32 s21, s83
	s_cbranch_execnz .LBB246_135
.LBB246_79:                             ;   in Loop: Header=BB246_21 Depth=1
	s_or_b32 exec_lo, exec_lo, s21
	s_and_saveexec_b32 s21, s84
	s_cbranch_execnz .LBB246_136
.LBB246_80:                             ;   in Loop: Header=BB246_21 Depth=1
	s_or_b32 exec_lo, exec_lo, s21
	s_and_saveexec_b32 s21, s85
	s_cbranch_execnz .LBB246_137
.LBB246_81:                             ;   in Loop: Header=BB246_21 Depth=1
	s_or_b32 exec_lo, exec_lo, s21
	s_and_saveexec_b32 s21, s86
	s_cbranch_execnz .LBB246_138
.LBB246_82:                             ;   in Loop: Header=BB246_21 Depth=1
	s_or_b32 exec_lo, exec_lo, s21
	s_and_saveexec_b32 s21, s87
	s_cbranch_execnz .LBB246_139
.LBB246_83:                             ;   in Loop: Header=BB246_21 Depth=1
	s_or_b32 exec_lo, exec_lo, s21
	s_and_saveexec_b32 s21, s8
	s_cbranch_execnz .LBB246_140
.LBB246_84:                             ;   in Loop: Header=BB246_21 Depth=1
	s_or_b32 exec_lo, exec_lo, s21
	s_and_saveexec_b32 s21, s10
	s_cbranch_execnz .LBB246_141
.LBB246_85:                             ;   in Loop: Header=BB246_21 Depth=1
	s_or_b32 exec_lo, exec_lo, s21
	s_and_saveexec_b32 s21, s11
	s_cbranch_execnz .LBB246_142
.LBB246_86:                             ;   in Loop: Header=BB246_21 Depth=1
	s_or_b32 exec_lo, exec_lo, s21
	s_and_saveexec_b32 s21, s12
	s_cbranch_execnz .LBB246_143
.LBB246_87:                             ;   in Loop: Header=BB246_21 Depth=1
	s_or_b32 exec_lo, exec_lo, s21
	s_and_saveexec_b32 s21, s13
	s_cbranch_execnz .LBB246_144
.LBB246_88:                             ;   in Loop: Header=BB246_21 Depth=1
	s_or_b32 exec_lo, exec_lo, s21
	s_and_saveexec_b32 s21, s14
	s_cbranch_execnz .LBB246_145
.LBB246_89:                             ;   in Loop: Header=BB246_21 Depth=1
	s_or_b32 exec_lo, exec_lo, s21
	s_and_saveexec_b32 s21, s15
	s_cbranch_execnz .LBB246_146
.LBB246_90:                             ;   in Loop: Header=BB246_21 Depth=1
	s_or_b32 exec_lo, exec_lo, s21
	s_and_saveexec_b32 s21, s16
	s_cbranch_execnz .LBB246_147
.LBB246_91:                             ;   in Loop: Header=BB246_21 Depth=1
	s_or_b32 exec_lo, exec_lo, s21
	s_and_saveexec_b32 s21, s9
	s_cbranch_execz .LBB246_20
	s_branch .LBB246_148
.LBB246_92:                             ;   in Loop: Header=BB246_21 Depth=1
	v_add_co_u32 v73, s0, s24, v29
	v_add_co_ci_u32_e64 v74, null, s25, v30, s0
	v_add_co_u32 v73, s0, 0x700, v73
	v_add_co_ci_u32_e64 v74, null, 0, v74, s0
	;; [unrolled: 2-line block ×3, first 2 shown]
	v_cndmask_b32_e32 v73, v75, v73, vcc_lo
	v_add_co_u32 v75, s0, 0, v1
	v_cndmask_b32_e32 v74, v76, v74, vcc_lo
	v_add_co_ci_u32_e64 v76, null, v13, v67, s0
	global_load_dwordx2 v[73:74], v[73:74], off
	v_add_nc_u32_e32 v76, 0xe0, v76
	v_ashrrev_i64 v[75:76], 29, v[75:76]
	v_add_co_u32 v77, s0, s4, v75
	v_add_co_ci_u32_e64 v78, null, s5, v76, s0
	v_add_co_u32 v75, s0, s22, v75
	v_add_co_ci_u32_e64 v76, null, s23, v76, s0
	global_store_dwordx2 v[77:78], v[61:62], off
	s_waitcnt vmcnt(0)
	global_store_dwordx2 v[75:76], v[73:74], off
	s_or_b32 exec_lo, exec_lo, s21
	s_and_saveexec_b32 s21, s42
	s_cbranch_execz .LBB246_37
.LBB246_93:                             ;   in Loop: Header=BB246_21 Depth=1
	v_add_co_u32 v73, s0, s24, v31
	v_add_co_ci_u32_e64 v74, null, s25, v32, s0
	v_add_co_u32 v75, s0, s24, v27
	v_add_co_ci_u32_e64 v76, null, s25, v28, s0
	;; [unrolled: 2-line block ×3, first 2 shown]
	v_cndmask_b32_e32 v73, v73, v75, vcc_lo
	v_add_co_u32 v75, s0, 0, v72
	v_cndmask_b32_e32 v74, v74, v76, vcc_lo
	v_add_co_ci_u32_e64 v76, null, v13, v65, s0
	global_load_dwordx2 v[73:74], v[73:74], off
	v_ashrrev_i64 v[75:76], 29, v[75:76]
	v_add_co_u32 v77, s0, s4, v75
	v_add_co_ci_u32_e64 v78, null, s5, v76, s0
	v_add_co_u32 v75, s0, s22, v75
	v_add_co_ci_u32_e64 v76, null, s23, v76, s0
	global_store_dwordx2 v[77:78], v[59:60], off
	s_waitcnt vmcnt(0)
	global_store_dwordx2 v[75:76], v[73:74], off
	s_or_b32 exec_lo, exec_lo, s21
	s_and_saveexec_b32 s21, s43
	s_cbranch_execz .LBB246_38
.LBB246_94:                             ;   in Loop: Header=BB246_21 Depth=1
	v_add_co_u32 v73, s0, s24, v27
	v_add_co_ci_u32_e64 v74, null, s25, v28, s0
	v_add_co_u32 v75, s0, s24, v33
	v_add_co_ci_u32_e64 v76, null, s25, v34, s0
	v_cndmask_b32_e32 v73, v75, v73, vcc_lo
	v_add_co_u32 v75, s0, 0, v72
	v_cndmask_b32_e32 v74, v76, v74, vcc_lo
	v_add_co_ci_u32_e64 v76, null, v13, v65, s0
	global_load_dwordx2 v[73:74], v[73:74], off offset:256
	v_add_nc_u32_e32 v76, 32, v76
	v_ashrrev_i64 v[75:76], 29, v[75:76]
	v_add_co_u32 v77, s0, s4, v75
	v_add_co_ci_u32_e64 v78, null, s5, v76, s0
	v_add_co_u32 v75, s0, s22, v75
	v_add_co_ci_u32_e64 v76, null, s23, v76, s0
	global_store_dwordx2 v[77:78], v[47:48], off
	s_waitcnt vmcnt(0)
	global_store_dwordx2 v[75:76], v[73:74], off
	s_or_b32 exec_lo, exec_lo, s21
	s_and_saveexec_b32 s21, s44
	s_cbranch_execz .LBB246_39
.LBB246_95:                             ;   in Loop: Header=BB246_21 Depth=1
	v_add_co_u32 v73, s0, s24, v27
	v_add_co_ci_u32_e64 v74, null, s25, v28, s0
	v_add_co_u32 v75, s0, s24, v35
	v_add_co_ci_u32_e64 v76, null, s25, v36, s0
	;; [unrolled: 2-line block ×4, first 2 shown]
	v_cndmask_b32_e32 v73, v75, v73, vcc_lo
	v_add_co_u32 v75, s0, 0, v72
	v_cndmask_b32_e32 v74, v76, v74, vcc_lo
	v_add_co_ci_u32_e64 v76, null, v13, v65, s0
	global_load_dwordx2 v[73:74], v[73:74], off
	v_add_nc_u32_e32 v76, 64, v76
	v_ashrrev_i64 v[75:76], 29, v[75:76]
	v_add_co_u32 v77, s0, s4, v75
	v_add_co_ci_u32_e64 v78, null, s5, v76, s0
	v_add_co_u32 v75, s0, s22, v75
	v_add_co_ci_u32_e64 v76, null, s23, v76, s0
	global_store_dwordx2 v[77:78], v[49:50], off
	s_waitcnt vmcnt(0)
	global_store_dwordx2 v[75:76], v[73:74], off
	s_or_b32 exec_lo, exec_lo, s21
	s_and_saveexec_b32 s21, s45
	s_cbranch_execz .LBB246_40
.LBB246_96:                             ;   in Loop: Header=BB246_21 Depth=1
	v_add_co_u32 v73, s0, s24, v27
	v_add_co_ci_u32_e64 v74, null, s25, v28, s0
	v_add_co_u32 v75, s0, s24, v37
	v_add_co_ci_u32_e64 v76, null, s25, v38, s0
	;; [unrolled: 2-line block ×4, first 2 shown]
	v_cndmask_b32_e32 v73, v75, v73, vcc_lo
	v_add_co_u32 v75, s0, 0, v72
	v_cndmask_b32_e32 v74, v76, v74, vcc_lo
	v_add_co_ci_u32_e64 v76, null, v13, v65, s0
	global_load_dwordx2 v[73:74], v[73:74], off
	v_add_nc_u32_e32 v76, 0x60, v76
	v_ashrrev_i64 v[75:76], 29, v[75:76]
	v_add_co_u32 v77, s0, s4, v75
	v_add_co_ci_u32_e64 v78, null, s5, v76, s0
	v_add_co_u32 v75, s0, s22, v75
	v_add_co_ci_u32_e64 v76, null, s23, v76, s0
	global_store_dwordx2 v[77:78], v[51:52], off
	s_waitcnt vmcnt(0)
	global_store_dwordx2 v[75:76], v[73:74], off
	s_or_b32 exec_lo, exec_lo, s21
	s_and_saveexec_b32 s21, s46
	s_cbranch_execz .LBB246_41
.LBB246_97:                             ;   in Loop: Header=BB246_21 Depth=1
	v_add_co_u32 v73, s0, s24, v27
	v_add_co_ci_u32_e64 v74, null, s25, v28, s0
	v_add_co_u32 v75, s0, s24, v39
	v_add_co_ci_u32_e64 v76, null, s25, v40, s0
	;; [unrolled: 2-line block ×4, first 2 shown]
	v_cndmask_b32_e32 v73, v75, v73, vcc_lo
	v_add_co_u32 v75, s0, 0, v72
	v_cndmask_b32_e32 v74, v76, v74, vcc_lo
	v_add_co_ci_u32_e64 v76, null, v13, v65, s0
	global_load_dwordx2 v[73:74], v[73:74], off
	v_add_nc_u32_e32 v76, 0x80, v76
	v_ashrrev_i64 v[75:76], 29, v[75:76]
	v_add_co_u32 v77, s0, s4, v75
	v_add_co_ci_u32_e64 v78, null, s5, v76, s0
	v_add_co_u32 v75, s0, s22, v75
	v_add_co_ci_u32_e64 v76, null, s23, v76, s0
	global_store_dwordx2 v[77:78], v[53:54], off
	s_waitcnt vmcnt(0)
	global_store_dwordx2 v[75:76], v[73:74], off
	s_or_b32 exec_lo, exec_lo, s21
	s_and_saveexec_b32 s21, s47
	s_cbranch_execz .LBB246_42
.LBB246_98:                             ;   in Loop: Header=BB246_21 Depth=1
	v_add_co_u32 v73, s0, s24, v27
	v_add_co_ci_u32_e64 v74, null, s25, v28, s0
	v_add_co_u32 v75, s0, s24, v41
	v_add_co_ci_u32_e64 v76, null, s25, v42, s0
	;; [unrolled: 2-line block ×4, first 2 shown]
	v_cndmask_b32_e32 v73, v75, v73, vcc_lo
	v_add_co_u32 v75, s0, 0, v72
	v_cndmask_b32_e32 v74, v76, v74, vcc_lo
	v_add_co_ci_u32_e64 v76, null, v13, v65, s0
	global_load_dwordx2 v[73:74], v[73:74], off
	v_add_nc_u32_e32 v76, 0xa0, v76
	v_ashrrev_i64 v[75:76], 29, v[75:76]
	v_add_co_u32 v77, s0, s4, v75
	v_add_co_ci_u32_e64 v78, null, s5, v76, s0
	v_add_co_u32 v75, s0, s22, v75
	v_add_co_ci_u32_e64 v76, null, s23, v76, s0
	global_store_dwordx2 v[77:78], v[55:56], off
	s_waitcnt vmcnt(0)
	global_store_dwordx2 v[75:76], v[73:74], off
	s_or_b32 exec_lo, exec_lo, s21
	s_and_saveexec_b32 s21, s48
	s_cbranch_execz .LBB246_43
.LBB246_99:                             ;   in Loop: Header=BB246_21 Depth=1
	v_add_co_u32 v73, s0, s24, v27
	v_add_co_ci_u32_e64 v74, null, s25, v28, s0
	v_add_co_u32 v75, s0, s24, v43
	v_add_co_ci_u32_e64 v76, null, s25, v44, s0
	v_add_co_u32 v73, s0, 0x600, v73
	v_add_co_ci_u32_e64 v74, null, 0, v74, s0
	v_add_co_u32 v75, s0, 0x100, v75
	v_add_co_ci_u32_e64 v76, null, 0, v76, s0
	v_cndmask_b32_e32 v73, v75, v73, vcc_lo
	v_add_co_u32 v75, s0, 0, v72
	v_cndmask_b32_e32 v74, v76, v74, vcc_lo
	v_add_co_ci_u32_e64 v76, null, v13, v65, s0
	global_load_dwordx2 v[73:74], v[73:74], off
	v_add_nc_u32_e32 v76, 0xc0, v76
	v_ashrrev_i64 v[75:76], 29, v[75:76]
	v_add_co_u32 v77, s0, s4, v75
	v_add_co_ci_u32_e64 v78, null, s5, v76, s0
	v_add_co_u32 v75, s0, s22, v75
	v_add_co_ci_u32_e64 v76, null, s23, v76, s0
	global_store_dwordx2 v[77:78], v[57:58], off
	s_waitcnt vmcnt(0)
	global_store_dwordx2 v[75:76], v[73:74], off
	s_or_b32 exec_lo, exec_lo, s21
	s_and_saveexec_b32 s21, s1
	s_cbranch_execz .LBB246_44
.LBB246_100:                            ;   in Loop: Header=BB246_21 Depth=1
	v_add_co_u32 v73, s0, s24, v27
	v_add_co_ci_u32_e64 v74, null, s25, v28, s0
	v_add_co_u32 v75, s0, s24, v45
	v_add_co_ci_u32_e64 v76, null, s25, v46, s0
	;; [unrolled: 2-line block ×4, first 2 shown]
	v_cndmask_b32_e32 v73, v75, v73, vcc_lo
	v_add_co_u32 v75, s0, 0, v72
	v_cndmask_b32_e32 v74, v76, v74, vcc_lo
	v_add_co_ci_u32_e64 v76, null, v13, v65, s0
	global_load_dwordx2 v[73:74], v[73:74], off
	v_add_nc_u32_e32 v76, 0xe0, v76
	v_ashrrev_i64 v[75:76], 29, v[75:76]
	v_add_co_u32 v77, s0, s4, v75
	v_add_co_ci_u32_e64 v78, null, s5, v76, s0
	v_add_co_u32 v75, s0, s22, v75
	v_add_co_ci_u32_e64 v76, null, s23, v76, s0
	global_store_dwordx2 v[77:78], v[61:62], off
	s_waitcnt vmcnt(0)
	global_store_dwordx2 v[75:76], v[73:74], off
	s_or_b32 exec_lo, exec_lo, s21
	s_and_saveexec_b32 s21, s49
	s_cbranch_execz .LBB246_45
.LBB246_101:                            ;   in Loop: Header=BB246_21 Depth=1
	v_add_co_u32 v73, s0, s24, v31
	v_add_co_ci_u32_e64 v74, null, s25, v32, s0
	v_add_co_u32 v75, s0, s24, v25
	v_add_co_ci_u32_e64 v76, null, s25, v26, s0
	;; [unrolled: 2-line block ×3, first 2 shown]
	v_cndmask_b32_e32 v73, v73, v75, vcc_lo
	v_add_co_u32 v75, s0, 0, v71
	v_cndmask_b32_e32 v74, v74, v76, vcc_lo
	v_add_co_ci_u32_e64 v76, null, v13, v63, s0
	global_load_dwordx2 v[73:74], v[73:74], off
	v_ashrrev_i64 v[75:76], 29, v[75:76]
	v_add_co_u32 v77, s0, s4, v75
	v_add_co_ci_u32_e64 v78, null, s5, v76, s0
	v_add_co_u32 v75, s0, s22, v75
	v_add_co_ci_u32_e64 v76, null, s23, v76, s0
	global_store_dwordx2 v[77:78], v[59:60], off
	s_waitcnt vmcnt(0)
	global_store_dwordx2 v[75:76], v[73:74], off
	s_or_b32 exec_lo, exec_lo, s21
	s_and_saveexec_b32 s21, s50
	s_cbranch_execz .LBB246_46
.LBB246_102:                            ;   in Loop: Header=BB246_21 Depth=1
	v_add_co_u32 v73, s0, s24, v25
	v_add_co_ci_u32_e64 v74, null, s25, v26, s0
	v_add_co_u32 v75, s0, s24, v33
	v_add_co_ci_u32_e64 v76, null, s25, v34, s0
	;; [unrolled: 2-line block ×4, first 2 shown]
	v_cndmask_b32_e32 v73, v75, v73, vcc_lo
	v_add_co_u32 v75, s0, 0, v71
	v_cndmask_b32_e32 v74, v76, v74, vcc_lo
	v_add_co_ci_u32_e64 v76, null, v13, v63, s0
	global_load_dwordx2 v[73:74], v[73:74], off
	v_add_nc_u32_e32 v76, 32, v76
	v_ashrrev_i64 v[75:76], 29, v[75:76]
	v_add_co_u32 v77, s0, s4, v75
	v_add_co_ci_u32_e64 v78, null, s5, v76, s0
	v_add_co_u32 v75, s0, s22, v75
	v_add_co_ci_u32_e64 v76, null, s23, v76, s0
	global_store_dwordx2 v[77:78], v[47:48], off
	s_waitcnt vmcnt(0)
	global_store_dwordx2 v[75:76], v[73:74], off
	s_or_b32 exec_lo, exec_lo, s21
	s_and_saveexec_b32 s21, s51
	s_cbranch_execz .LBB246_47
.LBB246_103:                            ;   in Loop: Header=BB246_21 Depth=1
	v_add_co_u32 v73, s0, s24, v25
	v_add_co_ci_u32_e64 v74, null, s25, v26, s0
	v_add_co_u32 v75, s0, s24, v35
	v_add_co_ci_u32_e64 v76, null, s25, v36, s0
	v_cndmask_b32_e32 v73, v75, v73, vcc_lo
	v_add_co_u32 v75, s0, 0, v71
	v_cndmask_b32_e32 v74, v76, v74, vcc_lo
	v_add_co_ci_u32_e64 v76, null, v13, v63, s0
	global_load_dwordx2 v[73:74], v[73:74], off offset:512
	v_add_nc_u32_e32 v76, 64, v76
	v_ashrrev_i64 v[75:76], 29, v[75:76]
	v_add_co_u32 v77, s0, s4, v75
	v_add_co_ci_u32_e64 v78, null, s5, v76, s0
	v_add_co_u32 v75, s0, s22, v75
	v_add_co_ci_u32_e64 v76, null, s23, v76, s0
	global_store_dwordx2 v[77:78], v[49:50], off
	s_waitcnt vmcnt(0)
	global_store_dwordx2 v[75:76], v[73:74], off
	s_or_b32 exec_lo, exec_lo, s21
	s_and_saveexec_b32 s21, s52
	s_cbranch_execz .LBB246_48
.LBB246_104:                            ;   in Loop: Header=BB246_21 Depth=1
	v_add_co_u32 v73, s0, s24, v25
	v_add_co_ci_u32_e64 v74, null, s25, v26, s0
	v_add_co_u32 v75, s0, s24, v37
	v_add_co_ci_u32_e64 v76, null, s25, v38, s0
	;; [unrolled: 2-line block ×4, first 2 shown]
	v_cndmask_b32_e32 v73, v75, v73, vcc_lo
	v_add_co_u32 v75, s0, 0, v71
	v_cndmask_b32_e32 v74, v76, v74, vcc_lo
	v_add_co_ci_u32_e64 v76, null, v13, v63, s0
	global_load_dwordx2 v[73:74], v[73:74], off
	v_add_nc_u32_e32 v76, 0x60, v76
	v_ashrrev_i64 v[75:76], 29, v[75:76]
	v_add_co_u32 v77, s0, s4, v75
	v_add_co_ci_u32_e64 v78, null, s5, v76, s0
	v_add_co_u32 v75, s0, s22, v75
	v_add_co_ci_u32_e64 v76, null, s23, v76, s0
	global_store_dwordx2 v[77:78], v[51:52], off
	s_waitcnt vmcnt(0)
	global_store_dwordx2 v[75:76], v[73:74], off
	s_or_b32 exec_lo, exec_lo, s21
	s_and_saveexec_b32 s21, s53
	s_cbranch_execz .LBB246_49
.LBB246_105:                            ;   in Loop: Header=BB246_21 Depth=1
	v_add_co_u32 v73, s0, s24, v25
	v_add_co_ci_u32_e64 v74, null, s25, v26, s0
	v_add_co_u32 v75, s0, s24, v39
	v_add_co_ci_u32_e64 v76, null, s25, v40, s0
	;; [unrolled: 2-line block ×4, first 2 shown]
	v_cndmask_b32_e32 v73, v75, v73, vcc_lo
	v_add_co_u32 v75, s0, 0, v71
	v_cndmask_b32_e32 v74, v76, v74, vcc_lo
	v_add_co_ci_u32_e64 v76, null, v13, v63, s0
	global_load_dwordx2 v[73:74], v[73:74], off
	v_add_nc_u32_e32 v76, 0x80, v76
	v_ashrrev_i64 v[75:76], 29, v[75:76]
	v_add_co_u32 v77, s0, s4, v75
	v_add_co_ci_u32_e64 v78, null, s5, v76, s0
	v_add_co_u32 v75, s0, s22, v75
	v_add_co_ci_u32_e64 v76, null, s23, v76, s0
	global_store_dwordx2 v[77:78], v[53:54], off
	s_waitcnt vmcnt(0)
	global_store_dwordx2 v[75:76], v[73:74], off
	s_or_b32 exec_lo, exec_lo, s21
	s_and_saveexec_b32 s21, s54
	s_cbranch_execz .LBB246_50
.LBB246_106:                            ;   in Loop: Header=BB246_21 Depth=1
	v_add_co_u32 v73, s0, s24, v25
	v_add_co_ci_u32_e64 v74, null, s25, v26, s0
	v_add_co_u32 v75, s0, s24, v41
	v_add_co_ci_u32_e64 v76, null, s25, v42, s0
	;; [unrolled: 2-line block ×4, first 2 shown]
	v_cndmask_b32_e32 v73, v75, v73, vcc_lo
	v_add_co_u32 v75, s0, 0, v71
	v_cndmask_b32_e32 v74, v76, v74, vcc_lo
	v_add_co_ci_u32_e64 v76, null, v13, v63, s0
	global_load_dwordx2 v[73:74], v[73:74], off
	v_add_nc_u32_e32 v76, 0xa0, v76
	v_ashrrev_i64 v[75:76], 29, v[75:76]
	v_add_co_u32 v77, s0, s4, v75
	v_add_co_ci_u32_e64 v78, null, s5, v76, s0
	v_add_co_u32 v75, s0, s22, v75
	v_add_co_ci_u32_e64 v76, null, s23, v76, s0
	global_store_dwordx2 v[77:78], v[55:56], off
	s_waitcnt vmcnt(0)
	global_store_dwordx2 v[75:76], v[73:74], off
	s_or_b32 exec_lo, exec_lo, s21
	s_and_saveexec_b32 s21, s55
	s_cbranch_execz .LBB246_51
.LBB246_107:                            ;   in Loop: Header=BB246_21 Depth=1
	v_add_co_u32 v73, s0, s24, v25
	v_add_co_ci_u32_e64 v74, null, s25, v26, s0
	v_add_co_u32 v75, s0, s24, v43
	v_add_co_ci_u32_e64 v76, null, s25, v44, s0
	;; [unrolled: 2-line block ×4, first 2 shown]
	v_cndmask_b32_e32 v73, v75, v73, vcc_lo
	v_add_co_u32 v75, s0, 0, v71
	v_cndmask_b32_e32 v74, v76, v74, vcc_lo
	v_add_co_ci_u32_e64 v76, null, v13, v63, s0
	global_load_dwordx2 v[73:74], v[73:74], off
	v_add_nc_u32_e32 v76, 0xc0, v76
	v_ashrrev_i64 v[75:76], 29, v[75:76]
	v_add_co_u32 v77, s0, s4, v75
	v_add_co_ci_u32_e64 v78, null, s5, v76, s0
	v_add_co_u32 v75, s0, s22, v75
	v_add_co_ci_u32_e64 v76, null, s23, v76, s0
	global_store_dwordx2 v[77:78], v[57:58], off
	s_waitcnt vmcnt(0)
	global_store_dwordx2 v[75:76], v[73:74], off
	s_or_b32 exec_lo, exec_lo, s21
	s_and_saveexec_b32 s21, s56
	s_cbranch_execz .LBB246_52
.LBB246_108:                            ;   in Loop: Header=BB246_21 Depth=1
	v_add_co_u32 v73, s0, s24, v25
	v_add_co_ci_u32_e64 v74, null, s25, v26, s0
	v_add_co_u32 v75, s0, s24, v45
	v_add_co_ci_u32_e64 v76, null, s25, v46, s0
	;; [unrolled: 2-line block ×4, first 2 shown]
	v_cndmask_b32_e32 v73, v75, v73, vcc_lo
	v_add_co_u32 v75, s0, 0, v71
	v_cndmask_b32_e32 v74, v76, v74, vcc_lo
	v_add_co_ci_u32_e64 v76, null, v13, v63, s0
	global_load_dwordx2 v[73:74], v[73:74], off
	v_add_nc_u32_e32 v76, 0xe0, v76
	v_ashrrev_i64 v[75:76], 29, v[75:76]
	v_add_co_u32 v77, s0, s4, v75
	v_add_co_ci_u32_e64 v78, null, s5, v76, s0
	v_add_co_u32 v75, s0, s22, v75
	v_add_co_ci_u32_e64 v76, null, s23, v76, s0
	global_store_dwordx2 v[77:78], v[61:62], off
	s_waitcnt vmcnt(0)
	global_store_dwordx2 v[75:76], v[73:74], off
	s_or_b32 exec_lo, exec_lo, s21
	s_and_saveexec_b32 s21, s57
	s_cbranch_execz .LBB246_53
.LBB246_109:                            ;   in Loop: Header=BB246_21 Depth=1
	v_add_co_u32 v73, s0, s24, v31
	v_add_co_ci_u32_e64 v74, null, s25, v32, s0
	v_add_co_u32 v75, s0, s24, v23
	v_add_co_ci_u32_e64 v76, null, s25, v24, s0
	;; [unrolled: 2-line block ×3, first 2 shown]
	v_cndmask_b32_e32 v73, v73, v75, vcc_lo
	v_add_co_u32 v75, s0, 0, v70
	v_cndmask_b32_e32 v74, v74, v76, vcc_lo
	v_add_co_ci_u32_e64 v76, null, v13, v11, s0
	global_load_dwordx2 v[73:74], v[73:74], off
	v_ashrrev_i64 v[75:76], 29, v[75:76]
	v_add_co_u32 v77, s0, s4, v75
	v_add_co_ci_u32_e64 v78, null, s5, v76, s0
	v_add_co_u32 v75, s0, s22, v75
	v_add_co_ci_u32_e64 v76, null, s23, v76, s0
	global_store_dwordx2 v[77:78], v[59:60], off
	s_waitcnt vmcnt(0)
	global_store_dwordx2 v[75:76], v[73:74], off
	s_or_b32 exec_lo, exec_lo, s21
	s_and_saveexec_b32 s21, s58
	s_cbranch_execz .LBB246_54
.LBB246_110:                            ;   in Loop: Header=BB246_21 Depth=1
	v_add_co_u32 v73, s0, s24, v23
	v_add_co_ci_u32_e64 v74, null, s25, v24, s0
	v_add_co_u32 v75, s0, s24, v33
	v_add_co_ci_u32_e64 v76, null, s25, v34, s0
	v_add_co_u32 v73, s0, 0x100, v73
	v_add_co_ci_u32_e64 v74, null, 0, v74, s0
	v_add_co_u32 v75, s0, 0x300, v75
	v_add_co_ci_u32_e64 v76, null, 0, v76, s0
	v_cndmask_b32_e32 v73, v75, v73, vcc_lo
	v_add_co_u32 v75, s0, 0, v70
	v_cndmask_b32_e32 v74, v76, v74, vcc_lo
	v_add_co_ci_u32_e64 v76, null, v13, v11, s0
	global_load_dwordx2 v[73:74], v[73:74], off
	v_add_nc_u32_e32 v76, 32, v76
	v_ashrrev_i64 v[75:76], 29, v[75:76]
	v_add_co_u32 v77, s0, s4, v75
	v_add_co_ci_u32_e64 v78, null, s5, v76, s0
	v_add_co_u32 v75, s0, s22, v75
	v_add_co_ci_u32_e64 v76, null, s23, v76, s0
	global_store_dwordx2 v[77:78], v[47:48], off
	s_waitcnt vmcnt(0)
	global_store_dwordx2 v[75:76], v[73:74], off
	s_or_b32 exec_lo, exec_lo, s21
	s_and_saveexec_b32 s21, s59
	s_cbranch_execz .LBB246_55
.LBB246_111:                            ;   in Loop: Header=BB246_21 Depth=1
	v_add_co_u32 v73, s0, s24, v23
	v_add_co_ci_u32_e64 v74, null, s25, v24, s0
	v_add_co_u32 v75, s0, s24, v35
	v_add_co_ci_u32_e64 v76, null, s25, v36, s0
	;; [unrolled: 2-line block ×4, first 2 shown]
	v_cndmask_b32_e32 v73, v75, v73, vcc_lo
	v_add_co_u32 v75, s0, 0, v70
	v_cndmask_b32_e32 v74, v76, v74, vcc_lo
	v_add_co_ci_u32_e64 v76, null, v13, v11, s0
	global_load_dwordx2 v[73:74], v[73:74], off
	v_add_nc_u32_e32 v76, 64, v76
	v_ashrrev_i64 v[75:76], 29, v[75:76]
	v_add_co_u32 v77, s0, s4, v75
	v_add_co_ci_u32_e64 v78, null, s5, v76, s0
	v_add_co_u32 v75, s0, s22, v75
	v_add_co_ci_u32_e64 v76, null, s23, v76, s0
	global_store_dwordx2 v[77:78], v[49:50], off
	s_waitcnt vmcnt(0)
	global_store_dwordx2 v[75:76], v[73:74], off
	s_or_b32 exec_lo, exec_lo, s21
	s_and_saveexec_b32 s21, s60
	s_cbranch_execz .LBB246_56
.LBB246_112:                            ;   in Loop: Header=BB246_21 Depth=1
	v_add_co_u32 v73, s0, s24, v23
	v_add_co_ci_u32_e64 v74, null, s25, v24, s0
	v_add_co_u32 v75, s0, s24, v37
	v_add_co_ci_u32_e64 v76, null, s25, v38, s0
	v_cndmask_b32_e32 v73, v75, v73, vcc_lo
	v_add_co_u32 v75, s0, 0, v70
	v_cndmask_b32_e32 v74, v76, v74, vcc_lo
	v_add_co_ci_u32_e64 v76, null, v13, v11, s0
	global_load_dwordx2 v[73:74], v[73:74], off offset:768
	v_add_nc_u32_e32 v76, 0x60, v76
	v_ashrrev_i64 v[75:76], 29, v[75:76]
	v_add_co_u32 v77, s0, s4, v75
	v_add_co_ci_u32_e64 v78, null, s5, v76, s0
	v_add_co_u32 v75, s0, s22, v75
	v_add_co_ci_u32_e64 v76, null, s23, v76, s0
	global_store_dwordx2 v[77:78], v[51:52], off
	s_waitcnt vmcnt(0)
	global_store_dwordx2 v[75:76], v[73:74], off
	s_or_b32 exec_lo, exec_lo, s21
	s_and_saveexec_b32 s21, s61
	s_cbranch_execz .LBB246_57
.LBB246_113:                            ;   in Loop: Header=BB246_21 Depth=1
	v_add_co_u32 v73, s0, s24, v23
	v_add_co_ci_u32_e64 v74, null, s25, v24, s0
	v_add_co_u32 v75, s0, s24, v39
	v_add_co_ci_u32_e64 v76, null, s25, v40, s0
	;; [unrolled: 2-line block ×4, first 2 shown]
	v_cndmask_b32_e32 v73, v75, v73, vcc_lo
	v_add_co_u32 v75, s0, 0, v70
	v_cndmask_b32_e32 v74, v76, v74, vcc_lo
	v_add_co_ci_u32_e64 v76, null, v13, v11, s0
	global_load_dwordx2 v[73:74], v[73:74], off
	v_add_nc_u32_e32 v76, 0x80, v76
	v_ashrrev_i64 v[75:76], 29, v[75:76]
	v_add_co_u32 v77, s0, s4, v75
	v_add_co_ci_u32_e64 v78, null, s5, v76, s0
	v_add_co_u32 v75, s0, s22, v75
	v_add_co_ci_u32_e64 v76, null, s23, v76, s0
	global_store_dwordx2 v[77:78], v[53:54], off
	s_waitcnt vmcnt(0)
	global_store_dwordx2 v[75:76], v[73:74], off
	s_or_b32 exec_lo, exec_lo, s21
	s_and_saveexec_b32 s21, s62
	s_cbranch_execz .LBB246_58
.LBB246_114:                            ;   in Loop: Header=BB246_21 Depth=1
	v_add_co_u32 v73, s0, s24, v23
	v_add_co_ci_u32_e64 v74, null, s25, v24, s0
	v_add_co_u32 v75, s0, s24, v41
	v_add_co_ci_u32_e64 v76, null, s25, v42, s0
	;; [unrolled: 2-line block ×4, first 2 shown]
	v_cndmask_b32_e32 v73, v75, v73, vcc_lo
	v_add_co_u32 v75, s0, 0, v70
	v_cndmask_b32_e32 v74, v76, v74, vcc_lo
	v_add_co_ci_u32_e64 v76, null, v13, v11, s0
	global_load_dwordx2 v[73:74], v[73:74], off
	v_add_nc_u32_e32 v76, 0xa0, v76
	v_ashrrev_i64 v[75:76], 29, v[75:76]
	v_add_co_u32 v77, s0, s4, v75
	v_add_co_ci_u32_e64 v78, null, s5, v76, s0
	v_add_co_u32 v75, s0, s22, v75
	v_add_co_ci_u32_e64 v76, null, s23, v76, s0
	global_store_dwordx2 v[77:78], v[55:56], off
	s_waitcnt vmcnt(0)
	global_store_dwordx2 v[75:76], v[73:74], off
	s_or_b32 exec_lo, exec_lo, s21
	s_and_saveexec_b32 s21, s63
	s_cbranch_execz .LBB246_59
.LBB246_115:                            ;   in Loop: Header=BB246_21 Depth=1
	v_add_co_u32 v73, s0, s24, v23
	v_add_co_ci_u32_e64 v74, null, s25, v24, s0
	v_add_co_u32 v75, s0, s24, v43
	v_add_co_ci_u32_e64 v76, null, s25, v44, s0
	;; [unrolled: 2-line block ×4, first 2 shown]
	v_cndmask_b32_e32 v73, v75, v73, vcc_lo
	v_add_co_u32 v75, s0, 0, v70
	v_cndmask_b32_e32 v74, v76, v74, vcc_lo
	v_add_co_ci_u32_e64 v76, null, v13, v11, s0
	global_load_dwordx2 v[73:74], v[73:74], off
	v_add_nc_u32_e32 v76, 0xc0, v76
	v_ashrrev_i64 v[75:76], 29, v[75:76]
	v_add_co_u32 v77, s0, s4, v75
	v_add_co_ci_u32_e64 v78, null, s5, v76, s0
	v_add_co_u32 v75, s0, s22, v75
	v_add_co_ci_u32_e64 v76, null, s23, v76, s0
	global_store_dwordx2 v[77:78], v[57:58], off
	s_waitcnt vmcnt(0)
	global_store_dwordx2 v[75:76], v[73:74], off
	s_or_b32 exec_lo, exec_lo, s21
	s_and_saveexec_b32 s21, s64
	s_cbranch_execz .LBB246_60
.LBB246_116:                            ;   in Loop: Header=BB246_21 Depth=1
	v_add_co_u32 v73, s0, s24, v23
	v_add_co_ci_u32_e64 v74, null, s25, v24, s0
	v_add_co_u32 v75, s0, s24, v45
	v_add_co_ci_u32_e64 v76, null, s25, v46, s0
	;; [unrolled: 2-line block ×4, first 2 shown]
	v_cndmask_b32_e32 v73, v75, v73, vcc_lo
	v_add_co_u32 v75, s0, 0, v70
	v_cndmask_b32_e32 v74, v76, v74, vcc_lo
	v_add_co_ci_u32_e64 v76, null, v13, v11, s0
	global_load_dwordx2 v[73:74], v[73:74], off
	v_add_nc_u32_e32 v76, 0xe0, v76
	v_ashrrev_i64 v[75:76], 29, v[75:76]
	v_add_co_u32 v77, s0, s4, v75
	v_add_co_ci_u32_e64 v78, null, s5, v76, s0
	v_add_co_u32 v75, s0, s22, v75
	v_add_co_ci_u32_e64 v76, null, s23, v76, s0
	global_store_dwordx2 v[77:78], v[61:62], off
	s_waitcnt vmcnt(0)
	global_store_dwordx2 v[75:76], v[73:74], off
	s_or_b32 exec_lo, exec_lo, s21
	s_and_saveexec_b32 s21, s65
	s_cbranch_execz .LBB246_61
.LBB246_117:                            ;   in Loop: Header=BB246_21 Depth=1
	v_add_co_u32 v73, s0, s24, v31
	v_add_co_ci_u32_e64 v74, null, s25, v32, s0
	v_add_co_u32 v75, s0, s24, v21
	v_add_co_ci_u32_e64 v76, null, s25, v22, s0
	;; [unrolled: 2-line block ×3, first 2 shown]
	v_cndmask_b32_e32 v73, v73, v75, vcc_lo
	v_add_co_u32 v75, s0, 0, v69
	v_cndmask_b32_e32 v74, v74, v76, vcc_lo
	v_add_co_ci_u32_e64 v76, null, v13, v9, s0
	global_load_dwordx2 v[73:74], v[73:74], off
	v_ashrrev_i64 v[75:76], 29, v[75:76]
	v_add_co_u32 v77, s0, s4, v75
	v_add_co_ci_u32_e64 v78, null, s5, v76, s0
	v_add_co_u32 v75, s0, s22, v75
	v_add_co_ci_u32_e64 v76, null, s23, v76, s0
	global_store_dwordx2 v[77:78], v[59:60], off
	s_waitcnt vmcnt(0)
	global_store_dwordx2 v[75:76], v[73:74], off
	s_or_b32 exec_lo, exec_lo, s21
	s_and_saveexec_b32 s21, s66
	s_cbranch_execz .LBB246_62
.LBB246_118:                            ;   in Loop: Header=BB246_21 Depth=1
	v_add_co_u32 v73, s0, s24, v21
	v_add_co_ci_u32_e64 v74, null, s25, v22, s0
	v_add_co_u32 v75, s0, s24, v33
	v_add_co_ci_u32_e64 v76, null, s25, v34, s0
	;; [unrolled: 2-line block ×4, first 2 shown]
	v_cndmask_b32_e32 v73, v75, v73, vcc_lo
	v_add_co_u32 v75, s0, 0, v69
	v_cndmask_b32_e32 v74, v76, v74, vcc_lo
	v_add_co_ci_u32_e64 v76, null, v13, v9, s0
	global_load_dwordx2 v[73:74], v[73:74], off
	v_add_nc_u32_e32 v76, 32, v76
	v_ashrrev_i64 v[75:76], 29, v[75:76]
	v_add_co_u32 v77, s0, s4, v75
	v_add_co_ci_u32_e64 v78, null, s5, v76, s0
	v_add_co_u32 v75, s0, s22, v75
	v_add_co_ci_u32_e64 v76, null, s23, v76, s0
	global_store_dwordx2 v[77:78], v[47:48], off
	s_waitcnt vmcnt(0)
	global_store_dwordx2 v[75:76], v[73:74], off
	s_or_b32 exec_lo, exec_lo, s21
	s_and_saveexec_b32 s21, s67
	s_cbranch_execz .LBB246_63
.LBB246_119:                            ;   in Loop: Header=BB246_21 Depth=1
	v_add_co_u32 v73, s0, s24, v21
	v_add_co_ci_u32_e64 v74, null, s25, v22, s0
	v_add_co_u32 v75, s0, s24, v35
	v_add_co_ci_u32_e64 v76, null, s25, v36, s0
	;; [unrolled: 2-line block ×4, first 2 shown]
	v_cndmask_b32_e32 v73, v75, v73, vcc_lo
	v_add_co_u32 v75, s0, 0, v69
	v_cndmask_b32_e32 v74, v76, v74, vcc_lo
	v_add_co_ci_u32_e64 v76, null, v13, v9, s0
	global_load_dwordx2 v[73:74], v[73:74], off
	v_add_nc_u32_e32 v76, 64, v76
	v_ashrrev_i64 v[75:76], 29, v[75:76]
	v_add_co_u32 v77, s0, s4, v75
	v_add_co_ci_u32_e64 v78, null, s5, v76, s0
	v_add_co_u32 v75, s0, s22, v75
	v_add_co_ci_u32_e64 v76, null, s23, v76, s0
	global_store_dwordx2 v[77:78], v[49:50], off
	s_waitcnt vmcnt(0)
	global_store_dwordx2 v[75:76], v[73:74], off
	s_or_b32 exec_lo, exec_lo, s21
	s_and_saveexec_b32 s21, s68
	s_cbranch_execz .LBB246_64
.LBB246_120:                            ;   in Loop: Header=BB246_21 Depth=1
	v_add_co_u32 v73, s0, s24, v21
	v_add_co_ci_u32_e64 v74, null, s25, v22, s0
	v_add_co_u32 v75, s0, s24, v37
	v_add_co_ci_u32_e64 v76, null, s25, v38, s0
	;; [unrolled: 2-line block ×4, first 2 shown]
	v_cndmask_b32_e32 v73, v75, v73, vcc_lo
	v_add_co_u32 v75, s0, 0, v69
	v_cndmask_b32_e32 v74, v76, v74, vcc_lo
	v_add_co_ci_u32_e64 v76, null, v13, v9, s0
	global_load_dwordx2 v[73:74], v[73:74], off
	v_add_nc_u32_e32 v76, 0x60, v76
	v_ashrrev_i64 v[75:76], 29, v[75:76]
	v_add_co_u32 v77, s0, s4, v75
	v_add_co_ci_u32_e64 v78, null, s5, v76, s0
	v_add_co_u32 v75, s0, s22, v75
	v_add_co_ci_u32_e64 v76, null, s23, v76, s0
	global_store_dwordx2 v[77:78], v[51:52], off
	s_waitcnt vmcnt(0)
	global_store_dwordx2 v[75:76], v[73:74], off
	s_or_b32 exec_lo, exec_lo, s21
	s_and_saveexec_b32 s21, s69
	s_cbranch_execz .LBB246_65
.LBB246_121:                            ;   in Loop: Header=BB246_21 Depth=1
	v_add_co_u32 v73, s0, s24, v21
	v_add_co_ci_u32_e64 v74, null, s25, v22, s0
	v_add_co_u32 v75, s0, s24, v39
	v_add_co_ci_u32_e64 v76, null, s25, v40, s0
	v_cndmask_b32_e32 v73, v75, v73, vcc_lo
	v_add_co_u32 v75, s0, 0, v69
	v_cndmask_b32_e32 v74, v76, v74, vcc_lo
	v_add_co_ci_u32_e64 v76, null, v13, v9, s0
	global_load_dwordx2 v[73:74], v[73:74], off offset:1024
	v_add_nc_u32_e32 v76, 0x80, v76
	v_ashrrev_i64 v[75:76], 29, v[75:76]
	v_add_co_u32 v77, s0, s4, v75
	v_add_co_ci_u32_e64 v78, null, s5, v76, s0
	v_add_co_u32 v75, s0, s22, v75
	v_add_co_ci_u32_e64 v76, null, s23, v76, s0
	global_store_dwordx2 v[77:78], v[53:54], off
	s_waitcnt vmcnt(0)
	global_store_dwordx2 v[75:76], v[73:74], off
	s_or_b32 exec_lo, exec_lo, s21
	s_and_saveexec_b32 s21, s70
	s_cbranch_execz .LBB246_66
.LBB246_122:                            ;   in Loop: Header=BB246_21 Depth=1
	v_add_co_u32 v73, s0, s24, v21
	v_add_co_ci_u32_e64 v74, null, s25, v22, s0
	v_add_co_u32 v75, s0, s24, v41
	v_add_co_ci_u32_e64 v76, null, s25, v42, s0
	;; [unrolled: 2-line block ×4, first 2 shown]
	v_cndmask_b32_e32 v73, v75, v73, vcc_lo
	v_add_co_u32 v75, s0, 0, v69
	v_cndmask_b32_e32 v74, v76, v74, vcc_lo
	v_add_co_ci_u32_e64 v76, null, v13, v9, s0
	global_load_dwordx2 v[73:74], v[73:74], off
	v_add_nc_u32_e32 v76, 0xa0, v76
	v_ashrrev_i64 v[75:76], 29, v[75:76]
	v_add_co_u32 v77, s0, s4, v75
	v_add_co_ci_u32_e64 v78, null, s5, v76, s0
	v_add_co_u32 v75, s0, s22, v75
	v_add_co_ci_u32_e64 v76, null, s23, v76, s0
	global_store_dwordx2 v[77:78], v[55:56], off
	s_waitcnt vmcnt(0)
	global_store_dwordx2 v[75:76], v[73:74], off
	s_or_b32 exec_lo, exec_lo, s21
	s_and_saveexec_b32 s21, s71
	s_cbranch_execz .LBB246_67
.LBB246_123:                            ;   in Loop: Header=BB246_21 Depth=1
	v_add_co_u32 v73, s0, s24, v21
	v_add_co_ci_u32_e64 v74, null, s25, v22, s0
	v_add_co_u32 v75, s0, s24, v43
	v_add_co_ci_u32_e64 v76, null, s25, v44, s0
	;; [unrolled: 2-line block ×4, first 2 shown]
	v_cndmask_b32_e32 v73, v75, v73, vcc_lo
	v_add_co_u32 v75, s0, 0, v69
	v_cndmask_b32_e32 v74, v76, v74, vcc_lo
	v_add_co_ci_u32_e64 v76, null, v13, v9, s0
	global_load_dwordx2 v[73:74], v[73:74], off
	v_add_nc_u32_e32 v76, 0xc0, v76
	v_ashrrev_i64 v[75:76], 29, v[75:76]
	v_add_co_u32 v77, s0, s4, v75
	v_add_co_ci_u32_e64 v78, null, s5, v76, s0
	v_add_co_u32 v75, s0, s22, v75
	v_add_co_ci_u32_e64 v76, null, s23, v76, s0
	global_store_dwordx2 v[77:78], v[57:58], off
	s_waitcnt vmcnt(0)
	global_store_dwordx2 v[75:76], v[73:74], off
	s_or_b32 exec_lo, exec_lo, s21
	s_and_saveexec_b32 s21, s72
	s_cbranch_execz .LBB246_68
.LBB246_124:                            ;   in Loop: Header=BB246_21 Depth=1
	v_add_co_u32 v73, s0, s24, v21
	v_add_co_ci_u32_e64 v74, null, s25, v22, s0
	v_add_co_u32 v75, s0, s24, v45
	v_add_co_ci_u32_e64 v76, null, s25, v46, s0
	;; [unrolled: 2-line block ×4, first 2 shown]
	v_cndmask_b32_e32 v73, v75, v73, vcc_lo
	v_add_co_u32 v75, s0, 0, v69
	v_cndmask_b32_e32 v74, v76, v74, vcc_lo
	v_add_co_ci_u32_e64 v76, null, v13, v9, s0
	global_load_dwordx2 v[73:74], v[73:74], off
	v_add_nc_u32_e32 v76, 0xe0, v76
	v_ashrrev_i64 v[75:76], 29, v[75:76]
	v_add_co_u32 v77, s0, s4, v75
	v_add_co_ci_u32_e64 v78, null, s5, v76, s0
	v_add_co_u32 v75, s0, s22, v75
	v_add_co_ci_u32_e64 v76, null, s23, v76, s0
	global_store_dwordx2 v[77:78], v[61:62], off
	s_waitcnt vmcnt(0)
	global_store_dwordx2 v[75:76], v[73:74], off
	s_or_b32 exec_lo, exec_lo, s21
	s_and_saveexec_b32 s21, s73
	s_cbranch_execz .LBB246_69
.LBB246_125:                            ;   in Loop: Header=BB246_21 Depth=1
	v_add_co_u32 v73, s0, s24, v31
	v_add_co_ci_u32_e64 v74, null, s25, v32, s0
	v_add_co_u32 v75, s0, s24, v19
	v_add_co_ci_u32_e64 v76, null, s25, v20, s0
	;; [unrolled: 2-line block ×3, first 2 shown]
	v_cndmask_b32_e32 v73, v73, v75, vcc_lo
	v_add_co_u32 v75, s0, 0, v68
	v_cndmask_b32_e32 v74, v74, v76, vcc_lo
	v_add_co_ci_u32_e64 v76, null, v13, v7, s0
	global_load_dwordx2 v[73:74], v[73:74], off
	v_ashrrev_i64 v[75:76], 29, v[75:76]
	v_add_co_u32 v77, s0, s4, v75
	v_add_co_ci_u32_e64 v78, null, s5, v76, s0
	v_add_co_u32 v75, s0, s22, v75
	v_add_co_ci_u32_e64 v76, null, s23, v76, s0
	global_store_dwordx2 v[77:78], v[59:60], off
	s_waitcnt vmcnt(0)
	global_store_dwordx2 v[75:76], v[73:74], off
	s_or_b32 exec_lo, exec_lo, s21
	s_and_saveexec_b32 s21, s74
	s_cbranch_execz .LBB246_70
.LBB246_126:                            ;   in Loop: Header=BB246_21 Depth=1
	v_add_co_u32 v73, s0, s24, v19
	v_add_co_ci_u32_e64 v74, null, s25, v20, s0
	v_add_co_u32 v75, s0, s24, v33
	v_add_co_ci_u32_e64 v76, null, s25, v34, s0
	;; [unrolled: 2-line block ×4, first 2 shown]
	v_cndmask_b32_e32 v73, v75, v73, vcc_lo
	v_add_co_u32 v75, s0, 0, v68
	v_cndmask_b32_e32 v74, v76, v74, vcc_lo
	v_add_co_ci_u32_e64 v76, null, v13, v7, s0
	global_load_dwordx2 v[73:74], v[73:74], off
	v_add_nc_u32_e32 v76, 32, v76
	v_ashrrev_i64 v[75:76], 29, v[75:76]
	v_add_co_u32 v77, s0, s4, v75
	v_add_co_ci_u32_e64 v78, null, s5, v76, s0
	v_add_co_u32 v75, s0, s22, v75
	v_add_co_ci_u32_e64 v76, null, s23, v76, s0
	global_store_dwordx2 v[77:78], v[47:48], off
	s_waitcnt vmcnt(0)
	global_store_dwordx2 v[75:76], v[73:74], off
	s_or_b32 exec_lo, exec_lo, s21
	s_and_saveexec_b32 s21, s75
	s_cbranch_execz .LBB246_71
.LBB246_127:                            ;   in Loop: Header=BB246_21 Depth=1
	v_add_co_u32 v73, s0, s24, v19
	v_add_co_ci_u32_e64 v74, null, s25, v20, s0
	v_add_co_u32 v75, s0, s24, v35
	v_add_co_ci_u32_e64 v76, null, s25, v36, s0
	v_add_co_u32 v73, s0, 0x200, v73
	v_add_co_ci_u32_e64 v74, null, 0, v74, s0
	v_add_co_u32 v75, s0, 0x500, v75
	v_add_co_ci_u32_e64 v76, null, 0, v76, s0
	v_cndmask_b32_e32 v73, v75, v73, vcc_lo
	v_add_co_u32 v75, s0, 0, v68
	v_cndmask_b32_e32 v74, v76, v74, vcc_lo
	v_add_co_ci_u32_e64 v76, null, v13, v7, s0
	global_load_dwordx2 v[73:74], v[73:74], off
	v_add_nc_u32_e32 v76, 64, v76
	v_ashrrev_i64 v[75:76], 29, v[75:76]
	v_add_co_u32 v77, s0, s4, v75
	v_add_co_ci_u32_e64 v78, null, s5, v76, s0
	v_add_co_u32 v75, s0, s22, v75
	v_add_co_ci_u32_e64 v76, null, s23, v76, s0
	global_store_dwordx2 v[77:78], v[49:50], off
	s_waitcnt vmcnt(0)
	global_store_dwordx2 v[75:76], v[73:74], off
	s_or_b32 exec_lo, exec_lo, s21
	s_and_saveexec_b32 s21, s76
	s_cbranch_execz .LBB246_72
.LBB246_128:                            ;   in Loop: Header=BB246_21 Depth=1
	v_add_co_u32 v73, s0, s24, v19
	v_add_co_ci_u32_e64 v74, null, s25, v20, s0
	v_add_co_u32 v75, s0, s24, v37
	v_add_co_ci_u32_e64 v76, null, s25, v38, s0
	;; [unrolled: 2-line block ×4, first 2 shown]
	v_cndmask_b32_e32 v73, v75, v73, vcc_lo
	v_add_co_u32 v75, s0, 0, v68
	v_cndmask_b32_e32 v74, v76, v74, vcc_lo
	v_add_co_ci_u32_e64 v76, null, v13, v7, s0
	global_load_dwordx2 v[73:74], v[73:74], off
	v_add_nc_u32_e32 v76, 0x60, v76
	v_ashrrev_i64 v[75:76], 29, v[75:76]
	v_add_co_u32 v77, s0, s4, v75
	v_add_co_ci_u32_e64 v78, null, s5, v76, s0
	v_add_co_u32 v75, s0, s22, v75
	v_add_co_ci_u32_e64 v76, null, s23, v76, s0
	global_store_dwordx2 v[77:78], v[51:52], off
	s_waitcnt vmcnt(0)
	global_store_dwordx2 v[75:76], v[73:74], off
	s_or_b32 exec_lo, exec_lo, s21
	s_and_saveexec_b32 s21, s77
	s_cbranch_execz .LBB246_73
.LBB246_129:                            ;   in Loop: Header=BB246_21 Depth=1
	v_add_co_u32 v73, s0, s24, v19
	v_add_co_ci_u32_e64 v74, null, s25, v20, s0
	v_add_co_u32 v75, s0, s24, v39
	v_add_co_ci_u32_e64 v76, null, s25, v40, s0
	;; [unrolled: 2-line block ×4, first 2 shown]
	v_cndmask_b32_e32 v73, v75, v73, vcc_lo
	v_add_co_u32 v75, s0, 0, v68
	v_cndmask_b32_e32 v74, v76, v74, vcc_lo
	v_add_co_ci_u32_e64 v76, null, v13, v7, s0
	global_load_dwordx2 v[73:74], v[73:74], off
	v_add_nc_u32_e32 v76, 0x80, v76
	v_ashrrev_i64 v[75:76], 29, v[75:76]
	v_add_co_u32 v77, s0, s4, v75
	v_add_co_ci_u32_e64 v78, null, s5, v76, s0
	v_add_co_u32 v75, s0, s22, v75
	v_add_co_ci_u32_e64 v76, null, s23, v76, s0
	global_store_dwordx2 v[77:78], v[53:54], off
	s_waitcnt vmcnt(0)
	global_store_dwordx2 v[75:76], v[73:74], off
	s_or_b32 exec_lo, exec_lo, s21
	s_and_saveexec_b32 s21, s78
	s_cbranch_execz .LBB246_74
.LBB246_130:                            ;   in Loop: Header=BB246_21 Depth=1
	v_add_co_u32 v73, s0, s24, v19
	v_add_co_ci_u32_e64 v74, null, s25, v20, s0
	v_add_co_u32 v75, s0, s24, v41
	v_add_co_ci_u32_e64 v76, null, s25, v42, s0
	v_cndmask_b32_e32 v73, v75, v73, vcc_lo
	v_add_co_u32 v75, s0, 0, v68
	v_cndmask_b32_e32 v74, v76, v74, vcc_lo
	v_add_co_ci_u32_e64 v76, null, v13, v7, s0
	global_load_dwordx2 v[73:74], v[73:74], off offset:1280
	v_add_nc_u32_e32 v76, 0xa0, v76
	v_ashrrev_i64 v[75:76], 29, v[75:76]
	v_add_co_u32 v77, s0, s4, v75
	v_add_co_ci_u32_e64 v78, null, s5, v76, s0
	v_add_co_u32 v75, s0, s22, v75
	v_add_co_ci_u32_e64 v76, null, s23, v76, s0
	global_store_dwordx2 v[77:78], v[55:56], off
	s_waitcnt vmcnt(0)
	global_store_dwordx2 v[75:76], v[73:74], off
	s_or_b32 exec_lo, exec_lo, s21
	s_and_saveexec_b32 s21, s79
	s_cbranch_execz .LBB246_75
.LBB246_131:                            ;   in Loop: Header=BB246_21 Depth=1
	v_add_co_u32 v73, s0, s24, v19
	v_add_co_ci_u32_e64 v74, null, s25, v20, s0
	v_add_co_u32 v75, s0, s24, v43
	v_add_co_ci_u32_e64 v76, null, s25, v44, s0
	;; [unrolled: 2-line block ×4, first 2 shown]
	v_cndmask_b32_e32 v73, v75, v73, vcc_lo
	v_add_co_u32 v75, s0, 0, v68
	v_cndmask_b32_e32 v74, v76, v74, vcc_lo
	v_add_co_ci_u32_e64 v76, null, v13, v7, s0
	global_load_dwordx2 v[73:74], v[73:74], off
	v_add_nc_u32_e32 v76, 0xc0, v76
	v_ashrrev_i64 v[75:76], 29, v[75:76]
	v_add_co_u32 v77, s0, s4, v75
	v_add_co_ci_u32_e64 v78, null, s5, v76, s0
	v_add_co_u32 v75, s0, s22, v75
	v_add_co_ci_u32_e64 v76, null, s23, v76, s0
	global_store_dwordx2 v[77:78], v[57:58], off
	s_waitcnt vmcnt(0)
	global_store_dwordx2 v[75:76], v[73:74], off
	s_or_b32 exec_lo, exec_lo, s21
	s_and_saveexec_b32 s21, s80
	s_cbranch_execz .LBB246_76
.LBB246_132:                            ;   in Loop: Header=BB246_21 Depth=1
	v_add_co_u32 v73, s0, s24, v19
	v_add_co_ci_u32_e64 v74, null, s25, v20, s0
	v_add_co_u32 v75, s0, s24, v45
	v_add_co_ci_u32_e64 v76, null, s25, v46, s0
	;; [unrolled: 2-line block ×4, first 2 shown]
	v_cndmask_b32_e32 v73, v75, v73, vcc_lo
	v_add_co_u32 v75, s0, 0, v68
	v_cndmask_b32_e32 v74, v76, v74, vcc_lo
	v_add_co_ci_u32_e64 v76, null, v13, v7, s0
	global_load_dwordx2 v[73:74], v[73:74], off
	v_add_nc_u32_e32 v76, 0xe0, v76
	v_ashrrev_i64 v[75:76], 29, v[75:76]
	v_add_co_u32 v77, s0, s4, v75
	v_add_co_ci_u32_e64 v78, null, s5, v76, s0
	v_add_co_u32 v75, s0, s22, v75
	v_add_co_ci_u32_e64 v76, null, s23, v76, s0
	global_store_dwordx2 v[77:78], v[61:62], off
	s_waitcnt vmcnt(0)
	global_store_dwordx2 v[75:76], v[73:74], off
	s_or_b32 exec_lo, exec_lo, s21
	s_and_saveexec_b32 s21, s81
	s_cbranch_execz .LBB246_77
.LBB246_133:                            ;   in Loop: Header=BB246_21 Depth=1
	v_add_co_u32 v73, s0, s24, v31
	v_add_co_ci_u32_e64 v74, null, s25, v32, s0
	v_add_co_u32 v75, s0, s24, v17
	v_add_co_ci_u32_e64 v76, null, s25, v18, s0
	;; [unrolled: 2-line block ×3, first 2 shown]
	v_cndmask_b32_e32 v73, v73, v75, vcc_lo
	v_add_co_u32 v75, s0, 0, v66
	v_cndmask_b32_e32 v74, v74, v76, vcc_lo
	v_add_co_ci_u32_e64 v76, null, v13, v5, s0
	global_load_dwordx2 v[73:74], v[73:74], off
	v_ashrrev_i64 v[75:76], 29, v[75:76]
	v_add_co_u32 v77, s0, s4, v75
	v_add_co_ci_u32_e64 v78, null, s5, v76, s0
	v_add_co_u32 v75, s0, s22, v75
	v_add_co_ci_u32_e64 v76, null, s23, v76, s0
	global_store_dwordx2 v[77:78], v[59:60], off
	s_waitcnt vmcnt(0)
	global_store_dwordx2 v[75:76], v[73:74], off
	s_or_b32 exec_lo, exec_lo, s21
	s_and_saveexec_b32 s21, s82
	s_cbranch_execz .LBB246_78
.LBB246_134:                            ;   in Loop: Header=BB246_21 Depth=1
	v_add_co_u32 v73, s0, s24, v17
	v_add_co_ci_u32_e64 v74, null, s25, v18, s0
	v_add_co_u32 v75, s0, s24, v33
	v_add_co_ci_u32_e64 v76, null, s25, v34, s0
	;; [unrolled: 2-line block ×4, first 2 shown]
	v_cndmask_b32_e32 v73, v75, v73, vcc_lo
	v_add_co_u32 v75, s0, 0, v66
	v_cndmask_b32_e32 v74, v76, v74, vcc_lo
	v_add_co_ci_u32_e64 v76, null, v13, v5, s0
	global_load_dwordx2 v[73:74], v[73:74], off
	v_add_nc_u32_e32 v76, 32, v76
	v_ashrrev_i64 v[75:76], 29, v[75:76]
	v_add_co_u32 v77, s0, s4, v75
	v_add_co_ci_u32_e64 v78, null, s5, v76, s0
	v_add_co_u32 v75, s0, s22, v75
	v_add_co_ci_u32_e64 v76, null, s23, v76, s0
	global_store_dwordx2 v[77:78], v[47:48], off
	s_waitcnt vmcnt(0)
	global_store_dwordx2 v[75:76], v[73:74], off
	s_or_b32 exec_lo, exec_lo, s21
	s_and_saveexec_b32 s21, s83
	s_cbranch_execz .LBB246_79
.LBB246_135:                            ;   in Loop: Header=BB246_21 Depth=1
	v_add_co_u32 v73, s0, s24, v17
	v_add_co_ci_u32_e64 v74, null, s25, v18, s0
	v_add_co_u32 v75, s0, s24, v35
	v_add_co_ci_u32_e64 v76, null, s25, v36, s0
	;; [unrolled: 2-line block ×4, first 2 shown]
	v_cndmask_b32_e32 v73, v75, v73, vcc_lo
	v_add_co_u32 v75, s0, 0, v66
	v_cndmask_b32_e32 v74, v76, v74, vcc_lo
	v_add_co_ci_u32_e64 v76, null, v13, v5, s0
	global_load_dwordx2 v[73:74], v[73:74], off
	v_add_nc_u32_e32 v76, 64, v76
	v_ashrrev_i64 v[75:76], 29, v[75:76]
	v_add_co_u32 v77, s0, s4, v75
	v_add_co_ci_u32_e64 v78, null, s5, v76, s0
	v_add_co_u32 v75, s0, s22, v75
	v_add_co_ci_u32_e64 v76, null, s23, v76, s0
	global_store_dwordx2 v[77:78], v[49:50], off
	s_waitcnt vmcnt(0)
	global_store_dwordx2 v[75:76], v[73:74], off
	s_or_b32 exec_lo, exec_lo, s21
	s_and_saveexec_b32 s21, s84
	s_cbranch_execz .LBB246_80
.LBB246_136:                            ;   in Loop: Header=BB246_21 Depth=1
	v_add_co_u32 v73, s0, s24, v17
	v_add_co_ci_u32_e64 v74, null, s25, v18, s0
	v_add_co_u32 v75, s0, s24, v37
	v_add_co_ci_u32_e64 v76, null, s25, v38, s0
	;; [unrolled: 2-line block ×4, first 2 shown]
	v_cndmask_b32_e32 v73, v75, v73, vcc_lo
	v_add_co_u32 v75, s0, 0, v66
	v_cndmask_b32_e32 v74, v76, v74, vcc_lo
	v_add_co_ci_u32_e64 v76, null, v13, v5, s0
	global_load_dwordx2 v[73:74], v[73:74], off
	v_add_nc_u32_e32 v76, 0x60, v76
	v_ashrrev_i64 v[75:76], 29, v[75:76]
	v_add_co_u32 v77, s0, s4, v75
	v_add_co_ci_u32_e64 v78, null, s5, v76, s0
	v_add_co_u32 v75, s0, s22, v75
	v_add_co_ci_u32_e64 v76, null, s23, v76, s0
	global_store_dwordx2 v[77:78], v[51:52], off
	s_waitcnt vmcnt(0)
	global_store_dwordx2 v[75:76], v[73:74], off
	s_or_b32 exec_lo, exec_lo, s21
	s_and_saveexec_b32 s21, s85
	s_cbranch_execz .LBB246_81
.LBB246_137:                            ;   in Loop: Header=BB246_21 Depth=1
	v_add_co_u32 v73, s0, s24, v17
	v_add_co_ci_u32_e64 v74, null, s25, v18, s0
	v_add_co_u32 v75, s0, s24, v39
	v_add_co_ci_u32_e64 v76, null, s25, v40, s0
	;; [unrolled: 2-line block ×4, first 2 shown]
	v_cndmask_b32_e32 v73, v75, v73, vcc_lo
	v_add_co_u32 v75, s0, 0, v66
	v_cndmask_b32_e32 v74, v76, v74, vcc_lo
	v_add_co_ci_u32_e64 v76, null, v13, v5, s0
	global_load_dwordx2 v[73:74], v[73:74], off
	v_add_nc_u32_e32 v76, 0x80, v76
	v_ashrrev_i64 v[75:76], 29, v[75:76]
	v_add_co_u32 v77, s0, s4, v75
	v_add_co_ci_u32_e64 v78, null, s5, v76, s0
	v_add_co_u32 v75, s0, s22, v75
	v_add_co_ci_u32_e64 v76, null, s23, v76, s0
	global_store_dwordx2 v[77:78], v[53:54], off
	s_waitcnt vmcnt(0)
	global_store_dwordx2 v[75:76], v[73:74], off
	s_or_b32 exec_lo, exec_lo, s21
	s_and_saveexec_b32 s21, s86
	s_cbranch_execz .LBB246_82
.LBB246_138:                            ;   in Loop: Header=BB246_21 Depth=1
	v_add_co_u32 v73, s0, s24, v17
	v_add_co_ci_u32_e64 v74, null, s25, v18, s0
	v_add_co_u32 v75, s0, s24, v41
	v_add_co_ci_u32_e64 v76, null, s25, v42, s0
	;; [unrolled: 2-line block ×4, first 2 shown]
	v_cndmask_b32_e32 v73, v75, v73, vcc_lo
	v_add_co_u32 v75, s0, 0, v66
	v_cndmask_b32_e32 v74, v76, v74, vcc_lo
	v_add_co_ci_u32_e64 v76, null, v13, v5, s0
	global_load_dwordx2 v[73:74], v[73:74], off
	v_add_nc_u32_e32 v76, 0xa0, v76
	v_ashrrev_i64 v[75:76], 29, v[75:76]
	v_add_co_u32 v77, s0, s4, v75
	v_add_co_ci_u32_e64 v78, null, s5, v76, s0
	v_add_co_u32 v75, s0, s22, v75
	v_add_co_ci_u32_e64 v76, null, s23, v76, s0
	global_store_dwordx2 v[77:78], v[55:56], off
	s_waitcnt vmcnt(0)
	global_store_dwordx2 v[75:76], v[73:74], off
	s_or_b32 exec_lo, exec_lo, s21
	s_and_saveexec_b32 s21, s87
	s_cbranch_execz .LBB246_83
.LBB246_139:                            ;   in Loop: Header=BB246_21 Depth=1
	v_add_co_u32 v73, s0, s24, v17
	v_add_co_ci_u32_e64 v74, null, s25, v18, s0
	v_add_co_u32 v75, s0, s24, v43
	v_add_co_ci_u32_e64 v76, null, s25, v44, s0
	v_cndmask_b32_e32 v73, v75, v73, vcc_lo
	v_add_co_u32 v75, s0, 0, v66
	v_cndmask_b32_e32 v74, v76, v74, vcc_lo
	v_add_co_ci_u32_e64 v76, null, v13, v5, s0
	global_load_dwordx2 v[73:74], v[73:74], off offset:1536
	v_add_nc_u32_e32 v76, 0xc0, v76
	v_ashrrev_i64 v[75:76], 29, v[75:76]
	v_add_co_u32 v77, s0, s4, v75
	v_add_co_ci_u32_e64 v78, null, s5, v76, s0
	v_add_co_u32 v75, s0, s22, v75
	v_add_co_ci_u32_e64 v76, null, s23, v76, s0
	global_store_dwordx2 v[77:78], v[57:58], off
	s_waitcnt vmcnt(0)
	global_store_dwordx2 v[75:76], v[73:74], off
	s_or_b32 exec_lo, exec_lo, s21
	s_and_saveexec_b32 s21, s8
	s_cbranch_execz .LBB246_84
.LBB246_140:                            ;   in Loop: Header=BB246_21 Depth=1
	v_add_co_u32 v73, s0, s24, v17
	v_add_co_ci_u32_e64 v74, null, s25, v18, s0
	v_add_co_u32 v75, s0, s24, v45
	v_add_co_ci_u32_e64 v76, null, s25, v46, s0
	;; [unrolled: 2-line block ×4, first 2 shown]
	v_cndmask_b32_e32 v73, v75, v73, vcc_lo
	v_add_co_u32 v75, s0, 0, v66
	v_cndmask_b32_e32 v74, v76, v74, vcc_lo
	v_add_co_ci_u32_e64 v76, null, v13, v5, s0
	global_load_dwordx2 v[73:74], v[73:74], off
	v_add_nc_u32_e32 v76, 0xe0, v76
	v_ashrrev_i64 v[75:76], 29, v[75:76]
	v_add_co_u32 v77, s0, s4, v75
	v_add_co_ci_u32_e64 v78, null, s5, v76, s0
	v_add_co_u32 v75, s0, s22, v75
	v_add_co_ci_u32_e64 v76, null, s23, v76, s0
	global_store_dwordx2 v[77:78], v[61:62], off
	s_waitcnt vmcnt(0)
	global_store_dwordx2 v[75:76], v[73:74], off
	s_or_b32 exec_lo, exec_lo, s21
	s_and_saveexec_b32 s21, s10
	s_cbranch_execz .LBB246_85
.LBB246_141:                            ;   in Loop: Header=BB246_21 Depth=1
	v_add_co_u32 v73, s0, s24, v31
	v_add_co_ci_u32_e64 v74, null, s25, v32, s0
	v_add_co_u32 v75, s0, s24, v15
	v_add_co_ci_u32_e64 v76, null, s25, v16, s0
	;; [unrolled: 2-line block ×3, first 2 shown]
	v_cndmask_b32_e32 v73, v73, v75, vcc_lo
	v_add_co_u32 v75, s0, 0, v64
	v_cndmask_b32_e32 v74, v74, v76, vcc_lo
	v_add_co_ci_u32_e64 v76, null, v13, v3, s0
	global_load_dwordx2 v[73:74], v[73:74], off
	v_ashrrev_i64 v[75:76], 29, v[75:76]
	v_add_co_u32 v77, s0, s4, v75
	v_add_co_ci_u32_e64 v78, null, s5, v76, s0
	v_add_co_u32 v75, s0, s22, v75
	v_add_co_ci_u32_e64 v76, null, s23, v76, s0
	global_store_dwordx2 v[77:78], v[59:60], off
	s_waitcnt vmcnt(0)
	global_store_dwordx2 v[75:76], v[73:74], off
	s_or_b32 exec_lo, exec_lo, s21
	s_and_saveexec_b32 s21, s11
	s_cbranch_execz .LBB246_86
.LBB246_142:                            ;   in Loop: Header=BB246_21 Depth=1
	v_add_co_u32 v59, s0, s24, v15
	v_add_co_ci_u32_e64 v60, null, s25, v16, s0
	v_add_co_u32 v73, s0, s24, v33
	v_add_co_ci_u32_e64 v74, null, s25, v34, s0
	;; [unrolled: 2-line block ×4, first 2 shown]
	v_cndmask_b32_e32 v59, v73, v59, vcc_lo
	v_add_co_u32 v73, s0, 0, v64
	v_cndmask_b32_e32 v60, v74, v60, vcc_lo
	v_add_co_ci_u32_e64 v74, null, v13, v3, s0
	global_load_dwordx2 v[59:60], v[59:60], off
	v_add_nc_u32_e32 v74, 32, v74
	v_ashrrev_i64 v[73:74], 29, v[73:74]
	v_add_co_u32 v75, s0, s4, v73
	v_add_co_ci_u32_e64 v76, null, s5, v74, s0
	v_add_co_u32 v73, s0, s22, v73
	v_add_co_ci_u32_e64 v74, null, s23, v74, s0
	global_store_dwordx2 v[75:76], v[47:48], off
	s_waitcnt vmcnt(0)
	global_store_dwordx2 v[73:74], v[59:60], off
	s_or_b32 exec_lo, exec_lo, s21
	s_and_saveexec_b32 s21, s12
	s_cbranch_execz .LBB246_87
.LBB246_143:                            ;   in Loop: Header=BB246_21 Depth=1
	v_add_co_u32 v47, s0, s24, v15
	v_add_co_ci_u32_e64 v48, null, s25, v16, s0
	v_add_co_u32 v59, s0, s24, v35
	v_add_co_ci_u32_e64 v60, null, s25, v36, s0
	v_add_co_u32 v47, s0, 0x200, v47
	v_add_co_ci_u32_e64 v48, null, 0, v48, s0
	v_add_co_u32 v59, s0, 0x700, v59
	v_add_co_ci_u32_e64 v60, null, 0, v60, s0
	v_cndmask_b32_e32 v47, v59, v47, vcc_lo
	v_add_co_u32 v59, s0, 0, v64
	v_cndmask_b32_e32 v48, v60, v48, vcc_lo
	v_add_co_ci_u32_e64 v60, null, v13, v3, s0
	global_load_dwordx2 v[47:48], v[47:48], off
	v_add_nc_u32_e32 v60, 64, v60
	v_ashrrev_i64 v[59:60], 29, v[59:60]
	v_add_co_u32 v73, s0, s4, v59
	v_add_co_ci_u32_e64 v74, null, s5, v60, s0
	v_add_co_u32 v59, s0, s22, v59
	v_add_co_ci_u32_e64 v60, null, s23, v60, s0
	global_store_dwordx2 v[73:74], v[49:50], off
	s_waitcnt vmcnt(0)
	global_store_dwordx2 v[59:60], v[47:48], off
	s_or_b32 exec_lo, exec_lo, s21
	s_and_saveexec_b32 s21, s13
	s_cbranch_execz .LBB246_88
.LBB246_144:                            ;   in Loop: Header=BB246_21 Depth=1
	v_add_co_u32 v47, s0, s24, v15
	v_add_co_ci_u32_e64 v48, null, s25, v16, s0
	v_add_co_u32 v49, s0, s24, v37
	v_add_co_ci_u32_e64 v50, null, s25, v38, s0
	;; [unrolled: 2-line block ×4, first 2 shown]
	v_cndmask_b32_e32 v47, v49, v47, vcc_lo
	v_add_co_u32 v49, s0, 0, v64
	v_cndmask_b32_e32 v48, v50, v48, vcc_lo
	v_add_co_ci_u32_e64 v50, null, v13, v3, s0
	global_load_dwordx2 v[47:48], v[47:48], off
	v_add_nc_u32_e32 v50, 0x60, v50
	v_ashrrev_i64 v[49:50], 29, v[49:50]
	v_add_co_u32 v59, s0, s4, v49
	v_add_co_ci_u32_e64 v60, null, s5, v50, s0
	v_add_co_u32 v49, s0, s22, v49
	v_add_co_ci_u32_e64 v50, null, s23, v50, s0
	global_store_dwordx2 v[59:60], v[51:52], off
	s_waitcnt vmcnt(0)
	global_store_dwordx2 v[49:50], v[47:48], off
	s_or_b32 exec_lo, exec_lo, s21
	s_and_saveexec_b32 s21, s14
	s_cbranch_execz .LBB246_89
.LBB246_145:                            ;   in Loop: Header=BB246_21 Depth=1
	v_add_co_u32 v47, s0, s24, v15
	v_add_co_ci_u32_e64 v48, null, s25, v16, s0
	v_add_co_u32 v49, s0, s24, v39
	v_add_co_ci_u32_e64 v50, null, s25, v40, s0
	;; [unrolled: 2-line block ×4, first 2 shown]
	v_cndmask_b32_e32 v47, v49, v47, vcc_lo
	v_add_co_u32 v49, s0, 0, v64
	v_cndmask_b32_e32 v48, v50, v48, vcc_lo
	v_add_co_ci_u32_e64 v50, null, v13, v3, s0
	global_load_dwordx2 v[47:48], v[47:48], off
	v_add_nc_u32_e32 v50, 0x80, v50
	v_ashrrev_i64 v[49:50], 29, v[49:50]
	v_add_co_u32 v51, s0, s4, v49
	v_add_co_ci_u32_e64 v52, null, s5, v50, s0
	v_add_co_u32 v49, s0, s22, v49
	v_add_co_ci_u32_e64 v50, null, s23, v50, s0
	global_store_dwordx2 v[51:52], v[53:54], off
	s_waitcnt vmcnt(0)
	global_store_dwordx2 v[49:50], v[47:48], off
	s_or_b32 exec_lo, exec_lo, s21
	s_and_saveexec_b32 s21, s15
	s_cbranch_execz .LBB246_90
.LBB246_146:                            ;   in Loop: Header=BB246_21 Depth=1
	v_add_co_u32 v47, s0, s24, v15
	v_add_co_ci_u32_e64 v48, null, s25, v16, s0
	v_add_co_u32 v49, s0, s24, v41
	v_add_co_ci_u32_e64 v50, null, s25, v42, s0
	v_add_co_u32 v47, s0, 0x500, v47
	v_add_co_ci_u32_e64 v48, null, 0, v48, s0
	v_add_co_u32 v49, s0, 0x700, v49
	v_add_co_ci_u32_e64 v50, null, 0, v50, s0
	v_cndmask_b32_e32 v47, v49, v47, vcc_lo
	v_add_co_u32 v49, s0, 0, v64
	v_cndmask_b32_e32 v48, v50, v48, vcc_lo
	v_add_co_ci_u32_e64 v50, null, v13, v3, s0
	global_load_dwordx2 v[47:48], v[47:48], off
	v_add_nc_u32_e32 v50, 0xa0, v50
	v_ashrrev_i64 v[49:50], 29, v[49:50]
	v_add_co_u32 v51, s0, s4, v49
	v_add_co_ci_u32_e64 v52, null, s5, v50, s0
	v_add_co_u32 v49, s0, s22, v49
	v_add_co_ci_u32_e64 v50, null, s23, v50, s0
	global_store_dwordx2 v[51:52], v[55:56], off
	s_waitcnt vmcnt(0)
	global_store_dwordx2 v[49:50], v[47:48], off
	s_or_b32 exec_lo, exec_lo, s21
	s_and_saveexec_b32 s21, s16
	s_cbranch_execz .LBB246_91
.LBB246_147:                            ;   in Loop: Header=BB246_21 Depth=1
	v_add_co_u32 v47, s0, s24, v15
	v_add_co_ci_u32_e64 v48, null, s25, v16, s0
	v_add_co_u32 v49, s0, s24, v43
	v_add_co_ci_u32_e64 v50, null, s25, v44, s0
	;; [unrolled: 2-line block ×4, first 2 shown]
	v_cndmask_b32_e32 v47, v49, v47, vcc_lo
	v_add_co_u32 v49, s0, 0, v64
	v_cndmask_b32_e32 v48, v50, v48, vcc_lo
	v_add_co_ci_u32_e64 v50, null, v13, v3, s0
	global_load_dwordx2 v[47:48], v[47:48], off
	v_add_nc_u32_e32 v50, 0xc0, v50
	v_ashrrev_i64 v[49:50], 29, v[49:50]
	v_add_co_u32 v51, s0, s4, v49
	v_add_co_ci_u32_e64 v52, null, s5, v50, s0
	v_add_co_u32 v49, s0, s22, v49
	v_add_co_ci_u32_e64 v50, null, s23, v50, s0
	global_store_dwordx2 v[51:52], v[57:58], off
	s_waitcnt vmcnt(0)
	global_store_dwordx2 v[49:50], v[47:48], off
	s_or_b32 exec_lo, exec_lo, s21
	s_and_saveexec_b32 s21, s9
	s_cbranch_execz .LBB246_20
.LBB246_148:                            ;   in Loop: Header=BB246_21 Depth=1
	v_add_co_u32 v47, s0, s24, v15
	v_add_co_ci_u32_e64 v48, null, s25, v16, s0
	v_add_co_u32 v49, s0, s24, v45
	v_add_co_ci_u32_e64 v50, null, s25, v46, s0
	v_cndmask_b32_e32 v47, v49, v47, vcc_lo
	v_add_co_u32 v49, s0, 0, v64
	v_cndmask_b32_e32 v48, v50, v48, vcc_lo
	v_add_co_ci_u32_e64 v50, null, v13, v3, s0
	global_load_dwordx2 v[47:48], v[47:48], off offset:1792
	v_add_nc_u32_e32 v50, 0xe0, v50
	v_ashrrev_i64 v[49:50], 29, v[49:50]
	v_add_co_u32 v51, s0, s4, v49
	v_add_co_ci_u32_e64 v52, null, s5, v50, s0
	v_add_co_u32 v49, s0, s22, v49
	v_add_co_ci_u32_e64 v50, null, s23, v50, s0
	global_store_dwordx2 v[51:52], v[61:62], off
	s_waitcnt vmcnt(0)
	global_store_dwordx2 v[49:50], v[47:48], off
	s_branch .LBB246_20
.LBB246_149:
	s_endpgm
	.section	.rodata,"a",@progbits
	.p2align	6, 0x0
	.amdhsa_kernel _ZN9rocsparseL35bsr2csr_block_per_row_33_256_kernelILj1024ELj256ELj32EdilEEv20rocsparse_direction_T4_S2_21rocsparse_index_base_PKT2_PKT3_PKS2_S2_S3_PS4_PS7_PS2_
		.amdhsa_group_segment_fixed_size 0
		.amdhsa_private_segment_fixed_size 0
		.amdhsa_kernarg_size 96
		.amdhsa_user_sgpr_count 6
		.amdhsa_user_sgpr_private_segment_buffer 1
		.amdhsa_user_sgpr_dispatch_ptr 0
		.amdhsa_user_sgpr_queue_ptr 0
		.amdhsa_user_sgpr_kernarg_segment_ptr 1
		.amdhsa_user_sgpr_dispatch_id 0
		.amdhsa_user_sgpr_flat_scratch_init 0
		.amdhsa_user_sgpr_private_segment_size 0
		.amdhsa_wavefront_size32 1
		.amdhsa_uses_dynamic_stack 0
		.amdhsa_system_sgpr_private_segment_wavefront_offset 0
		.amdhsa_system_sgpr_workgroup_id_x 1
		.amdhsa_system_sgpr_workgroup_id_y 0
		.amdhsa_system_sgpr_workgroup_id_z 0
		.amdhsa_system_sgpr_workgroup_info 0
		.amdhsa_system_vgpr_workitem_id 0
		.amdhsa_next_free_vgpr 79
		.amdhsa_next_free_sgpr 89
		.amdhsa_reserve_vcc 1
		.amdhsa_reserve_flat_scratch 0
		.amdhsa_float_round_mode_32 0
		.amdhsa_float_round_mode_16_64 0
		.amdhsa_float_denorm_mode_32 3
		.amdhsa_float_denorm_mode_16_64 3
		.amdhsa_dx10_clamp 1
		.amdhsa_ieee_mode 1
		.amdhsa_fp16_overflow 0
		.amdhsa_workgroup_processor_mode 1
		.amdhsa_memory_ordered 1
		.amdhsa_forward_progress 1
		.amdhsa_shared_vgpr_count 0
		.amdhsa_exception_fp_ieee_invalid_op 0
		.amdhsa_exception_fp_denorm_src 0
		.amdhsa_exception_fp_ieee_div_zero 0
		.amdhsa_exception_fp_ieee_overflow 0
		.amdhsa_exception_fp_ieee_underflow 0
		.amdhsa_exception_fp_ieee_inexact 0
		.amdhsa_exception_int_div_zero 0
	.end_amdhsa_kernel
	.section	.text._ZN9rocsparseL35bsr2csr_block_per_row_33_256_kernelILj1024ELj256ELj32EdilEEv20rocsparse_direction_T4_S2_21rocsparse_index_base_PKT2_PKT3_PKS2_S2_S3_PS4_PS7_PS2_,"axG",@progbits,_ZN9rocsparseL35bsr2csr_block_per_row_33_256_kernelILj1024ELj256ELj32EdilEEv20rocsparse_direction_T4_S2_21rocsparse_index_base_PKT2_PKT3_PKS2_S2_S3_PS4_PS7_PS2_,comdat
.Lfunc_end246:
	.size	_ZN9rocsparseL35bsr2csr_block_per_row_33_256_kernelILj1024ELj256ELj32EdilEEv20rocsparse_direction_T4_S2_21rocsparse_index_base_PKT2_PKT3_PKS2_S2_S3_PS4_PS7_PS2_, .Lfunc_end246-_ZN9rocsparseL35bsr2csr_block_per_row_33_256_kernelILj1024ELj256ELj32EdilEEv20rocsparse_direction_T4_S2_21rocsparse_index_base_PKT2_PKT3_PKS2_S2_S3_PS4_PS7_PS2_
                                        ; -- End function
	.set _ZN9rocsparseL35bsr2csr_block_per_row_33_256_kernelILj1024ELj256ELj32EdilEEv20rocsparse_direction_T4_S2_21rocsparse_index_base_PKT2_PKT3_PKS2_S2_S3_PS4_PS7_PS2_.num_vgpr, 79
	.set _ZN9rocsparseL35bsr2csr_block_per_row_33_256_kernelILj1024ELj256ELj32EdilEEv20rocsparse_direction_T4_S2_21rocsparse_index_base_PKT2_PKT3_PKS2_S2_S3_PS4_PS7_PS2_.num_agpr, 0
	.set _ZN9rocsparseL35bsr2csr_block_per_row_33_256_kernelILj1024ELj256ELj32EdilEEv20rocsparse_direction_T4_S2_21rocsparse_index_base_PKT2_PKT3_PKS2_S2_S3_PS4_PS7_PS2_.numbered_sgpr, 89
	.set _ZN9rocsparseL35bsr2csr_block_per_row_33_256_kernelILj1024ELj256ELj32EdilEEv20rocsparse_direction_T4_S2_21rocsparse_index_base_PKT2_PKT3_PKS2_S2_S3_PS4_PS7_PS2_.num_named_barrier, 0
	.set _ZN9rocsparseL35bsr2csr_block_per_row_33_256_kernelILj1024ELj256ELj32EdilEEv20rocsparse_direction_T4_S2_21rocsparse_index_base_PKT2_PKT3_PKS2_S2_S3_PS4_PS7_PS2_.private_seg_size, 0
	.set _ZN9rocsparseL35bsr2csr_block_per_row_33_256_kernelILj1024ELj256ELj32EdilEEv20rocsparse_direction_T4_S2_21rocsparse_index_base_PKT2_PKT3_PKS2_S2_S3_PS4_PS7_PS2_.uses_vcc, 1
	.set _ZN9rocsparseL35bsr2csr_block_per_row_33_256_kernelILj1024ELj256ELj32EdilEEv20rocsparse_direction_T4_S2_21rocsparse_index_base_PKT2_PKT3_PKS2_S2_S3_PS4_PS7_PS2_.uses_flat_scratch, 0
	.set _ZN9rocsparseL35bsr2csr_block_per_row_33_256_kernelILj1024ELj256ELj32EdilEEv20rocsparse_direction_T4_S2_21rocsparse_index_base_PKT2_PKT3_PKS2_S2_S3_PS4_PS7_PS2_.has_dyn_sized_stack, 0
	.set _ZN9rocsparseL35bsr2csr_block_per_row_33_256_kernelILj1024ELj256ELj32EdilEEv20rocsparse_direction_T4_S2_21rocsparse_index_base_PKT2_PKT3_PKS2_S2_S3_PS4_PS7_PS2_.has_recursion, 0
	.set _ZN9rocsparseL35bsr2csr_block_per_row_33_256_kernelILj1024ELj256ELj32EdilEEv20rocsparse_direction_T4_S2_21rocsparse_index_base_PKT2_PKT3_PKS2_S2_S3_PS4_PS7_PS2_.has_indirect_call, 0
	.section	.AMDGPU.csdata,"",@progbits
; Kernel info:
; codeLenInByte = 14220
; TotalNumSgprs: 91
; NumVgprs: 79
; ScratchSize: 0
; MemoryBound: 0
; FloatMode: 240
; IeeeMode: 1
; LDSByteSize: 0 bytes/workgroup (compile time only)
; SGPRBlocks: 0
; VGPRBlocks: 9
; NumSGPRsForWavesPerEU: 91
; NumVGPRsForWavesPerEU: 79
; Occupancy: 12
; WaveLimiterHint : 1
; COMPUTE_PGM_RSRC2:SCRATCH_EN: 0
; COMPUTE_PGM_RSRC2:USER_SGPR: 6
; COMPUTE_PGM_RSRC2:TRAP_HANDLER: 0
; COMPUTE_PGM_RSRC2:TGID_X_EN: 1
; COMPUTE_PGM_RSRC2:TGID_Y_EN: 0
; COMPUTE_PGM_RSRC2:TGID_Z_EN: 0
; COMPUTE_PGM_RSRC2:TIDIG_COMP_CNT: 0
	.section	.text._ZN9rocsparseL35bsr2csr_block_dim_equals_one_kernelILj1024EdllEEvT2_S1_21rocsparse_index_base_PKT0_PKT1_PKS1_S2_PS3_PS6_PS1_,"axG",@progbits,_ZN9rocsparseL35bsr2csr_block_dim_equals_one_kernelILj1024EdllEEvT2_S1_21rocsparse_index_base_PKT0_PKT1_PKS1_S2_PS3_PS6_PS1_,comdat
	.globl	_ZN9rocsparseL35bsr2csr_block_dim_equals_one_kernelILj1024EdllEEvT2_S1_21rocsparse_index_base_PKT0_PKT1_PKS1_S2_PS3_PS6_PS1_ ; -- Begin function _ZN9rocsparseL35bsr2csr_block_dim_equals_one_kernelILj1024EdllEEvT2_S1_21rocsparse_index_base_PKT0_PKT1_PKS1_S2_PS3_PS6_PS1_
	.p2align	8
	.type	_ZN9rocsparseL35bsr2csr_block_dim_equals_one_kernelILj1024EdllEEvT2_S1_21rocsparse_index_base_PKT0_PKT1_PKS1_S2_PS3_PS6_PS1_,@function
_ZN9rocsparseL35bsr2csr_block_dim_equals_one_kernelILj1024EdllEEvT2_S1_21rocsparse_index_base_PKT0_PKT1_PKS1_S2_PS3_PS6_PS1_: ; @_ZN9rocsparseL35bsr2csr_block_dim_equals_one_kernelILj1024EdllEEvT2_S1_21rocsparse_index_base_PKT0_PKT1_PKS1_S2_PS3_PS6_PS1_
; %bb.0:
	s_clause 0x6
	s_load_dwordx2 s[0:1], s[4:5], 0x0
	s_load_dword s18, s[4:5], 0x10
	s_load_dwordx4 s[8:11], s[4:5], 0x18
	s_load_dwordx2 s[2:3], s[4:5], 0x28
	s_load_dwordx2 s[12:13], s[4:5], 0x48
	s_load_dword s19, s[4:5], 0x30
	s_load_dwordx2 s[14:15], s[4:5], 0x38
	v_lshl_or_b32 v0, s6, 10, v0
	v_mov_b32_e32 v1, 0
	s_mov_b32 s20, exec_lo
	s_waitcnt lgkmcnt(0)
	v_cmpx_gt_i64_e64 s[0:1], v[0:1]
	s_cbranch_execz .LBB247_6
; %bb.1:
	s_load_dwordx2 s[6:7], s[4:5], 0x40
	s_mov_b32 s21, exec_lo
                                        ; implicit-def: $sgpr16_sgpr17
	v_cmpx_ne_u32_e32 0, v0
	s_xor_b32 s21, exec_lo, s21
; %bb.2:
	s_sub_u32 s16, s19, s18
	s_subb_u32 s17, 0, 0
; %bb.3:
	s_or_saveexec_b32 s21, s21
	v_mov_b32_e32 v2, s16
	v_mov_b32_e32 v3, s17
	s_xor_b32 exec_lo, exec_lo, s21
	s_cbranch_execz .LBB247_5
; %bb.4:
	s_load_dwordx2 s[16:17], s[10:11], 0x0
	s_sub_u32 s22, s19, s18
	s_subb_u32 s23, 0, 0
	v_mov_b32_e32 v2, s22
	v_mov_b32_e32 v6, 0
	;; [unrolled: 1-line block ×3, first 2 shown]
	s_waitcnt lgkmcnt(0)
	s_add_u32 s16, s22, s16
	s_addc_u32 s17, s23, s17
	v_mov_b32_e32 v4, s16
	v_mov_b32_e32 v5, s17
	global_store_dwordx2 v6, v[4:5], s[6:7]
.LBB247_5:
	s_or_b32 exec_lo, exec_lo, s21
	v_lshlrev_b64 v[4:5], 3, v[0:1]
	v_add_co_u32 v6, vcc_lo, s10, v4
	v_add_co_ci_u32_e64 v7, null, s11, v5, vcc_lo
	global_load_dwordx2 v[6:7], v[6:7], off offset:8
	s_waitcnt vmcnt(0)
	v_add_co_u32 v2, vcc_lo, v2, v6
	v_add_co_ci_u32_e64 v3, null, v3, v7, vcc_lo
	s_waitcnt lgkmcnt(0)
	v_add_co_u32 v4, vcc_lo, s6, v4
	v_add_co_ci_u32_e64 v5, null, s7, v5, vcc_lo
	global_store_dwordx2 v[4:5], v[2:3], off offset:8
.LBB247_6:
	s_or_b32 exec_lo, exec_lo, s20
	s_lshl_b64 s[0:1], s[0:1], 3
	s_add_u32 s0, s10, s0
	s_addc_u32 s1, s11, s1
	s_clause 0x1
	s_load_dwordx2 s[0:1], s[0:1], 0x0
	s_load_dwordx2 s[6:7], s[10:11], 0x0
	s_waitcnt lgkmcnt(0)
	s_sub_u32 s6, s0, s6
	s_subb_u32 s7, s1, s7
	s_mov_b32 s0, exec_lo
	v_cmpx_gt_i64_e64 s[6:7], v[0:1]
	s_cbranch_execz .LBB247_9
; %bb.7:
	s_load_dword s0, s[4:5], 0x50
	v_lshlrev_b64 v[2:3], 3, v[0:1]
	s_sub_u32 s16, s19, s18
	s_mov_b32 s5, 0
	s_subb_u32 s17, 0, 0
	s_waitcnt lgkmcnt(0)
	s_lshl_b32 s4, s0, 10
	s_lshl_b64 s[10:11], s[4:5], 3
	s_inst_prefetch 0x1
	.p2align	6
.LBB247_8:                              ; =>This Inner Loop Header: Depth=1
	v_add_co_u32 v4, vcc_lo, s2, v2
	v_add_co_ci_u32_e64 v5, null, s3, v3, vcc_lo
	v_add_co_u32 v6, vcc_lo, s8, v2
	v_add_co_ci_u32_e64 v7, null, s9, v3, vcc_lo
	global_load_dwordx2 v[4:5], v[4:5], off
	global_load_dwordx2 v[6:7], v[6:7], off
	v_add_co_u32 v8, vcc_lo, s12, v2
	v_add_co_ci_u32_e64 v9, null, s13, v3, vcc_lo
	v_add_co_u32 v0, vcc_lo, v0, s4
	v_add_co_ci_u32_e64 v1, null, 0, v1, vcc_lo
	;; [unrolled: 2-line block ×3, first 2 shown]
	v_cmp_le_i64_e64 s0, s[6:7], v[0:1]
	v_add_co_u32 v2, vcc_lo, v2, s10
	v_add_co_ci_u32_e64 v3, null, s11, v3, vcc_lo
	s_or_b32 s5, s0, s5
	s_waitcnt vmcnt(1)
	v_add_co_u32 v4, s1, s16, v4
	v_add_co_ci_u32_e64 v5, null, s17, v5, s1
	s_waitcnt vmcnt(0)
	global_store_dwordx2 v[10:11], v[6:7], off
	global_store_dwordx2 v[8:9], v[4:5], off
	s_andn2_b32 exec_lo, exec_lo, s5
	s_cbranch_execnz .LBB247_8
.LBB247_9:
	s_inst_prefetch 0x2
	s_endpgm
	.section	.rodata,"a",@progbits
	.p2align	6, 0x0
	.amdhsa_kernel _ZN9rocsparseL35bsr2csr_block_dim_equals_one_kernelILj1024EdllEEvT2_S1_21rocsparse_index_base_PKT0_PKT1_PKS1_S2_PS3_PS6_PS1_
		.amdhsa_group_segment_fixed_size 0
		.amdhsa_private_segment_fixed_size 0
		.amdhsa_kernarg_size 336
		.amdhsa_user_sgpr_count 6
		.amdhsa_user_sgpr_private_segment_buffer 1
		.amdhsa_user_sgpr_dispatch_ptr 0
		.amdhsa_user_sgpr_queue_ptr 0
		.amdhsa_user_sgpr_kernarg_segment_ptr 1
		.amdhsa_user_sgpr_dispatch_id 0
		.amdhsa_user_sgpr_flat_scratch_init 0
		.amdhsa_user_sgpr_private_segment_size 0
		.amdhsa_wavefront_size32 1
		.amdhsa_uses_dynamic_stack 0
		.amdhsa_system_sgpr_private_segment_wavefront_offset 0
		.amdhsa_system_sgpr_workgroup_id_x 1
		.amdhsa_system_sgpr_workgroup_id_y 0
		.amdhsa_system_sgpr_workgroup_id_z 0
		.amdhsa_system_sgpr_workgroup_info 0
		.amdhsa_system_vgpr_workitem_id 0
		.amdhsa_next_free_vgpr 12
		.amdhsa_next_free_sgpr 24
		.amdhsa_reserve_vcc 1
		.amdhsa_reserve_flat_scratch 0
		.amdhsa_float_round_mode_32 0
		.amdhsa_float_round_mode_16_64 0
		.amdhsa_float_denorm_mode_32 3
		.amdhsa_float_denorm_mode_16_64 3
		.amdhsa_dx10_clamp 1
		.amdhsa_ieee_mode 1
		.amdhsa_fp16_overflow 0
		.amdhsa_workgroup_processor_mode 1
		.amdhsa_memory_ordered 1
		.amdhsa_forward_progress 1
		.amdhsa_shared_vgpr_count 0
		.amdhsa_exception_fp_ieee_invalid_op 0
		.amdhsa_exception_fp_denorm_src 0
		.amdhsa_exception_fp_ieee_div_zero 0
		.amdhsa_exception_fp_ieee_overflow 0
		.amdhsa_exception_fp_ieee_underflow 0
		.amdhsa_exception_fp_ieee_inexact 0
		.amdhsa_exception_int_div_zero 0
	.end_amdhsa_kernel
	.section	.text._ZN9rocsparseL35bsr2csr_block_dim_equals_one_kernelILj1024EdllEEvT2_S1_21rocsparse_index_base_PKT0_PKT1_PKS1_S2_PS3_PS6_PS1_,"axG",@progbits,_ZN9rocsparseL35bsr2csr_block_dim_equals_one_kernelILj1024EdllEEvT2_S1_21rocsparse_index_base_PKT0_PKT1_PKS1_S2_PS3_PS6_PS1_,comdat
.Lfunc_end247:
	.size	_ZN9rocsparseL35bsr2csr_block_dim_equals_one_kernelILj1024EdllEEvT2_S1_21rocsparse_index_base_PKT0_PKT1_PKS1_S2_PS3_PS6_PS1_, .Lfunc_end247-_ZN9rocsparseL35bsr2csr_block_dim_equals_one_kernelILj1024EdllEEvT2_S1_21rocsparse_index_base_PKT0_PKT1_PKS1_S2_PS3_PS6_PS1_
                                        ; -- End function
	.set _ZN9rocsparseL35bsr2csr_block_dim_equals_one_kernelILj1024EdllEEvT2_S1_21rocsparse_index_base_PKT0_PKT1_PKS1_S2_PS3_PS6_PS1_.num_vgpr, 12
	.set _ZN9rocsparseL35bsr2csr_block_dim_equals_one_kernelILj1024EdllEEvT2_S1_21rocsparse_index_base_PKT0_PKT1_PKS1_S2_PS3_PS6_PS1_.num_agpr, 0
	.set _ZN9rocsparseL35bsr2csr_block_dim_equals_one_kernelILj1024EdllEEvT2_S1_21rocsparse_index_base_PKT0_PKT1_PKS1_S2_PS3_PS6_PS1_.numbered_sgpr, 24
	.set _ZN9rocsparseL35bsr2csr_block_dim_equals_one_kernelILj1024EdllEEvT2_S1_21rocsparse_index_base_PKT0_PKT1_PKS1_S2_PS3_PS6_PS1_.num_named_barrier, 0
	.set _ZN9rocsparseL35bsr2csr_block_dim_equals_one_kernelILj1024EdllEEvT2_S1_21rocsparse_index_base_PKT0_PKT1_PKS1_S2_PS3_PS6_PS1_.private_seg_size, 0
	.set _ZN9rocsparseL35bsr2csr_block_dim_equals_one_kernelILj1024EdllEEvT2_S1_21rocsparse_index_base_PKT0_PKT1_PKS1_S2_PS3_PS6_PS1_.uses_vcc, 1
	.set _ZN9rocsparseL35bsr2csr_block_dim_equals_one_kernelILj1024EdllEEvT2_S1_21rocsparse_index_base_PKT0_PKT1_PKS1_S2_PS3_PS6_PS1_.uses_flat_scratch, 0
	.set _ZN9rocsparseL35bsr2csr_block_dim_equals_one_kernelILj1024EdllEEvT2_S1_21rocsparse_index_base_PKT0_PKT1_PKS1_S2_PS3_PS6_PS1_.has_dyn_sized_stack, 0
	.set _ZN9rocsparseL35bsr2csr_block_dim_equals_one_kernelILj1024EdllEEvT2_S1_21rocsparse_index_base_PKT0_PKT1_PKS1_S2_PS3_PS6_PS1_.has_recursion, 0
	.set _ZN9rocsparseL35bsr2csr_block_dim_equals_one_kernelILj1024EdllEEvT2_S1_21rocsparse_index_base_PKT0_PKT1_PKS1_S2_PS3_PS6_PS1_.has_indirect_call, 0
	.section	.AMDGPU.csdata,"",@progbits
; Kernel info:
; codeLenInByte = 628
; TotalNumSgprs: 26
; NumVgprs: 12
; ScratchSize: 0
; MemoryBound: 0
; FloatMode: 240
; IeeeMode: 1
; LDSByteSize: 0 bytes/workgroup (compile time only)
; SGPRBlocks: 0
; VGPRBlocks: 1
; NumSGPRsForWavesPerEU: 26
; NumVGPRsForWavesPerEU: 12
; Occupancy: 16
; WaveLimiterHint : 0
; COMPUTE_PGM_RSRC2:SCRATCH_EN: 0
; COMPUTE_PGM_RSRC2:USER_SGPR: 6
; COMPUTE_PGM_RSRC2:TRAP_HANDLER: 0
; COMPUTE_PGM_RSRC2:TGID_X_EN: 1
; COMPUTE_PGM_RSRC2:TGID_Y_EN: 0
; COMPUTE_PGM_RSRC2:TGID_Z_EN: 0
; COMPUTE_PGM_RSRC2:TIDIG_COMP_CNT: 0
	.section	.text._ZN9rocsparseL32bsr2csr_block_per_row_2_7_kernelILj256ELj2EdllEEv20rocsparse_direction_T3_S2_21rocsparse_index_base_PKT1_PKT2_PKS2_S2_S3_PS4_PS7_PS2_,"axG",@progbits,_ZN9rocsparseL32bsr2csr_block_per_row_2_7_kernelILj256ELj2EdllEEv20rocsparse_direction_T3_S2_21rocsparse_index_base_PKT1_PKT2_PKS2_S2_S3_PS4_PS7_PS2_,comdat
	.globl	_ZN9rocsparseL32bsr2csr_block_per_row_2_7_kernelILj256ELj2EdllEEv20rocsparse_direction_T3_S2_21rocsparse_index_base_PKT1_PKT2_PKS2_S2_S3_PS4_PS7_PS2_ ; -- Begin function _ZN9rocsparseL32bsr2csr_block_per_row_2_7_kernelILj256ELj2EdllEEv20rocsparse_direction_T3_S2_21rocsparse_index_base_PKT1_PKT2_PKS2_S2_S3_PS4_PS7_PS2_
	.p2align	8
	.type	_ZN9rocsparseL32bsr2csr_block_per_row_2_7_kernelILj256ELj2EdllEEv20rocsparse_direction_T3_S2_21rocsparse_index_base_PKT1_PKT2_PKS2_S2_S3_PS4_PS7_PS2_,@function
_ZN9rocsparseL32bsr2csr_block_per_row_2_7_kernelILj256ELj2EdllEEv20rocsparse_direction_T3_S2_21rocsparse_index_base_PKT1_PKT2_PKS2_S2_S3_PS4_PS7_PS2_: ; @_ZN9rocsparseL32bsr2csr_block_per_row_2_7_kernelILj256ELj2EdllEEv20rocsparse_direction_T3_S2_21rocsparse_index_base_PKT1_PKT2_PKS2_S2_S3_PS4_PS7_PS2_
; %bb.0:
	s_load_dwordx2 s[0:1], s[4:5], 0x28
	s_mov_b32 s9, 0
	s_clause 0x1
	s_load_dword s10, s[4:5], 0x40
	s_load_dwordx2 s[12:13], s[4:5], 0x50
	s_mov_b32 s7, s9
	v_or_b32_e32 v1, s6, v0
	s_lshl_b64 s[2:3], s[6:7], 3
	s_mov_b32 s8, exec_lo
	s_waitcnt lgkmcnt(0)
	s_add_u32 s0, s0, s2
	s_addc_u32 s1, s1, s3
	s_load_dwordx4 s[0:3], s[0:1], 0x0
	v_cmpx_eq_u32_e32 0, v1
	s_cbranch_execz .LBB248_2
; %bb.1:
	s_mov_b32 s11, s9
	v_mov_b32_e32 v1, s10
	v_mov_b32_e32 v3, 0
	v_mov_b32_e32 v2, s11
	global_store_dwordx2 v3, v[1:2], s[12:13]
.LBB248_2:
	s_or_b32 exec_lo, exec_lo, s8
	s_load_dword s8, s[4:5], 0x18
	v_lshrrev_b32_e32 v2, 1, v0
	v_and_b32_e32 v9, 1, v0
	v_lshlrev_b32_e32 v8, 3, v9
	s_waitcnt lgkmcnt(0)
	s_sub_u32 s14, s0, s8
	s_subb_u32 s15, s1, 0
	s_sub_u32 s2, s2, s8
	s_subb_u32 s3, s3, 0
	s_lshl_b64 s[16:17], s[14:15], 2
	s_sub_u32 s18, s2, s14
	s_subb_u32 s19, s3, s15
	v_add_co_u32 v0, s11, s14, v2
	v_add_co_ci_u32_e64 v1, null, s15, 0, s11
	s_lshl_b64 s[14:15], s[18:19], 1
	s_lshr_b64 s[18:19], s[18:19], 31
	v_mul_lo_u32 v3, s14, v9
	v_mul_lo_u32 v4, s18, v9
	s_add_u32 s11, s14, s10
	s_addc_u32 s14, s15, 0
	s_add_u32 s11, s11, s16
	s_addc_u32 s14, s14, s17
	s_lshl_b64 s[6:7], s[6:7], 4
	v_add_co_u32 v5, vcc_lo, s11, v3
	v_add_co_ci_u32_e64 v6, null, s14, v4, vcc_lo
	s_add_u32 s6, s12, s6
	s_addc_u32 s7, s13, s7
	global_store_dwordx2 v8, v[5:6], s[6:7] offset:8
	s_mov_b32 s6, exec_lo
	v_cmpx_gt_i64_e64 s[2:3], v[0:1]
	s_cbranch_execz .LBB248_5
; %bb.3:
	s_clause 0x2
	s_load_dwordx2 s[6:7], s[4:5], 0x30
	s_load_dwordx2 s[12:13], s[4:5], 0x48
	s_load_dword s11, s[4:5], 0x0
	v_lshlrev_b32_e32 v2, 1, v2
	s_clause 0x1
	s_load_dwordx2 s[14:15], s[4:5], 0x20
	s_load_dwordx2 s[4:5], s[4:5], 0x58
	v_lshlrev_b64 v[6:7], 5, v[0:1]
	v_lshlrev_b32_e32 v9, 4, v9
	s_waitcnt lgkmcnt(0)
	s_cmp_eq_u32 s11, 0
	s_cselect_b32 vcc_lo, -1, 0
	s_lshl_b64 s[0:1], s[0:1], 2
	v_add_co_u32 v3, s0, v3, s0
	v_add_co_ci_u32_e64 v4, null, s1, v4, s0
	v_add_co_u32 v2, s0, v3, v2
	v_add_co_ci_u32_e64 v3, null, 0, v4, s0
	s_lshl_b64 s[0:1], s[8:9], 2
	v_lshlrev_b64 v[4:5], 3, v[0:1]
	v_sub_co_u32 v2, s0, v2, s0
	v_subrev_co_ci_u32_e64 v3, null, s1, v3, s0
	v_lshlrev_b64 v[10:11], 3, v[2:3]
	v_add_co_u32 v2, s0, s6, v4
	v_add_co_ci_u32_e64 v3, null, s7, v5, s0
	v_add_co_u32 v12, s0, v10, 8
	v_add_co_ci_u32_e64 v13, null, 0, v11, s0
	;; [unrolled: 2-line block ×5, first 2 shown]
	s_mov_b32 s4, 0
.LBB248_4:                              ; =>This Inner Loop Header: Depth=1
	v_add_co_u32 v12, s0, v10, v9
	global_load_dwordx2 v[16:17], v[2:3], off
	v_add_co_ci_u32_e64 v13, null, 0, v11, s0
	v_add_co_u32 v14, s0, v10, v8
	v_add_co_ci_u32_e64 v15, null, 0, v11, s0
	v_add_co_u32 v18, s0, v12, 8
	;; [unrolled: 2-line block ×3, first 2 shown]
	v_add_co_ci_u32_e64 v21, null, 0, v15, s0
	v_cndmask_b32_e32 v13, v15, v13, vcc_lo
	v_cndmask_b32_e32 v12, v14, v12, vcc_lo
	;; [unrolled: 1-line block ×4, first 2 shown]
	global_load_dwordx2 v[12:13], v[12:13], off
	global_load_dwordx2 v[14:15], v[14:15], off
	v_add_co_u32 v0, s0, 0x80, v0
	v_add_co_ci_u32_e64 v1, null, 0, v1, s0
	v_add_co_u32 v2, s0, 0x400, v2
	v_add_co_ci_u32_e64 v3, null, 0, v3, s0
	;; [unrolled: 2-line block ×3, first 2 shown]
	v_cmp_le_i64_e64 s0, s[2:3], v[0:1]
	s_or_b32 s4, s0, s4
	s_waitcnt vmcnt(2)
	v_sub_co_u32 v16, s1, v16, s8
	v_subrev_co_ci_u32_e64 v17, null, 0, v17, s1
	v_lshlrev_b64 v[16:17], 1, v[16:17]
	v_add_co_u32 v16, s1, v16, s10
	v_add_co_ci_u32_e64 v17, null, 0, v17, s1
	s_waitcnt vmcnt(0)
	global_store_dwordx4 v[4:5], v[12:15], off offset:-8
	v_add_co_u32 v4, s1, 0x800, v4
	v_add_co_ci_u32_e64 v5, null, 0, v5, s1
	v_add_co_u32 v18, s1, v16, 1
	v_add_co_ci_u32_e64 v19, null, 0, v17, s1
	global_store_dwordx4 v[6:7], v[16:19], off offset:-8
	v_add_co_u32 v6, s1, 0x800, v6
	v_add_co_ci_u32_e64 v7, null, 0, v7, s1
	s_andn2_b32 exec_lo, exec_lo, s4
	s_cbranch_execnz .LBB248_4
.LBB248_5:
	s_endpgm
	.section	.rodata,"a",@progbits
	.p2align	6, 0x0
	.amdhsa_kernel _ZN9rocsparseL32bsr2csr_block_per_row_2_7_kernelILj256ELj2EdllEEv20rocsparse_direction_T3_S2_21rocsparse_index_base_PKT1_PKT2_PKS2_S2_S3_PS4_PS7_PS2_
		.amdhsa_group_segment_fixed_size 0
		.amdhsa_private_segment_fixed_size 0
		.amdhsa_kernarg_size 96
		.amdhsa_user_sgpr_count 6
		.amdhsa_user_sgpr_private_segment_buffer 1
		.amdhsa_user_sgpr_dispatch_ptr 0
		.amdhsa_user_sgpr_queue_ptr 0
		.amdhsa_user_sgpr_kernarg_segment_ptr 1
		.amdhsa_user_sgpr_dispatch_id 0
		.amdhsa_user_sgpr_flat_scratch_init 0
		.amdhsa_user_sgpr_private_segment_size 0
		.amdhsa_wavefront_size32 1
		.amdhsa_uses_dynamic_stack 0
		.amdhsa_system_sgpr_private_segment_wavefront_offset 0
		.amdhsa_system_sgpr_workgroup_id_x 1
		.amdhsa_system_sgpr_workgroup_id_y 0
		.amdhsa_system_sgpr_workgroup_id_z 0
		.amdhsa_system_sgpr_workgroup_info 0
		.amdhsa_system_vgpr_workitem_id 0
		.amdhsa_next_free_vgpr 22
		.amdhsa_next_free_sgpr 20
		.amdhsa_reserve_vcc 1
		.amdhsa_reserve_flat_scratch 0
		.amdhsa_float_round_mode_32 0
		.amdhsa_float_round_mode_16_64 0
		.amdhsa_float_denorm_mode_32 3
		.amdhsa_float_denorm_mode_16_64 3
		.amdhsa_dx10_clamp 1
		.amdhsa_ieee_mode 1
		.amdhsa_fp16_overflow 0
		.amdhsa_workgroup_processor_mode 1
		.amdhsa_memory_ordered 1
		.amdhsa_forward_progress 1
		.amdhsa_shared_vgpr_count 0
		.amdhsa_exception_fp_ieee_invalid_op 0
		.amdhsa_exception_fp_denorm_src 0
		.amdhsa_exception_fp_ieee_div_zero 0
		.amdhsa_exception_fp_ieee_overflow 0
		.amdhsa_exception_fp_ieee_underflow 0
		.amdhsa_exception_fp_ieee_inexact 0
		.amdhsa_exception_int_div_zero 0
	.end_amdhsa_kernel
	.section	.text._ZN9rocsparseL32bsr2csr_block_per_row_2_7_kernelILj256ELj2EdllEEv20rocsparse_direction_T3_S2_21rocsparse_index_base_PKT1_PKT2_PKS2_S2_S3_PS4_PS7_PS2_,"axG",@progbits,_ZN9rocsparseL32bsr2csr_block_per_row_2_7_kernelILj256ELj2EdllEEv20rocsparse_direction_T3_S2_21rocsparse_index_base_PKT1_PKT2_PKS2_S2_S3_PS4_PS7_PS2_,comdat
.Lfunc_end248:
	.size	_ZN9rocsparseL32bsr2csr_block_per_row_2_7_kernelILj256ELj2EdllEEv20rocsparse_direction_T3_S2_21rocsparse_index_base_PKT1_PKT2_PKS2_S2_S3_PS4_PS7_PS2_, .Lfunc_end248-_ZN9rocsparseL32bsr2csr_block_per_row_2_7_kernelILj256ELj2EdllEEv20rocsparse_direction_T3_S2_21rocsparse_index_base_PKT1_PKT2_PKS2_S2_S3_PS4_PS7_PS2_
                                        ; -- End function
	.set _ZN9rocsparseL32bsr2csr_block_per_row_2_7_kernelILj256ELj2EdllEEv20rocsparse_direction_T3_S2_21rocsparse_index_base_PKT1_PKT2_PKS2_S2_S3_PS4_PS7_PS2_.num_vgpr, 22
	.set _ZN9rocsparseL32bsr2csr_block_per_row_2_7_kernelILj256ELj2EdllEEv20rocsparse_direction_T3_S2_21rocsparse_index_base_PKT1_PKT2_PKS2_S2_S3_PS4_PS7_PS2_.num_agpr, 0
	.set _ZN9rocsparseL32bsr2csr_block_per_row_2_7_kernelILj256ELj2EdllEEv20rocsparse_direction_T3_S2_21rocsparse_index_base_PKT1_PKT2_PKS2_S2_S3_PS4_PS7_PS2_.numbered_sgpr, 20
	.set _ZN9rocsparseL32bsr2csr_block_per_row_2_7_kernelILj256ELj2EdllEEv20rocsparse_direction_T3_S2_21rocsparse_index_base_PKT1_PKT2_PKS2_S2_S3_PS4_PS7_PS2_.num_named_barrier, 0
	.set _ZN9rocsparseL32bsr2csr_block_per_row_2_7_kernelILj256ELj2EdllEEv20rocsparse_direction_T3_S2_21rocsparse_index_base_PKT1_PKT2_PKS2_S2_S3_PS4_PS7_PS2_.private_seg_size, 0
	.set _ZN9rocsparseL32bsr2csr_block_per_row_2_7_kernelILj256ELj2EdllEEv20rocsparse_direction_T3_S2_21rocsparse_index_base_PKT1_PKT2_PKS2_S2_S3_PS4_PS7_PS2_.uses_vcc, 1
	.set _ZN9rocsparseL32bsr2csr_block_per_row_2_7_kernelILj256ELj2EdllEEv20rocsparse_direction_T3_S2_21rocsparse_index_base_PKT1_PKT2_PKS2_S2_S3_PS4_PS7_PS2_.uses_flat_scratch, 0
	.set _ZN9rocsparseL32bsr2csr_block_per_row_2_7_kernelILj256ELj2EdllEEv20rocsparse_direction_T3_S2_21rocsparse_index_base_PKT1_PKT2_PKS2_S2_S3_PS4_PS7_PS2_.has_dyn_sized_stack, 0
	.set _ZN9rocsparseL32bsr2csr_block_per_row_2_7_kernelILj256ELj2EdllEEv20rocsparse_direction_T3_S2_21rocsparse_index_base_PKT1_PKT2_PKS2_S2_S3_PS4_PS7_PS2_.has_recursion, 0
	.set _ZN9rocsparseL32bsr2csr_block_per_row_2_7_kernelILj256ELj2EdllEEv20rocsparse_direction_T3_S2_21rocsparse_index_base_PKT1_PKT2_PKS2_S2_S3_PS4_PS7_PS2_.has_indirect_call, 0
	.section	.AMDGPU.csdata,"",@progbits
; Kernel info:
; codeLenInByte = 804
; TotalNumSgprs: 22
; NumVgprs: 22
; ScratchSize: 0
; MemoryBound: 0
; FloatMode: 240
; IeeeMode: 1
; LDSByteSize: 0 bytes/workgroup (compile time only)
; SGPRBlocks: 0
; VGPRBlocks: 2
; NumSGPRsForWavesPerEU: 22
; NumVGPRsForWavesPerEU: 22
; Occupancy: 16
; WaveLimiterHint : 0
; COMPUTE_PGM_RSRC2:SCRATCH_EN: 0
; COMPUTE_PGM_RSRC2:USER_SGPR: 6
; COMPUTE_PGM_RSRC2:TRAP_HANDLER: 0
; COMPUTE_PGM_RSRC2:TGID_X_EN: 1
; COMPUTE_PGM_RSRC2:TGID_Y_EN: 0
; COMPUTE_PGM_RSRC2:TGID_Z_EN: 0
; COMPUTE_PGM_RSRC2:TIDIG_COMP_CNT: 0
	.section	.text._ZN9rocsparseL32bsr2csr_block_per_row_2_7_kernelILj256ELj3EdllEEv20rocsparse_direction_T3_S2_21rocsparse_index_base_PKT1_PKT2_PKS2_S2_S3_PS4_PS7_PS2_,"axG",@progbits,_ZN9rocsparseL32bsr2csr_block_per_row_2_7_kernelILj256ELj3EdllEEv20rocsparse_direction_T3_S2_21rocsparse_index_base_PKT1_PKT2_PKS2_S2_S3_PS4_PS7_PS2_,comdat
	.globl	_ZN9rocsparseL32bsr2csr_block_per_row_2_7_kernelILj256ELj3EdllEEv20rocsparse_direction_T3_S2_21rocsparse_index_base_PKT1_PKT2_PKS2_S2_S3_PS4_PS7_PS2_ ; -- Begin function _ZN9rocsparseL32bsr2csr_block_per_row_2_7_kernelILj256ELj3EdllEEv20rocsparse_direction_T3_S2_21rocsparse_index_base_PKT1_PKT2_PKS2_S2_S3_PS4_PS7_PS2_
	.p2align	8
	.type	_ZN9rocsparseL32bsr2csr_block_per_row_2_7_kernelILj256ELj3EdllEEv20rocsparse_direction_T3_S2_21rocsparse_index_base_PKT1_PKT2_PKS2_S2_S3_PS4_PS7_PS2_,@function
_ZN9rocsparseL32bsr2csr_block_per_row_2_7_kernelILj256ELj3EdllEEv20rocsparse_direction_T3_S2_21rocsparse_index_base_PKT1_PKT2_PKS2_S2_S3_PS4_PS7_PS2_: ; @_ZN9rocsparseL32bsr2csr_block_per_row_2_7_kernelILj256ELj3EdllEEv20rocsparse_direction_T3_S2_21rocsparse_index_base_PKT1_PKT2_PKS2_S2_S3_PS4_PS7_PS2_
; %bb.0:
	s_clause 0x2
	s_load_dwordx2 s[0:1], s[4:5], 0x28
	s_load_dword s8, s[4:5], 0x40
	s_load_dwordx2 s[12:13], s[4:5], 0x50
	s_mov_b32 s7, 0
	v_or_b32_e32 v1, s6, v0
	s_lshl_b64 s[2:3], s[6:7], 3
	s_waitcnt lgkmcnt(0)
	s_add_u32 s0, s0, s2
	s_addc_u32 s1, s1, s3
	s_mov_b32 s2, exec_lo
	v_cmpx_eq_u32_e32 0, v1
	s_cbranch_execz .LBB249_2
; %bb.1:
	v_mov_b32_e32 v1, s8
	v_mov_b32_e32 v2, 0
	global_store_dwordx2 v2, v[1:2], s[12:13]
.LBB249_2:
	s_or_b32 exec_lo, exec_lo, s2
	v_and_b32_e32 v10, 3, v0
	s_mov_b32 s2, exec_lo
	v_cmpx_ne_u32_e32 3, v10
	s_cbranch_execz .LBB249_6
; %bb.3:
	s_load_dwordx4 s[0:3], s[0:1], 0x0
	s_load_dword s7, s[4:5], 0x18
	v_lshrrev_b32_e32 v4, 2, v0
	s_mul_i32 s16, s6, 24
	v_lshlrev_b32_e32 v9, 3, v10
	s_waitcnt lgkmcnt(0)
	s_sub_u32 s9, s0, s7
	s_subb_u32 s14, s1, 0
	s_sub_u32 s10, s2, s7
	s_mul_hi_u32 s2, s9, 9
	s_mul_i32 s15, s14, 9
	s_subb_u32 s11, s3, 0
	s_add_i32 s2, s2, s15
	s_sub_u32 s3, s10, s9
	s_subb_u32 s17, s11, s14
	s_mul_i32 s15, s3, 3
	s_mul_hi_u32 s3, s3, 3
	v_mad_u64_u32 v[2:3], null, s15, v10, 0
	s_mul_i32 s17, s17, 3
	s_mul_i32 s18, s9, 9
	s_add_i32 s3, s3, s17
	v_mov_b32_e32 v0, v3
	v_mad_u64_u32 v[5:6], null, s3, v10, v[0:1]
	v_add_co_u32 v0, s9, s9, v4
	v_add_co_ci_u32_e64 v1, null, s14, 0, s9
	s_add_u32 s9, s15, s8
	s_addc_u32 s3, s3, 0
	s_add_u32 s9, s9, s18
	s_addc_u32 s2, s3, s2
	v_add_co_u32 v6, vcc_lo, s9, v2
	v_add_co_ci_u32_e64 v7, null, s2, v5, vcc_lo
	v_cmp_gt_i64_e32 vcc_lo, s[10:11], v[0:1]
	v_mov_b32_e32 v3, v5
	s_mul_hi_u32 s3, s6, 24
	s_add_u32 s2, s12, s16
	s_addc_u32 s3, s13, s3
	s_mov_b32 s9, 0
	global_store_dwordx2 v9, v[6:7], s[2:3] offset:8
	s_and_b32 exec_lo, exec_lo, vcc_lo
	s_cbranch_execz .LBB249_6
; %bb.4:
	v_mad_u64_u32 v[5:6], null, s0, 9, v[2:3]
	s_clause 0x2
	s_load_dwordx2 s[2:3], s[4:5], 0x48
	s_load_dwordx2 s[12:13], s[4:5], 0x20
	s_load_dword s6, s[4:5], 0x0
	v_mul_hi_u32_u24_e32 v11, 24, v10
	v_mul_u32_u24_e32 v10, 24, v10
	v_mov_b32_e32 v2, v6
	v_mad_u64_u32 v[2:3], null, s1, 9, v[2:3]
	s_clause 0x1
	s_load_dwordx2 s[0:1], s[4:5], 0x30
	s_load_dwordx2 s[4:5], s[4:5], 0x58
	v_mov_b32_e32 v6, v2
	s_waitcnt lgkmcnt(0)
	v_mad_u64_u32 v[2:3], null, 0x48, v0, s[12:13]
	s_mul_i32 s13, s7, 9
	s_mul_hi_u32 s12, s7, 9
	v_mad_u64_u32 v[4:5], null, v4, 3, v[5:6]
	v_lshlrev_b64 v[6:7], 3, v[0:1]
	s_cmp_eq_u32 s6, 0
	v_sub_co_u32 v4, vcc_lo, v4, s13
	v_subrev_co_ci_u32_e64 v5, null, s12, v5, vcc_lo
	v_mad_u64_u32 v[12:13], null, 0x48, v1, v[3:4]
	v_lshlrev_b64 v[13:14], 3, v[4:5]
	v_add_co_u32 v3, vcc_lo, s0, v6
	v_add_co_ci_u32_e64 v4, null, s1, v7, vcc_lo
	v_add_co_u32 v7, vcc_lo, v13, 8
	v_add_co_ci_u32_e64 v8, null, 0, v14, vcc_lo
	;; [unrolled: 2-line block ×4, first 2 shown]
	s_cselect_b32 vcc_lo, -1, 0
	s_mov_b32 s3, s9
.LBB249_5:                              ; =>This Inner Loop Header: Depth=1
	v_add_co_u32 v13, s0, v2, v10
	v_add_co_ci_u32_e64 v14, null, v12, v11, s0
	v_add_co_u32 v15, s0, v2, v9
	v_add_co_ci_u32_e64 v16, null, 0, v12, s0
	v_add_co_u32 v19, s0, v13, 8
	v_add_co_ci_u32_e64 v20, null, 0, v14, s0
	v_add_co_u32 v21, s0, v15, 24
	global_load_dwordx2 v[17:18], v[3:4], off
	v_add_co_ci_u32_e64 v22, null, 0, v16, s0
	v_add_co_u32 v23, s0, v13, 16
	v_add_co_ci_u32_e64 v24, null, 0, v14, s0
	v_add_co_u32 v25, s0, v15, 48
	v_add_co_ci_u32_e64 v26, null, 0, v16, s0
	v_cndmask_b32_e32 v14, v16, v14, vcc_lo
	v_cndmask_b32_e32 v13, v15, v13, vcc_lo
	;; [unrolled: 1-line block ×6, first 2 shown]
	global_load_dwordx2 v[13:14], v[13:14], off
	global_load_dwordx2 v[15:16], v[15:16], off
	;; [unrolled: 1-line block ×3, first 2 shown]
	v_add_co_u32 v0, s0, v0, 64
	v_add_co_ci_u32_e64 v1, null, 0, v1, s0
	v_add_co_u32 v3, s0, 0x200, v3
	v_add_co_ci_u32_e64 v4, null, 0, v4, s0
	;; [unrolled: 2-line block ×3, first 2 shown]
	v_cmp_le_i64_e64 s0, s[10:11], v[0:1]
	s_waitcnt vmcnt(1)
	global_store_dwordx4 v[5:6], v[13:16], off offset:-8
	s_waitcnt vmcnt(0)
	global_store_dwordx2 v[5:6], v[19:20], off offset:8
	v_sub_co_u32 v17, s1, v17, s7
	v_subrev_co_ci_u32_e64 v21, null, 0, v18, s1
	v_add_co_u32 v5, s1, 0x600, v5
	v_mad_u64_u32 v[17:18], null, v17, 3, s[8:9]
	v_add_co_ci_u32_e64 v6, null, 0, v6, s1
	s_or_b32 s3, s0, s3
	v_mad_u64_u32 v[18:19], null, v21, 3, v[18:19]
	v_add_co_u32 v19, s2, v17, 1
	v_add_co_u32 v13, s1, v17, 2
	v_add_co_ci_u32_e64 v20, null, 0, v18, s2
	v_add_co_ci_u32_e64 v14, null, 0, v18, s1
	global_store_dwordx4 v[7:8], v[17:20], off offset:-8
	global_store_dwordx2 v[7:8], v[13:14], off offset:8
	v_add_co_u32 v7, s1, 0x600, v7
	v_add_co_ci_u32_e64 v8, null, 0, v8, s1
	s_andn2_b32 exec_lo, exec_lo, s3
	s_cbranch_execnz .LBB249_5
.LBB249_6:
	s_endpgm
	.section	.rodata,"a",@progbits
	.p2align	6, 0x0
	.amdhsa_kernel _ZN9rocsparseL32bsr2csr_block_per_row_2_7_kernelILj256ELj3EdllEEv20rocsparse_direction_T3_S2_21rocsparse_index_base_PKT1_PKT2_PKS2_S2_S3_PS4_PS7_PS2_
		.amdhsa_group_segment_fixed_size 0
		.amdhsa_private_segment_fixed_size 0
		.amdhsa_kernarg_size 96
		.amdhsa_user_sgpr_count 6
		.amdhsa_user_sgpr_private_segment_buffer 1
		.amdhsa_user_sgpr_dispatch_ptr 0
		.amdhsa_user_sgpr_queue_ptr 0
		.amdhsa_user_sgpr_kernarg_segment_ptr 1
		.amdhsa_user_sgpr_dispatch_id 0
		.amdhsa_user_sgpr_flat_scratch_init 0
		.amdhsa_user_sgpr_private_segment_size 0
		.amdhsa_wavefront_size32 1
		.amdhsa_uses_dynamic_stack 0
		.amdhsa_system_sgpr_private_segment_wavefront_offset 0
		.amdhsa_system_sgpr_workgroup_id_x 1
		.amdhsa_system_sgpr_workgroup_id_y 0
		.amdhsa_system_sgpr_workgroup_id_z 0
		.amdhsa_system_sgpr_workgroup_info 0
		.amdhsa_system_vgpr_workitem_id 0
		.amdhsa_next_free_vgpr 27
		.amdhsa_next_free_sgpr 19
		.amdhsa_reserve_vcc 1
		.amdhsa_reserve_flat_scratch 0
		.amdhsa_float_round_mode_32 0
		.amdhsa_float_round_mode_16_64 0
		.amdhsa_float_denorm_mode_32 3
		.amdhsa_float_denorm_mode_16_64 3
		.amdhsa_dx10_clamp 1
		.amdhsa_ieee_mode 1
		.amdhsa_fp16_overflow 0
		.amdhsa_workgroup_processor_mode 1
		.amdhsa_memory_ordered 1
		.amdhsa_forward_progress 1
		.amdhsa_shared_vgpr_count 0
		.amdhsa_exception_fp_ieee_invalid_op 0
		.amdhsa_exception_fp_denorm_src 0
		.amdhsa_exception_fp_ieee_div_zero 0
		.amdhsa_exception_fp_ieee_overflow 0
		.amdhsa_exception_fp_ieee_underflow 0
		.amdhsa_exception_fp_ieee_inexact 0
		.amdhsa_exception_int_div_zero 0
	.end_amdhsa_kernel
	.section	.text._ZN9rocsparseL32bsr2csr_block_per_row_2_7_kernelILj256ELj3EdllEEv20rocsparse_direction_T3_S2_21rocsparse_index_base_PKT1_PKT2_PKS2_S2_S3_PS4_PS7_PS2_,"axG",@progbits,_ZN9rocsparseL32bsr2csr_block_per_row_2_7_kernelILj256ELj3EdllEEv20rocsparse_direction_T3_S2_21rocsparse_index_base_PKT1_PKT2_PKS2_S2_S3_PS4_PS7_PS2_,comdat
.Lfunc_end249:
	.size	_ZN9rocsparseL32bsr2csr_block_per_row_2_7_kernelILj256ELj3EdllEEv20rocsparse_direction_T3_S2_21rocsparse_index_base_PKT1_PKT2_PKS2_S2_S3_PS4_PS7_PS2_, .Lfunc_end249-_ZN9rocsparseL32bsr2csr_block_per_row_2_7_kernelILj256ELj3EdllEEv20rocsparse_direction_T3_S2_21rocsparse_index_base_PKT1_PKT2_PKS2_S2_S3_PS4_PS7_PS2_
                                        ; -- End function
	.set _ZN9rocsparseL32bsr2csr_block_per_row_2_7_kernelILj256ELj3EdllEEv20rocsparse_direction_T3_S2_21rocsparse_index_base_PKT1_PKT2_PKS2_S2_S3_PS4_PS7_PS2_.num_vgpr, 27
	.set _ZN9rocsparseL32bsr2csr_block_per_row_2_7_kernelILj256ELj3EdllEEv20rocsparse_direction_T3_S2_21rocsparse_index_base_PKT1_PKT2_PKS2_S2_S3_PS4_PS7_PS2_.num_agpr, 0
	.set _ZN9rocsparseL32bsr2csr_block_per_row_2_7_kernelILj256ELj3EdllEEv20rocsparse_direction_T3_S2_21rocsparse_index_base_PKT1_PKT2_PKS2_S2_S3_PS4_PS7_PS2_.numbered_sgpr, 19
	.set _ZN9rocsparseL32bsr2csr_block_per_row_2_7_kernelILj256ELj3EdllEEv20rocsparse_direction_T3_S2_21rocsparse_index_base_PKT1_PKT2_PKS2_S2_S3_PS4_PS7_PS2_.num_named_barrier, 0
	.set _ZN9rocsparseL32bsr2csr_block_per_row_2_7_kernelILj256ELj3EdllEEv20rocsparse_direction_T3_S2_21rocsparse_index_base_PKT1_PKT2_PKS2_S2_S3_PS4_PS7_PS2_.private_seg_size, 0
	.set _ZN9rocsparseL32bsr2csr_block_per_row_2_7_kernelILj256ELj3EdllEEv20rocsparse_direction_T3_S2_21rocsparse_index_base_PKT1_PKT2_PKS2_S2_S3_PS4_PS7_PS2_.uses_vcc, 1
	.set _ZN9rocsparseL32bsr2csr_block_per_row_2_7_kernelILj256ELj3EdllEEv20rocsparse_direction_T3_S2_21rocsparse_index_base_PKT1_PKT2_PKS2_S2_S3_PS4_PS7_PS2_.uses_flat_scratch, 0
	.set _ZN9rocsparseL32bsr2csr_block_per_row_2_7_kernelILj256ELj3EdllEEv20rocsparse_direction_T3_S2_21rocsparse_index_base_PKT1_PKT2_PKS2_S2_S3_PS4_PS7_PS2_.has_dyn_sized_stack, 0
	.set _ZN9rocsparseL32bsr2csr_block_per_row_2_7_kernelILj256ELj3EdllEEv20rocsparse_direction_T3_S2_21rocsparse_index_base_PKT1_PKT2_PKS2_S2_S3_PS4_PS7_PS2_.has_recursion, 0
	.set _ZN9rocsparseL32bsr2csr_block_per_row_2_7_kernelILj256ELj3EdllEEv20rocsparse_direction_T3_S2_21rocsparse_index_base_PKT1_PKT2_PKS2_S2_S3_PS4_PS7_PS2_.has_indirect_call, 0
	.section	.AMDGPU.csdata,"",@progbits
; Kernel info:
; codeLenInByte = 904
; TotalNumSgprs: 21
; NumVgprs: 27
; ScratchSize: 0
; MemoryBound: 0
; FloatMode: 240
; IeeeMode: 1
; LDSByteSize: 0 bytes/workgroup (compile time only)
; SGPRBlocks: 0
; VGPRBlocks: 3
; NumSGPRsForWavesPerEU: 21
; NumVGPRsForWavesPerEU: 27
; Occupancy: 16
; WaveLimiterHint : 0
; COMPUTE_PGM_RSRC2:SCRATCH_EN: 0
; COMPUTE_PGM_RSRC2:USER_SGPR: 6
; COMPUTE_PGM_RSRC2:TRAP_HANDLER: 0
; COMPUTE_PGM_RSRC2:TGID_X_EN: 1
; COMPUTE_PGM_RSRC2:TGID_Y_EN: 0
; COMPUTE_PGM_RSRC2:TGID_Z_EN: 0
; COMPUTE_PGM_RSRC2:TIDIG_COMP_CNT: 0
	.section	.text._ZN9rocsparseL32bsr2csr_block_per_row_2_7_kernelILj256ELj4EdllEEv20rocsparse_direction_T3_S2_21rocsparse_index_base_PKT1_PKT2_PKS2_S2_S3_PS4_PS7_PS2_,"axG",@progbits,_ZN9rocsparseL32bsr2csr_block_per_row_2_7_kernelILj256ELj4EdllEEv20rocsparse_direction_T3_S2_21rocsparse_index_base_PKT1_PKT2_PKS2_S2_S3_PS4_PS7_PS2_,comdat
	.globl	_ZN9rocsparseL32bsr2csr_block_per_row_2_7_kernelILj256ELj4EdllEEv20rocsparse_direction_T3_S2_21rocsparse_index_base_PKT1_PKT2_PKS2_S2_S3_PS4_PS7_PS2_ ; -- Begin function _ZN9rocsparseL32bsr2csr_block_per_row_2_7_kernelILj256ELj4EdllEEv20rocsparse_direction_T3_S2_21rocsparse_index_base_PKT1_PKT2_PKS2_S2_S3_PS4_PS7_PS2_
	.p2align	8
	.type	_ZN9rocsparseL32bsr2csr_block_per_row_2_7_kernelILj256ELj4EdllEEv20rocsparse_direction_T3_S2_21rocsparse_index_base_PKT1_PKT2_PKS2_S2_S3_PS4_PS7_PS2_,@function
_ZN9rocsparseL32bsr2csr_block_per_row_2_7_kernelILj256ELj4EdllEEv20rocsparse_direction_T3_S2_21rocsparse_index_base_PKT1_PKT2_PKS2_S2_S3_PS4_PS7_PS2_: ; @_ZN9rocsparseL32bsr2csr_block_per_row_2_7_kernelILj256ELj4EdllEEv20rocsparse_direction_T3_S2_21rocsparse_index_base_PKT1_PKT2_PKS2_S2_S3_PS4_PS7_PS2_
; %bb.0:
	s_load_dwordx2 s[0:1], s[4:5], 0x28
	s_mov_b32 s9, 0
	s_clause 0x1
	s_load_dword s10, s[4:5], 0x40
	s_load_dwordx2 s[12:13], s[4:5], 0x50
	s_mov_b32 s7, s9
	v_or_b32_e32 v1, s6, v0
	s_lshl_b64 s[2:3], s[6:7], 3
	s_mov_b32 s8, exec_lo
	s_waitcnt lgkmcnt(0)
	s_add_u32 s0, s0, s2
	s_addc_u32 s1, s1, s3
	s_load_dwordx4 s[0:3], s[0:1], 0x0
	v_cmpx_eq_u32_e32 0, v1
	s_cbranch_execz .LBB250_2
; %bb.1:
	s_mov_b32 s11, s9
	v_mov_b32_e32 v1, s10
	v_mov_b32_e32 v3, 0
	;; [unrolled: 1-line block ×3, first 2 shown]
	global_store_dwordx2 v3, v[1:2], s[12:13]
.LBB250_2:
	s_or_b32 exec_lo, exec_lo, s8
	s_load_dword s8, s[4:5], 0x18
	v_and_b32_e32 v4, 3, v0
	v_lshrrev_b32_e32 v5, 2, v0
	v_lshlrev_b32_e32 v9, 3, v4
	s_waitcnt lgkmcnt(0)
	s_sub_u32 s14, s0, s8
	s_subb_u32 s15, s1, 0
	s_sub_u32 s2, s2, s8
	s_subb_u32 s3, s3, 0
	s_lshl_b64 s[16:17], s[14:15], 4
	s_sub_u32 s18, s2, s14
	s_subb_u32 s19, s3, s15
	v_add_co_u32 v0, s11, s14, v5
	s_lshl_b64 s[20:21], s[18:19], 2
	v_add_co_ci_u32_e64 v1, null, s15, 0, s11
	v_mad_u64_u32 v[2:3], null, s20, v4, 0
	s_lshr_b64 s[14:15], s[18:19], 30
	s_add_u32 s11, s20, s10
	v_mad_u64_u32 v[6:7], null, s14, v4, v[3:4]
	s_addc_u32 s14, s21, 0
	s_add_u32 s11, s11, s16
	s_addc_u32 s14, s14, s17
	v_add_co_u32 v7, vcc_lo, s11, v2
	s_lshl_b64 s[6:7], s[6:7], 5
	v_add_co_ci_u32_e64 v8, null, s14, v6, vcc_lo
	v_mov_b32_e32 v3, v6
	s_add_u32 s6, s12, s6
	s_addc_u32 s7, s13, s7
	global_store_dwordx2 v9, v[7:8], s[6:7] offset:8
	s_mov_b32 s6, exec_lo
	v_cmpx_gt_i64_e64 s[2:3], v[0:1]
	s_cbranch_execz .LBB250_5
; %bb.3:
	s_clause 0x4
	s_load_dwordx2 s[6:7], s[4:5], 0x30
	s_load_dwordx2 s[12:13], s[4:5], 0x48
	s_load_dword s11, s[4:5], 0x0
	s_load_dwordx2 s[14:15], s[4:5], 0x20
	s_load_dwordx2 s[4:5], s[4:5], 0x58
	v_lshlrev_b32_e32 v7, 2, v5
	v_lshlrev_b64 v[5:6], 7, v[0:1]
	v_lshlrev_b64 v[10:11], 3, v[0:1]
	v_mul_hi_u32_u24_e32 v8, 24, v4
	v_mul_u32_u24_e32 v9, 24, v4
	s_waitcnt lgkmcnt(0)
	s_cmp_eq_u32 s11, 0
	s_cselect_b32 vcc_lo, -1, 0
	s_lshl_b64 s[0:1], s[0:1], 4
	v_add_co_u32 v2, s0, v2, s0
	v_add_co_ci_u32_e64 v3, null, s1, v3, s0
	v_add_co_u32 v2, s0, v2, v7
	v_add_co_ci_u32_e64 v3, null, 0, v3, s0
	s_lshl_b64 s[0:1], s[8:9], 4
	v_lshl_or_b32 v7, v4, 3, v5
	v_sub_co_u32 v2, s0, v2, s0
	v_subrev_co_ci_u32_e64 v3, null, s1, v3, s0
	v_lshlrev_b64 v[4:5], 3, v[2:3]
	v_add_co_u32 v2, s0, s6, v10
	v_add_co_ci_u32_e64 v3, null, s7, v11, s0
	v_add_co_u32 v12, s0, v4, 16
	v_add_co_ci_u32_e64 v13, null, 0, v5, s0
	;; [unrolled: 2-line block ×5, first 2 shown]
	s_mov_b32 s4, 0
.LBB250_4:                              ; =>This Inner Loop Header: Depth=1
	v_add_co_u32 v14, s0, v10, v9
	v_add_co_ci_u32_e64 v15, null, v11, v8, s0
	v_add_co_u32 v16, s0, v10, 32
	v_add_co_ci_u32_e64 v17, null, 0, v11, s0
	v_add_co_u32 v18, s0, v10, 64
	global_load_dwordx2 v[20:21], v[2:3], off
	v_add_co_ci_u32_e64 v19, null, 0, v11, s0
	v_add_co_u32 v22, s0, 0x60, v10
	v_add_co_ci_u32_e64 v23, null, 0, v11, s0
	v_add_co_u32 v24, s0, v14, 8
	v_add_co_ci_u32_e64 v25, null, 0, v15, s0
	v_add_co_u32 v26, s0, v14, 16
	v_add_co_ci_u32_e64 v27, null, 0, v15, s0
	v_add_co_u32 v28, s0, v14, 24
	v_add_co_ci_u32_e64 v29, null, 0, v15, s0
	v_cndmask_b32_e32 v13, v11, v15, vcc_lo
	v_cndmask_b32_e32 v12, v10, v14, vcc_lo
	;; [unrolled: 1-line block ×8, first 2 shown]
	global_load_dwordx2 v[12:13], v[12:13], off
	global_load_dwordx2 v[14:15], v[14:15], off
	global_load_dwordx2 v[16:17], v[16:17], off
	global_load_dwordx2 v[18:19], v[18:19], off
	v_add_co_u32 v0, s0, v0, 64
	v_add_co_ci_u32_e64 v1, null, 0, v1, s0
	v_add_co_u32 v2, s0, 0x200, v2
	v_add_co_ci_u32_e64 v3, null, 0, v3, s0
	v_add_co_u32 v10, s0, 0x2000, v10
	v_add_co_ci_u32_e64 v11, null, 0, v11, s0
	v_cmp_le_i64_e64 s0, s[2:3], v[0:1]
	s_waitcnt vmcnt(2)
	global_store_dwordx4 v[4:5], v[12:15], off offset:-16
	s_waitcnt vmcnt(0)
	global_store_dwordx4 v[4:5], v[16:19], off
	v_sub_co_u32 v20, s1, v20, s8
	v_subrev_co_ci_u32_e64 v21, null, 0, v21, s1
	s_or_b32 s4, s0, s4
	v_lshlrev_b64 v[20:21], 2, v[20:21]
	v_add_co_u32 v20, s1, v20, s10
	v_add_co_ci_u32_e64 v21, null, 0, v21, s1
	v_add_co_u32 v4, s1, 0x800, v4
	v_add_co_ci_u32_e64 v5, null, 0, v5, s1
	;; [unrolled: 2-line block ×5, first 2 shown]
	global_store_dwordx4 v[6:7], v[20:23], off offset:-16
	global_store_dwordx4 v[6:7], v[12:15], off
	v_add_co_u32 v6, s1, 0x800, v6
	v_add_co_ci_u32_e64 v7, null, 0, v7, s1
	s_andn2_b32 exec_lo, exec_lo, s4
	s_cbranch_execnz .LBB250_4
.LBB250_5:
	s_endpgm
	.section	.rodata,"a",@progbits
	.p2align	6, 0x0
	.amdhsa_kernel _ZN9rocsparseL32bsr2csr_block_per_row_2_7_kernelILj256ELj4EdllEEv20rocsparse_direction_T3_S2_21rocsparse_index_base_PKT1_PKT2_PKS2_S2_S3_PS4_PS7_PS2_
		.amdhsa_group_segment_fixed_size 0
		.amdhsa_private_segment_fixed_size 0
		.amdhsa_kernarg_size 96
		.amdhsa_user_sgpr_count 6
		.amdhsa_user_sgpr_private_segment_buffer 1
		.amdhsa_user_sgpr_dispatch_ptr 0
		.amdhsa_user_sgpr_queue_ptr 0
		.amdhsa_user_sgpr_kernarg_segment_ptr 1
		.amdhsa_user_sgpr_dispatch_id 0
		.amdhsa_user_sgpr_flat_scratch_init 0
		.amdhsa_user_sgpr_private_segment_size 0
		.amdhsa_wavefront_size32 1
		.amdhsa_uses_dynamic_stack 0
		.amdhsa_system_sgpr_private_segment_wavefront_offset 0
		.amdhsa_system_sgpr_workgroup_id_x 1
		.amdhsa_system_sgpr_workgroup_id_y 0
		.amdhsa_system_sgpr_workgroup_id_z 0
		.amdhsa_system_sgpr_workgroup_info 0
		.amdhsa_system_vgpr_workitem_id 0
		.amdhsa_next_free_vgpr 30
		.amdhsa_next_free_sgpr 22
		.amdhsa_reserve_vcc 1
		.amdhsa_reserve_flat_scratch 0
		.amdhsa_float_round_mode_32 0
		.amdhsa_float_round_mode_16_64 0
		.amdhsa_float_denorm_mode_32 3
		.amdhsa_float_denorm_mode_16_64 3
		.amdhsa_dx10_clamp 1
		.amdhsa_ieee_mode 1
		.amdhsa_fp16_overflow 0
		.amdhsa_workgroup_processor_mode 1
		.amdhsa_memory_ordered 1
		.amdhsa_forward_progress 1
		.amdhsa_shared_vgpr_count 0
		.amdhsa_exception_fp_ieee_invalid_op 0
		.amdhsa_exception_fp_denorm_src 0
		.amdhsa_exception_fp_ieee_div_zero 0
		.amdhsa_exception_fp_ieee_overflow 0
		.amdhsa_exception_fp_ieee_underflow 0
		.amdhsa_exception_fp_ieee_inexact 0
		.amdhsa_exception_int_div_zero 0
	.end_amdhsa_kernel
	.section	.text._ZN9rocsparseL32bsr2csr_block_per_row_2_7_kernelILj256ELj4EdllEEv20rocsparse_direction_T3_S2_21rocsparse_index_base_PKT1_PKT2_PKS2_S2_S3_PS4_PS7_PS2_,"axG",@progbits,_ZN9rocsparseL32bsr2csr_block_per_row_2_7_kernelILj256ELj4EdllEEv20rocsparse_direction_T3_S2_21rocsparse_index_base_PKT1_PKT2_PKS2_S2_S3_PS4_PS7_PS2_,comdat
.Lfunc_end250:
	.size	_ZN9rocsparseL32bsr2csr_block_per_row_2_7_kernelILj256ELj4EdllEEv20rocsparse_direction_T3_S2_21rocsparse_index_base_PKT1_PKT2_PKS2_S2_S3_PS4_PS7_PS2_, .Lfunc_end250-_ZN9rocsparseL32bsr2csr_block_per_row_2_7_kernelILj256ELj4EdllEEv20rocsparse_direction_T3_S2_21rocsparse_index_base_PKT1_PKT2_PKS2_S2_S3_PS4_PS7_PS2_
                                        ; -- End function
	.set _ZN9rocsparseL32bsr2csr_block_per_row_2_7_kernelILj256ELj4EdllEEv20rocsparse_direction_T3_S2_21rocsparse_index_base_PKT1_PKT2_PKS2_S2_S3_PS4_PS7_PS2_.num_vgpr, 30
	.set _ZN9rocsparseL32bsr2csr_block_per_row_2_7_kernelILj256ELj4EdllEEv20rocsparse_direction_T3_S2_21rocsparse_index_base_PKT1_PKT2_PKS2_S2_S3_PS4_PS7_PS2_.num_agpr, 0
	.set _ZN9rocsparseL32bsr2csr_block_per_row_2_7_kernelILj256ELj4EdllEEv20rocsparse_direction_T3_S2_21rocsparse_index_base_PKT1_PKT2_PKS2_S2_S3_PS4_PS7_PS2_.numbered_sgpr, 22
	.set _ZN9rocsparseL32bsr2csr_block_per_row_2_7_kernelILj256ELj4EdllEEv20rocsparse_direction_T3_S2_21rocsparse_index_base_PKT1_PKT2_PKS2_S2_S3_PS4_PS7_PS2_.num_named_barrier, 0
	.set _ZN9rocsparseL32bsr2csr_block_per_row_2_7_kernelILj256ELj4EdllEEv20rocsparse_direction_T3_S2_21rocsparse_index_base_PKT1_PKT2_PKS2_S2_S3_PS4_PS7_PS2_.private_seg_size, 0
	.set _ZN9rocsparseL32bsr2csr_block_per_row_2_7_kernelILj256ELj4EdllEEv20rocsparse_direction_T3_S2_21rocsparse_index_base_PKT1_PKT2_PKS2_S2_S3_PS4_PS7_PS2_.uses_vcc, 1
	.set _ZN9rocsparseL32bsr2csr_block_per_row_2_7_kernelILj256ELj4EdllEEv20rocsparse_direction_T3_S2_21rocsparse_index_base_PKT1_PKT2_PKS2_S2_S3_PS4_PS7_PS2_.uses_flat_scratch, 0
	.set _ZN9rocsparseL32bsr2csr_block_per_row_2_7_kernelILj256ELj4EdllEEv20rocsparse_direction_T3_S2_21rocsparse_index_base_PKT1_PKT2_PKS2_S2_S3_PS4_PS7_PS2_.has_dyn_sized_stack, 0
	.set _ZN9rocsparseL32bsr2csr_block_per_row_2_7_kernelILj256ELj4EdllEEv20rocsparse_direction_T3_S2_21rocsparse_index_base_PKT1_PKT2_PKS2_S2_S3_PS4_PS7_PS2_.has_recursion, 0
	.set _ZN9rocsparseL32bsr2csr_block_per_row_2_7_kernelILj256ELj4EdllEEv20rocsparse_direction_T3_S2_21rocsparse_index_base_PKT1_PKT2_PKS2_S2_S3_PS4_PS7_PS2_.has_indirect_call, 0
	.section	.AMDGPU.csdata,"",@progbits
; Kernel info:
; codeLenInByte = 944
; TotalNumSgprs: 24
; NumVgprs: 30
; ScratchSize: 0
; MemoryBound: 0
; FloatMode: 240
; IeeeMode: 1
; LDSByteSize: 0 bytes/workgroup (compile time only)
; SGPRBlocks: 0
; VGPRBlocks: 3
; NumSGPRsForWavesPerEU: 24
; NumVGPRsForWavesPerEU: 30
; Occupancy: 16
; WaveLimiterHint : 0
; COMPUTE_PGM_RSRC2:SCRATCH_EN: 0
; COMPUTE_PGM_RSRC2:USER_SGPR: 6
; COMPUTE_PGM_RSRC2:TRAP_HANDLER: 0
; COMPUTE_PGM_RSRC2:TGID_X_EN: 1
; COMPUTE_PGM_RSRC2:TGID_Y_EN: 0
; COMPUTE_PGM_RSRC2:TGID_Z_EN: 0
; COMPUTE_PGM_RSRC2:TIDIG_COMP_CNT: 0
	.section	.text._ZN9rocsparseL32bsr2csr_block_per_row_2_7_kernelILj256ELj5EdllEEv20rocsparse_direction_T3_S2_21rocsparse_index_base_PKT1_PKT2_PKS2_S2_S3_PS4_PS7_PS2_,"axG",@progbits,_ZN9rocsparseL32bsr2csr_block_per_row_2_7_kernelILj256ELj5EdllEEv20rocsparse_direction_T3_S2_21rocsparse_index_base_PKT1_PKT2_PKS2_S2_S3_PS4_PS7_PS2_,comdat
	.globl	_ZN9rocsparseL32bsr2csr_block_per_row_2_7_kernelILj256ELj5EdllEEv20rocsparse_direction_T3_S2_21rocsparse_index_base_PKT1_PKT2_PKS2_S2_S3_PS4_PS7_PS2_ ; -- Begin function _ZN9rocsparseL32bsr2csr_block_per_row_2_7_kernelILj256ELj5EdllEEv20rocsparse_direction_T3_S2_21rocsparse_index_base_PKT1_PKT2_PKS2_S2_S3_PS4_PS7_PS2_
	.p2align	8
	.type	_ZN9rocsparseL32bsr2csr_block_per_row_2_7_kernelILj256ELj5EdllEEv20rocsparse_direction_T3_S2_21rocsparse_index_base_PKT1_PKT2_PKS2_S2_S3_PS4_PS7_PS2_,@function
_ZN9rocsparseL32bsr2csr_block_per_row_2_7_kernelILj256ELj5EdllEEv20rocsparse_direction_T3_S2_21rocsparse_index_base_PKT1_PKT2_PKS2_S2_S3_PS4_PS7_PS2_: ; @_ZN9rocsparseL32bsr2csr_block_per_row_2_7_kernelILj256ELj5EdllEEv20rocsparse_direction_T3_S2_21rocsparse_index_base_PKT1_PKT2_PKS2_S2_S3_PS4_PS7_PS2_
; %bb.0:
	s_clause 0x2
	s_load_dwordx2 s[0:1], s[4:5], 0x28
	s_load_dword s8, s[4:5], 0x40
	s_load_dwordx2 s[12:13], s[4:5], 0x50
	s_mov_b32 s7, 0
	v_or_b32_e32 v1, s6, v0
	s_lshl_b64 s[2:3], s[6:7], 3
	s_waitcnt lgkmcnt(0)
	s_add_u32 s0, s0, s2
	s_addc_u32 s1, s1, s3
	s_mov_b32 s2, exec_lo
	v_cmpx_eq_u32_e32 0, v1
	s_cbranch_execz .LBB251_2
; %bb.1:
	v_mov_b32_e32 v1, s8
	v_mov_b32_e32 v2, 0
	global_store_dwordx2 v2, v[1:2], s[12:13]
.LBB251_2:
	s_or_b32 exec_lo, exec_lo, s2
	v_and_b32_e32 v4, 7, v0
	s_mov_b32 s2, exec_lo
	v_cmpx_gt_u32_e32 5, v4
	s_cbranch_execz .LBB251_6
; %bb.3:
	s_load_dwordx4 s[0:3], s[0:1], 0x0
	s_load_dword s7, s[4:5], 0x18
	v_lshrrev_b32_e32 v5, 3, v0
	s_mul_i32 s16, s6, 40
	v_lshlrev_b32_e32 v9, 3, v4
	s_waitcnt lgkmcnt(0)
	s_sub_u32 s9, s0, s7
	s_subb_u32 s14, s1, 0
	s_sub_u32 s10, s2, s7
	s_mul_hi_u32 s2, s9, 25
	s_mul_i32 s15, s14, 25
	s_subb_u32 s11, s3, 0
	s_add_i32 s2, s2, s15
	s_sub_u32 s3, s10, s9
	s_subb_u32 s17, s11, s14
	s_mul_i32 s15, s3, 5
	s_mul_hi_u32 s3, s3, 5
	v_mad_u64_u32 v[2:3], null, s15, v4, 0
	s_mul_i32 s17, s17, 5
	s_mul_i32 s18, s9, 25
	s_add_i32 s3, s3, s17
	v_mov_b32_e32 v0, v3
	v_mad_u64_u32 v[6:7], null, s3, v4, v[0:1]
	v_add_co_u32 v0, s9, s9, v5
	v_add_co_ci_u32_e64 v1, null, s14, 0, s9
	s_add_u32 s9, s15, s8
	s_addc_u32 s3, s3, 0
	s_add_u32 s9, s9, s18
	s_addc_u32 s2, s3, s2
	v_add_co_u32 v7, vcc_lo, s9, v2
	v_add_co_ci_u32_e64 v8, null, s2, v6, vcc_lo
	v_cmp_gt_i64_e32 vcc_lo, s[10:11], v[0:1]
	v_mov_b32_e32 v3, v6
	s_mul_hi_u32 s3, s6, 40
	s_add_u32 s2, s12, s16
	s_addc_u32 s3, s13, s3
	s_mov_b32 s9, 0
	global_store_dwordx2 v9, v[7:8], s[2:3] offset:8
	s_and_b32 exec_lo, exec_lo, vcc_lo
	s_cbranch_execz .LBB251_6
; %bb.4:
	v_mad_u64_u32 v[6:7], null, s0, 25, v[2:3]
	s_clause 0x2
	s_load_dwordx2 s[2:3], s[4:5], 0x48
	s_load_dwordx2 s[12:13], s[4:5], 0x20
	s_load_dword s6, s[4:5], 0x0
	v_mul_hi_u32_u24_e32 v10, 40, v4
	v_mul_u32_u24_e32 v11, 40, v4
	v_mov_b32_e32 v2, v7
	v_mad_u64_u32 v[2:3], null, s1, 25, v[2:3]
	s_clause 0x1
	s_load_dwordx2 s[0:1], s[4:5], 0x30
	s_load_dwordx2 s[4:5], s[4:5], 0x58
	v_mov_b32_e32 v7, v2
	s_waitcnt lgkmcnt(0)
	v_mad_u64_u32 v[2:3], null, 0xc8, v0, s[12:13]
	s_mul_i32 s13, s7, 25
	s_mul_hi_u32 s12, s7, 25
	v_mad_u64_u32 v[5:6], null, v5, 5, v[6:7]
	v_lshlrev_b64 v[7:8], 3, v[0:1]
	s_cmp_eq_u32 s6, 0
	v_mad_u64_u32 v[12:13], null, 0xc8, v1, v[3:4]
	v_sub_co_u32 v5, vcc_lo, v5, s13
	v_subrev_co_ci_u32_e64 v6, null, s12, v6, vcc_lo
	v_add_co_u32 v3, vcc_lo, s0, v7
	v_add_co_ci_u32_e64 v4, null, s1, v8, vcc_lo
	v_lshlrev_b64 v[5:6], 3, v[5:6]
	v_add_co_u32 v7, vcc_lo, v5, 16
	v_add_co_ci_u32_e64 v8, null, 0, v6, vcc_lo
	v_add_co_u32 v5, vcc_lo, s2, v7
	v_add_co_ci_u32_e64 v6, null, s3, v8, vcc_lo
	;; [unrolled: 2-line block ×3, first 2 shown]
	s_cselect_b32 vcc_lo, -1, 0
	s_mov_b32 s5, s9
.LBB251_5:                              ; =>This Inner Loop Header: Depth=1
	v_add_co_u32 v15, s0, v2, v9
	v_add_co_ci_u32_e64 v16, null, 0, v12, s0
	v_add_co_u32 v17, s0, v2, v11
	v_add_co_ci_u32_e64 v18, null, v12, v10, s0
	global_load_dwordx2 v[21:22], v[3:4], off
	v_add_co_u32 v19, s0, v17, 8
	v_add_co_ci_u32_e64 v20, null, 0, v18, s0
	v_add_co_u32 v23, s0, v15, 40
	v_add_co_ci_u32_e64 v24, null, 0, v16, s0
	;; [unrolled: 2-line block ×8, first 2 shown]
	v_cndmask_b32_e32 v14, v16, v18, vcc_lo
	v_cndmask_b32_e32 v13, v15, v17, vcc_lo
	v_cndmask_b32_e32 v16, v24, v20, vcc_lo
	v_cndmask_b32_e32 v15, v23, v19, vcc_lo
	v_cndmask_b32_e32 v18, v28, v26, vcc_lo
	v_cndmask_b32_e32 v17, v27, v25, vcc_lo
	v_cndmask_b32_e32 v20, v32, v30, vcc_lo
	v_cndmask_b32_e32 v19, v31, v29, vcc_lo
	v_cndmask_b32_e32 v24, v36, v34, vcc_lo
	v_cndmask_b32_e32 v23, v35, v33, vcc_lo
	global_load_dwordx2 v[13:14], v[13:14], off
	global_load_dwordx2 v[15:16], v[15:16], off
	;; [unrolled: 1-line block ×5, first 2 shown]
	v_add_co_u32 v0, s0, v0, 32
	v_add_co_ci_u32_e64 v1, null, 0, v1, s0
	v_add_co_u32 v3, s0, 0x100, v3
	v_add_co_ci_u32_e64 v4, null, 0, v4, s0
	;; [unrolled: 2-line block ×3, first 2 shown]
	v_cmp_le_i64_e64 s0, s[10:11], v[0:1]
	s_waitcnt vmcnt(3)
	global_store_dwordx4 v[5:6], v[13:16], off offset:-16
	s_waitcnt vmcnt(1)
	global_store_dwordx4 v[5:6], v[17:20], off
	s_waitcnt vmcnt(0)
	global_store_dwordx2 v[5:6], v[23:24], off offset:16
	v_sub_co_u32 v21, s1, v21, s7
	v_subrev_co_ci_u32_e64 v25, null, 0, v22, s1
	v_add_co_u32 v5, s1, 0x500, v5
	v_mad_u64_u32 v[21:22], null, v21, 5, s[8:9]
	v_add_co_ci_u32_e64 v6, null, 0, v6, s1
	s_or_b32 s5, s0, s5
	v_mad_u64_u32 v[22:23], null, v25, 5, v[22:23]
	v_add_co_u32 v23, s4, v21, 1
	v_add_co_u32 v13, s1, v21, 2
	;; [unrolled: 1-line block ×4, first 2 shown]
	v_add_co_ci_u32_e64 v24, null, 0, v22, s4
	v_add_co_ci_u32_e64 v14, null, 0, v22, s1
	;; [unrolled: 1-line block ×4, first 2 shown]
	global_store_dwordx4 v[7:8], v[21:24], off offset:-16
	global_store_dwordx4 v[7:8], v[13:16], off
	global_store_dwordx2 v[7:8], v[17:18], off offset:16
	v_add_co_u32 v7, s1, 0x500, v7
	v_add_co_ci_u32_e64 v8, null, 0, v8, s1
	s_andn2_b32 exec_lo, exec_lo, s5
	s_cbranch_execnz .LBB251_5
.LBB251_6:
	s_endpgm
	.section	.rodata,"a",@progbits
	.p2align	6, 0x0
	.amdhsa_kernel _ZN9rocsparseL32bsr2csr_block_per_row_2_7_kernelILj256ELj5EdllEEv20rocsparse_direction_T3_S2_21rocsparse_index_base_PKT1_PKT2_PKS2_S2_S3_PS4_PS7_PS2_
		.amdhsa_group_segment_fixed_size 0
		.amdhsa_private_segment_fixed_size 0
		.amdhsa_kernarg_size 96
		.amdhsa_user_sgpr_count 6
		.amdhsa_user_sgpr_private_segment_buffer 1
		.amdhsa_user_sgpr_dispatch_ptr 0
		.amdhsa_user_sgpr_queue_ptr 0
		.amdhsa_user_sgpr_kernarg_segment_ptr 1
		.amdhsa_user_sgpr_dispatch_id 0
		.amdhsa_user_sgpr_flat_scratch_init 0
		.amdhsa_user_sgpr_private_segment_size 0
		.amdhsa_wavefront_size32 1
		.amdhsa_uses_dynamic_stack 0
		.amdhsa_system_sgpr_private_segment_wavefront_offset 0
		.amdhsa_system_sgpr_workgroup_id_x 1
		.amdhsa_system_sgpr_workgroup_id_y 0
		.amdhsa_system_sgpr_workgroup_id_z 0
		.amdhsa_system_sgpr_workgroup_info 0
		.amdhsa_system_vgpr_workitem_id 0
		.amdhsa_next_free_vgpr 37
		.amdhsa_next_free_sgpr 19
		.amdhsa_reserve_vcc 1
		.amdhsa_reserve_flat_scratch 0
		.amdhsa_float_round_mode_32 0
		.amdhsa_float_round_mode_16_64 0
		.amdhsa_float_denorm_mode_32 3
		.amdhsa_float_denorm_mode_16_64 3
		.amdhsa_dx10_clamp 1
		.amdhsa_ieee_mode 1
		.amdhsa_fp16_overflow 0
		.amdhsa_workgroup_processor_mode 1
		.amdhsa_memory_ordered 1
		.amdhsa_forward_progress 1
		.amdhsa_shared_vgpr_count 0
		.amdhsa_exception_fp_ieee_invalid_op 0
		.amdhsa_exception_fp_denorm_src 0
		.amdhsa_exception_fp_ieee_div_zero 0
		.amdhsa_exception_fp_ieee_overflow 0
		.amdhsa_exception_fp_ieee_underflow 0
		.amdhsa_exception_fp_ieee_inexact 0
		.amdhsa_exception_int_div_zero 0
	.end_amdhsa_kernel
	.section	.text._ZN9rocsparseL32bsr2csr_block_per_row_2_7_kernelILj256ELj5EdllEEv20rocsparse_direction_T3_S2_21rocsparse_index_base_PKT1_PKT2_PKS2_S2_S3_PS4_PS7_PS2_,"axG",@progbits,_ZN9rocsparseL32bsr2csr_block_per_row_2_7_kernelILj256ELj5EdllEEv20rocsparse_direction_T3_S2_21rocsparse_index_base_PKT1_PKT2_PKS2_S2_S3_PS4_PS7_PS2_,comdat
.Lfunc_end251:
	.size	_ZN9rocsparseL32bsr2csr_block_per_row_2_7_kernelILj256ELj5EdllEEv20rocsparse_direction_T3_S2_21rocsparse_index_base_PKT1_PKT2_PKS2_S2_S3_PS4_PS7_PS2_, .Lfunc_end251-_ZN9rocsparseL32bsr2csr_block_per_row_2_7_kernelILj256ELj5EdllEEv20rocsparse_direction_T3_S2_21rocsparse_index_base_PKT1_PKT2_PKS2_S2_S3_PS4_PS7_PS2_
                                        ; -- End function
	.set _ZN9rocsparseL32bsr2csr_block_per_row_2_7_kernelILj256ELj5EdllEEv20rocsparse_direction_T3_S2_21rocsparse_index_base_PKT1_PKT2_PKS2_S2_S3_PS4_PS7_PS2_.num_vgpr, 37
	.set _ZN9rocsparseL32bsr2csr_block_per_row_2_7_kernelILj256ELj5EdllEEv20rocsparse_direction_T3_S2_21rocsparse_index_base_PKT1_PKT2_PKS2_S2_S3_PS4_PS7_PS2_.num_agpr, 0
	.set _ZN9rocsparseL32bsr2csr_block_per_row_2_7_kernelILj256ELj5EdllEEv20rocsparse_direction_T3_S2_21rocsparse_index_base_PKT1_PKT2_PKS2_S2_S3_PS4_PS7_PS2_.numbered_sgpr, 19
	.set _ZN9rocsparseL32bsr2csr_block_per_row_2_7_kernelILj256ELj5EdllEEv20rocsparse_direction_T3_S2_21rocsparse_index_base_PKT1_PKT2_PKS2_S2_S3_PS4_PS7_PS2_.num_named_barrier, 0
	.set _ZN9rocsparseL32bsr2csr_block_per_row_2_7_kernelILj256ELj5EdllEEv20rocsparse_direction_T3_S2_21rocsparse_index_base_PKT1_PKT2_PKS2_S2_S3_PS4_PS7_PS2_.private_seg_size, 0
	.set _ZN9rocsparseL32bsr2csr_block_per_row_2_7_kernelILj256ELj5EdllEEv20rocsparse_direction_T3_S2_21rocsparse_index_base_PKT1_PKT2_PKS2_S2_S3_PS4_PS7_PS2_.uses_vcc, 1
	.set _ZN9rocsparseL32bsr2csr_block_per_row_2_7_kernelILj256ELj5EdllEEv20rocsparse_direction_T3_S2_21rocsparse_index_base_PKT1_PKT2_PKS2_S2_S3_PS4_PS7_PS2_.uses_flat_scratch, 0
	.set _ZN9rocsparseL32bsr2csr_block_per_row_2_7_kernelILj256ELj5EdllEEv20rocsparse_direction_T3_S2_21rocsparse_index_base_PKT1_PKT2_PKS2_S2_S3_PS4_PS7_PS2_.has_dyn_sized_stack, 0
	.set _ZN9rocsparseL32bsr2csr_block_per_row_2_7_kernelILj256ELj5EdllEEv20rocsparse_direction_T3_S2_21rocsparse_index_base_PKT1_PKT2_PKS2_S2_S3_PS4_PS7_PS2_.has_recursion, 0
	.set _ZN9rocsparseL32bsr2csr_block_per_row_2_7_kernelILj256ELj5EdllEEv20rocsparse_direction_T3_S2_21rocsparse_index_base_PKT1_PKT2_PKS2_S2_S3_PS4_PS7_PS2_.has_indirect_call, 0
	.section	.AMDGPU.csdata,"",@progbits
; Kernel info:
; codeLenInByte = 1064
; TotalNumSgprs: 21
; NumVgprs: 37
; ScratchSize: 0
; MemoryBound: 0
; FloatMode: 240
; IeeeMode: 1
; LDSByteSize: 0 bytes/workgroup (compile time only)
; SGPRBlocks: 0
; VGPRBlocks: 4
; NumSGPRsForWavesPerEU: 21
; NumVGPRsForWavesPerEU: 37
; Occupancy: 16
; WaveLimiterHint : 0
; COMPUTE_PGM_RSRC2:SCRATCH_EN: 0
; COMPUTE_PGM_RSRC2:USER_SGPR: 6
; COMPUTE_PGM_RSRC2:TRAP_HANDLER: 0
; COMPUTE_PGM_RSRC2:TGID_X_EN: 1
; COMPUTE_PGM_RSRC2:TGID_Y_EN: 0
; COMPUTE_PGM_RSRC2:TGID_Z_EN: 0
; COMPUTE_PGM_RSRC2:TIDIG_COMP_CNT: 0
	.section	.text._ZN9rocsparseL32bsr2csr_block_per_row_2_7_kernelILj256ELj6EdllEEv20rocsparse_direction_T3_S2_21rocsparse_index_base_PKT1_PKT2_PKS2_S2_S3_PS4_PS7_PS2_,"axG",@progbits,_ZN9rocsparseL32bsr2csr_block_per_row_2_7_kernelILj256ELj6EdllEEv20rocsparse_direction_T3_S2_21rocsparse_index_base_PKT1_PKT2_PKS2_S2_S3_PS4_PS7_PS2_,comdat
	.globl	_ZN9rocsparseL32bsr2csr_block_per_row_2_7_kernelILj256ELj6EdllEEv20rocsparse_direction_T3_S2_21rocsparse_index_base_PKT1_PKT2_PKS2_S2_S3_PS4_PS7_PS2_ ; -- Begin function _ZN9rocsparseL32bsr2csr_block_per_row_2_7_kernelILj256ELj6EdllEEv20rocsparse_direction_T3_S2_21rocsparse_index_base_PKT1_PKT2_PKS2_S2_S3_PS4_PS7_PS2_
	.p2align	8
	.type	_ZN9rocsparseL32bsr2csr_block_per_row_2_7_kernelILj256ELj6EdllEEv20rocsparse_direction_T3_S2_21rocsparse_index_base_PKT1_PKT2_PKS2_S2_S3_PS4_PS7_PS2_,@function
_ZN9rocsparseL32bsr2csr_block_per_row_2_7_kernelILj256ELj6EdllEEv20rocsparse_direction_T3_S2_21rocsparse_index_base_PKT1_PKT2_PKS2_S2_S3_PS4_PS7_PS2_: ; @_ZN9rocsparseL32bsr2csr_block_per_row_2_7_kernelILj256ELj6EdllEEv20rocsparse_direction_T3_S2_21rocsparse_index_base_PKT1_PKT2_PKS2_S2_S3_PS4_PS7_PS2_
; %bb.0:
	s_clause 0x2
	s_load_dwordx2 s[0:1], s[4:5], 0x28
	s_load_dword s8, s[4:5], 0x40
	s_load_dwordx2 s[12:13], s[4:5], 0x50
	s_mov_b32 s7, 0
	v_or_b32_e32 v1, s6, v0
	s_lshl_b64 s[2:3], s[6:7], 3
	s_waitcnt lgkmcnt(0)
	s_add_u32 s0, s0, s2
	s_addc_u32 s1, s1, s3
	s_mov_b32 s2, exec_lo
	v_cmpx_eq_u32_e32 0, v1
	s_cbranch_execz .LBB252_2
; %bb.1:
	v_mov_b32_e32 v1, s8
	v_mov_b32_e32 v2, 0
	global_store_dwordx2 v2, v[1:2], s[12:13]
.LBB252_2:
	s_or_b32 exec_lo, exec_lo, s2
	v_and_b32_e32 v6, 7, v0
	s_mov_b32 s2, exec_lo
	v_cmpx_gt_u32_e32 6, v6
	s_cbranch_execz .LBB252_6
; %bb.3:
	s_load_dwordx4 s[0:3], s[0:1], 0x0
	s_load_dword s7, s[4:5], 0x18
	v_lshrrev_b32_e32 v7, 3, v0
	v_mov_b32_e32 v3, 0
	s_mul_i32 s16, s6, 48
	v_lshlrev_b32_e32 v2, 3, v6
	s_waitcnt lgkmcnt(0)
	s_sub_u32 s9, s0, s7
	s_subb_u32 s14, s1, 0
	s_sub_u32 s10, s2, s7
	s_mul_hi_u32 s2, s9, 36
	s_mul_i32 s15, s14, 36
	s_subb_u32 s11, s3, 0
	s_add_i32 s2, s2, s15
	s_sub_u32 s3, s10, s9
	s_subb_u32 s17, s11, s14
	s_mul_i32 s15, s3, 6
	s_mul_hi_u32 s3, s3, 6
	v_mad_u64_u32 v[4:5], null, s15, v6, 0
	s_mul_i32 s17, s17, 6
	s_mul_i32 s18, s9, 36
	s_add_i32 s3, s3, s17
	v_mov_b32_e32 v0, v5
	v_mad_u64_u32 v[8:9], null, s3, v6, v[0:1]
	v_add_co_u32 v0, s9, s9, v7
	v_add_co_ci_u32_e64 v1, null, s14, 0, s9
	s_add_u32 s9, s15, s8
	s_addc_u32 s3, s3, 0
	s_add_u32 s9, s9, s18
	s_addc_u32 s2, s3, s2
	v_add_co_u32 v9, vcc_lo, s9, v4
	v_add_co_ci_u32_e64 v10, null, s2, v8, vcc_lo
	v_cmp_gt_i64_e32 vcc_lo, s[10:11], v[0:1]
	v_mov_b32_e32 v5, v8
	s_mul_hi_u32 s3, s6, 48
	s_add_u32 s2, s12, s16
	s_addc_u32 s3, s13, s3
	s_mov_b32 s9, 0
	global_store_dwordx2 v2, v[9:10], s[2:3] offset:8
	s_and_b32 exec_lo, exec_lo, vcc_lo
	s_cbranch_execz .LBB252_6
; %bb.4:
	v_mad_u64_u32 v[4:5], null, s0, 36, v[4:5]
	v_mad_u64_u32 v[10:11], null, 0x120, v0, v[2:3]
	s_load_dwordx2 s[12:13], s[4:5], 0x20
	s_mul_i32 s15, s7, 36
	s_mul_hi_u32 s14, s7, 36
	v_mad_u64_u32 v[8:9], null, s1, 36, v[5:6]
	s_clause 0x3
	s_load_dwordx2 s[0:1], s[4:5], 0x30
	s_load_dwordx2 s[2:3], s[4:5], 0x48
	s_load_dword s6, s[4:5], 0x0
	s_load_dwordx2 s[4:5], s[4:5], 0x58
	v_mul_u32_u24_e32 v9, 40, v6
	v_mov_b32_e32 v5, v8
	v_mul_hi_u32_u24_e32 v8, 40, v6
	v_mad_u64_u32 v[2:3], null, v7, 6, v[4:5]
	v_lshlrev_b64 v[5:6], 3, v[0:1]
	v_mov_b32_e32 v4, v11
	v_mad_u64_u32 v[11:12], null, 0x120, v1, v[4:5]
	v_sub_co_u32 v2, vcc_lo, v2, s15
	v_subrev_co_ci_u32_e64 v3, null, s14, v3, vcc_lo
	s_waitcnt lgkmcnt(0)
	s_cmp_eq_u32 s6, 0
	s_mov_b32 s6, s9
	v_lshlrev_b64 v[12:13], 3, v[2:3]
	v_add_co_u32 v2, vcc_lo, s0, v5
	v_add_co_ci_u32_e64 v3, null, s1, v6, vcc_lo
	v_add_co_u32 v6, vcc_lo, v12, 24
	v_add_co_ci_u32_e64 v7, null, 0, v13, vcc_lo
	;; [unrolled: 2-line block ×5, first 2 shown]
	s_cselect_b32 vcc_lo, -1, 0
.LBB252_5:                              ; =>This Inner Loop Header: Depth=1
	v_add_co_u32 v14, s0, v10, v9
	v_add_co_ci_u32_e64 v15, null, v11, v8, s0
	v_add_co_u32 v16, s0, v10, 48
	v_add_co_ci_u32_e64 v17, null, 0, v11, s0
	;; [unrolled: 2-line block ×4, first 2 shown]
	v_add_co_u32 v22, s0, 0xc0, v10
	global_load_dwordx2 v[24:25], v[2:3], off
	v_add_co_ci_u32_e64 v23, null, 0, v11, s0
	v_add_co_u32 v26, s0, 0xf0, v10
	v_add_co_ci_u32_e64 v27, null, 0, v11, s0
	v_add_co_u32 v28, s0, v14, 8
	v_add_co_ci_u32_e64 v29, null, 0, v15, s0
	v_add_co_u32 v30, s0, v14, 16
	v_add_co_ci_u32_e64 v31, null, 0, v15, s0
	v_add_co_u32 v32, s0, v14, 24
	v_add_co_ci_u32_e64 v33, null, 0, v15, s0
	v_add_co_u32 v34, s0, v14, 32
	v_add_co_ci_u32_e64 v35, null, 0, v15, s0
	v_add_co_u32 v36, s0, v14, 40
	v_add_co_ci_u32_e64 v37, null, 0, v15, s0
	v_cndmask_b32_e32 v13, v11, v15, vcc_lo
	v_cndmask_b32_e32 v12, v10, v14, vcc_lo
	;; [unrolled: 1-line block ×12, first 2 shown]
	global_load_dwordx2 v[12:13], v[12:13], off
	global_load_dwordx2 v[14:15], v[14:15], off
	;; [unrolled: 1-line block ×6, first 2 shown]
	v_add_co_u32 v0, s0, v0, 32
	v_add_co_ci_u32_e64 v1, null, 0, v1, s0
	v_add_co_u32 v2, s0, 0x100, v2
	v_add_co_ci_u32_e64 v3, null, 0, v3, s0
	;; [unrolled: 2-line block ×3, first 2 shown]
	v_cmp_le_i64_e64 s0, s[10:11], v[0:1]
	s_waitcnt vmcnt(4)
	global_store_dwordx4 v[4:5], v[12:15], off offset:-24
	s_waitcnt vmcnt(2)
	global_store_dwordx4 v[4:5], v[16:19], off offset:-8
	s_waitcnt vmcnt(0)
	global_store_dwordx4 v[4:5], v[20:23], off offset:8
	v_sub_co_u32 v24, s1, v24, s7
	v_subrev_co_ci_u32_e64 v26, null, 0, v25, s1
	v_add_co_u32 v4, s1, 0x600, v4
	v_mad_u64_u32 v[24:25], null, v24, 6, s[8:9]
	v_add_co_ci_u32_e64 v5, null, 0, v5, s1
	s_or_b32 s6, s0, s6
	v_mad_u64_u32 v[25:26], null, v26, 6, v[25:26]
	v_add_co_u32 v26, s5, v24, 1
	v_add_co_u32 v12, s1, v24, 2
	;; [unrolled: 1-line block ×5, first 2 shown]
	v_add_co_ci_u32_e64 v27, null, 0, v25, s5
	v_add_co_ci_u32_e64 v13, null, 0, v25, s1
	;; [unrolled: 1-line block ×5, first 2 shown]
	global_store_dwordx4 v[6:7], v[24:27], off offset:-24
	global_store_dwordx4 v[6:7], v[12:15], off offset:-8
	global_store_dwordx4 v[6:7], v[16:19], off offset:8
	v_add_co_u32 v6, s1, 0x600, v6
	v_add_co_ci_u32_e64 v7, null, 0, v7, s1
	s_andn2_b32 exec_lo, exec_lo, s6
	s_cbranch_execnz .LBB252_5
.LBB252_6:
	s_endpgm
	.section	.rodata,"a",@progbits
	.p2align	6, 0x0
	.amdhsa_kernel _ZN9rocsparseL32bsr2csr_block_per_row_2_7_kernelILj256ELj6EdllEEv20rocsparse_direction_T3_S2_21rocsparse_index_base_PKT1_PKT2_PKS2_S2_S3_PS4_PS7_PS2_
		.amdhsa_group_segment_fixed_size 0
		.amdhsa_private_segment_fixed_size 0
		.amdhsa_kernarg_size 96
		.amdhsa_user_sgpr_count 6
		.amdhsa_user_sgpr_private_segment_buffer 1
		.amdhsa_user_sgpr_dispatch_ptr 0
		.amdhsa_user_sgpr_queue_ptr 0
		.amdhsa_user_sgpr_kernarg_segment_ptr 1
		.amdhsa_user_sgpr_dispatch_id 0
		.amdhsa_user_sgpr_flat_scratch_init 0
		.amdhsa_user_sgpr_private_segment_size 0
		.amdhsa_wavefront_size32 1
		.amdhsa_uses_dynamic_stack 0
		.amdhsa_system_sgpr_private_segment_wavefront_offset 0
		.amdhsa_system_sgpr_workgroup_id_x 1
		.amdhsa_system_sgpr_workgroup_id_y 0
		.amdhsa_system_sgpr_workgroup_id_z 0
		.amdhsa_system_sgpr_workgroup_info 0
		.amdhsa_system_vgpr_workitem_id 0
		.amdhsa_next_free_vgpr 38
		.amdhsa_next_free_sgpr 19
		.amdhsa_reserve_vcc 1
		.amdhsa_reserve_flat_scratch 0
		.amdhsa_float_round_mode_32 0
		.amdhsa_float_round_mode_16_64 0
		.amdhsa_float_denorm_mode_32 3
		.amdhsa_float_denorm_mode_16_64 3
		.amdhsa_dx10_clamp 1
		.amdhsa_ieee_mode 1
		.amdhsa_fp16_overflow 0
		.amdhsa_workgroup_processor_mode 1
		.amdhsa_memory_ordered 1
		.amdhsa_forward_progress 1
		.amdhsa_shared_vgpr_count 0
		.amdhsa_exception_fp_ieee_invalid_op 0
		.amdhsa_exception_fp_denorm_src 0
		.amdhsa_exception_fp_ieee_div_zero 0
		.amdhsa_exception_fp_ieee_overflow 0
		.amdhsa_exception_fp_ieee_underflow 0
		.amdhsa_exception_fp_ieee_inexact 0
		.amdhsa_exception_int_div_zero 0
	.end_amdhsa_kernel
	.section	.text._ZN9rocsparseL32bsr2csr_block_per_row_2_7_kernelILj256ELj6EdllEEv20rocsparse_direction_T3_S2_21rocsparse_index_base_PKT1_PKT2_PKS2_S2_S3_PS4_PS7_PS2_,"axG",@progbits,_ZN9rocsparseL32bsr2csr_block_per_row_2_7_kernelILj256ELj6EdllEEv20rocsparse_direction_T3_S2_21rocsparse_index_base_PKT1_PKT2_PKS2_S2_S3_PS4_PS7_PS2_,comdat
.Lfunc_end252:
	.size	_ZN9rocsparseL32bsr2csr_block_per_row_2_7_kernelILj256ELj6EdllEEv20rocsparse_direction_T3_S2_21rocsparse_index_base_PKT1_PKT2_PKS2_S2_S3_PS4_PS7_PS2_, .Lfunc_end252-_ZN9rocsparseL32bsr2csr_block_per_row_2_7_kernelILj256ELj6EdllEEv20rocsparse_direction_T3_S2_21rocsparse_index_base_PKT1_PKT2_PKS2_S2_S3_PS4_PS7_PS2_
                                        ; -- End function
	.set _ZN9rocsparseL32bsr2csr_block_per_row_2_7_kernelILj256ELj6EdllEEv20rocsparse_direction_T3_S2_21rocsparse_index_base_PKT1_PKT2_PKS2_S2_S3_PS4_PS7_PS2_.num_vgpr, 38
	.set _ZN9rocsparseL32bsr2csr_block_per_row_2_7_kernelILj256ELj6EdllEEv20rocsparse_direction_T3_S2_21rocsparse_index_base_PKT1_PKT2_PKS2_S2_S3_PS4_PS7_PS2_.num_agpr, 0
	.set _ZN9rocsparseL32bsr2csr_block_per_row_2_7_kernelILj256ELj6EdllEEv20rocsparse_direction_T3_S2_21rocsparse_index_base_PKT1_PKT2_PKS2_S2_S3_PS4_PS7_PS2_.numbered_sgpr, 19
	.set _ZN9rocsparseL32bsr2csr_block_per_row_2_7_kernelILj256ELj6EdllEEv20rocsparse_direction_T3_S2_21rocsparse_index_base_PKT1_PKT2_PKS2_S2_S3_PS4_PS7_PS2_.num_named_barrier, 0
	.set _ZN9rocsparseL32bsr2csr_block_per_row_2_7_kernelILj256ELj6EdllEEv20rocsparse_direction_T3_S2_21rocsparse_index_base_PKT1_PKT2_PKS2_S2_S3_PS4_PS7_PS2_.private_seg_size, 0
	.set _ZN9rocsparseL32bsr2csr_block_per_row_2_7_kernelILj256ELj6EdllEEv20rocsparse_direction_T3_S2_21rocsparse_index_base_PKT1_PKT2_PKS2_S2_S3_PS4_PS7_PS2_.uses_vcc, 1
	.set _ZN9rocsparseL32bsr2csr_block_per_row_2_7_kernelILj256ELj6EdllEEv20rocsparse_direction_T3_S2_21rocsparse_index_base_PKT1_PKT2_PKS2_S2_S3_PS4_PS7_PS2_.uses_flat_scratch, 0
	.set _ZN9rocsparseL32bsr2csr_block_per_row_2_7_kernelILj256ELj6EdllEEv20rocsparse_direction_T3_S2_21rocsparse_index_base_PKT1_PKT2_PKS2_S2_S3_PS4_PS7_PS2_.has_dyn_sized_stack, 0
	.set _ZN9rocsparseL32bsr2csr_block_per_row_2_7_kernelILj256ELj6EdllEEv20rocsparse_direction_T3_S2_21rocsparse_index_base_PKT1_PKT2_PKS2_S2_S3_PS4_PS7_PS2_.has_recursion, 0
	.set _ZN9rocsparseL32bsr2csr_block_per_row_2_7_kernelILj256ELj6EdllEEv20rocsparse_direction_T3_S2_21rocsparse_index_base_PKT1_PKT2_PKS2_S2_S3_PS4_PS7_PS2_.has_indirect_call, 0
	.section	.AMDGPU.csdata,"",@progbits
; Kernel info:
; codeLenInByte = 1132
; TotalNumSgprs: 21
; NumVgprs: 38
; ScratchSize: 0
; MemoryBound: 0
; FloatMode: 240
; IeeeMode: 1
; LDSByteSize: 0 bytes/workgroup (compile time only)
; SGPRBlocks: 0
; VGPRBlocks: 4
; NumSGPRsForWavesPerEU: 21
; NumVGPRsForWavesPerEU: 38
; Occupancy: 16
; WaveLimiterHint : 0
; COMPUTE_PGM_RSRC2:SCRATCH_EN: 0
; COMPUTE_PGM_RSRC2:USER_SGPR: 6
; COMPUTE_PGM_RSRC2:TRAP_HANDLER: 0
; COMPUTE_PGM_RSRC2:TGID_X_EN: 1
; COMPUTE_PGM_RSRC2:TGID_Y_EN: 0
; COMPUTE_PGM_RSRC2:TGID_Z_EN: 0
; COMPUTE_PGM_RSRC2:TIDIG_COMP_CNT: 0
	.section	.text._ZN9rocsparseL32bsr2csr_block_per_row_2_7_kernelILj256ELj7EdllEEv20rocsparse_direction_T3_S2_21rocsparse_index_base_PKT1_PKT2_PKS2_S2_S3_PS4_PS7_PS2_,"axG",@progbits,_ZN9rocsparseL32bsr2csr_block_per_row_2_7_kernelILj256ELj7EdllEEv20rocsparse_direction_T3_S2_21rocsparse_index_base_PKT1_PKT2_PKS2_S2_S3_PS4_PS7_PS2_,comdat
	.globl	_ZN9rocsparseL32bsr2csr_block_per_row_2_7_kernelILj256ELj7EdllEEv20rocsparse_direction_T3_S2_21rocsparse_index_base_PKT1_PKT2_PKS2_S2_S3_PS4_PS7_PS2_ ; -- Begin function _ZN9rocsparseL32bsr2csr_block_per_row_2_7_kernelILj256ELj7EdllEEv20rocsparse_direction_T3_S2_21rocsparse_index_base_PKT1_PKT2_PKS2_S2_S3_PS4_PS7_PS2_
	.p2align	8
	.type	_ZN9rocsparseL32bsr2csr_block_per_row_2_7_kernelILj256ELj7EdllEEv20rocsparse_direction_T3_S2_21rocsparse_index_base_PKT1_PKT2_PKS2_S2_S3_PS4_PS7_PS2_,@function
_ZN9rocsparseL32bsr2csr_block_per_row_2_7_kernelILj256ELj7EdllEEv20rocsparse_direction_T3_S2_21rocsparse_index_base_PKT1_PKT2_PKS2_S2_S3_PS4_PS7_PS2_: ; @_ZN9rocsparseL32bsr2csr_block_per_row_2_7_kernelILj256ELj7EdllEEv20rocsparse_direction_T3_S2_21rocsparse_index_base_PKT1_PKT2_PKS2_S2_S3_PS4_PS7_PS2_
; %bb.0:
	s_clause 0x2
	s_load_dwordx2 s[0:1], s[4:5], 0x28
	s_load_dword s8, s[4:5], 0x40
	s_load_dwordx2 s[12:13], s[4:5], 0x50
	s_mov_b32 s7, 0
	v_or_b32_e32 v1, s6, v0
	s_lshl_b64 s[2:3], s[6:7], 3
	s_waitcnt lgkmcnt(0)
	s_add_u32 s0, s0, s2
	s_addc_u32 s1, s1, s3
	s_mov_b32 s2, exec_lo
	v_cmpx_eq_u32_e32 0, v1
	s_cbranch_execz .LBB253_2
; %bb.1:
	v_mov_b32_e32 v1, s8
	v_mov_b32_e32 v2, 0
	global_store_dwordx2 v2, v[1:2], s[12:13]
.LBB253_2:
	s_or_b32 exec_lo, exec_lo, s2
	v_and_b32_e32 v6, 7, v0
	s_mov_b32 s2, exec_lo
	v_cmpx_ne_u32_e32 7, v6
	s_cbranch_execz .LBB253_6
; %bb.3:
	s_load_dwordx4 s[0:3], s[0:1], 0x0
	s_load_dword s7, s[4:5], 0x18
	v_lshrrev_b32_e32 v7, 3, v0
	v_mov_b32_e32 v3, 0
	s_mul_i32 s16, s6, 56
	v_lshlrev_b32_e32 v2, 3, v6
	s_waitcnt lgkmcnt(0)
	s_sub_u32 s9, s0, s7
	s_subb_u32 s14, s1, 0
	s_sub_u32 s10, s2, s7
	s_mul_hi_u32 s2, s9, 49
	s_mul_i32 s15, s14, 49
	s_subb_u32 s11, s3, 0
	s_add_i32 s2, s2, s15
	s_sub_u32 s3, s10, s9
	s_subb_u32 s17, s11, s14
	s_mul_i32 s15, s3, 7
	s_mul_hi_u32 s3, s3, 7
	v_mad_u64_u32 v[4:5], null, s15, v6, 0
	s_mul_i32 s17, s17, 7
	s_mul_i32 s18, s9, 49
	s_add_i32 s3, s3, s17
	v_mov_b32_e32 v0, v5
	v_mad_u64_u32 v[8:9], null, s3, v6, v[0:1]
	v_add_co_u32 v0, s9, s9, v7
	v_add_co_ci_u32_e64 v1, null, s14, 0, s9
	s_add_u32 s9, s15, s8
	s_addc_u32 s3, s3, 0
	s_add_u32 s9, s9, s18
	s_addc_u32 s2, s3, s2
	v_add_co_u32 v9, vcc_lo, s9, v4
	v_add_co_ci_u32_e64 v10, null, s2, v8, vcc_lo
	v_cmp_gt_i64_e32 vcc_lo, s[10:11], v[0:1]
	v_mov_b32_e32 v5, v8
	s_mul_hi_u32 s3, s6, 56
	s_add_u32 s2, s12, s16
	s_addc_u32 s3, s13, s3
	s_mov_b32 s9, 0
	global_store_dwordx2 v2, v[9:10], s[2:3] offset:8
	s_and_b32 exec_lo, exec_lo, vcc_lo
	s_cbranch_execz .LBB253_6
; %bb.4:
	v_mad_u64_u32 v[4:5], null, s0, 49, v[4:5]
	v_mad_u64_u32 v[10:11], null, 0x188, v0, v[2:3]
	s_load_dwordx2 s[12:13], s[4:5], 0x20
	s_mul_i32 s15, s7, 49
	s_mul_hi_u32 s14, s7, 49
	v_mad_u64_u32 v[8:9], null, s1, 49, v[5:6]
	s_clause 0x3
	s_load_dwordx2 s[0:1], s[4:5], 0x30
	s_load_dwordx2 s[2:3], s[4:5], 0x48
	s_load_dword s6, s[4:5], 0x0
	s_load_dwordx2 s[4:5], s[4:5], 0x58
	v_mul_u32_u24_e32 v9, 48, v6
	v_mov_b32_e32 v5, v8
	v_mul_hi_u32_u24_e32 v8, 48, v6
	v_mad_u64_u32 v[2:3], null, v7, 7, v[4:5]
	v_lshlrev_b64 v[5:6], 3, v[0:1]
	v_mov_b32_e32 v4, v11
	v_mad_u64_u32 v[11:12], null, 0x188, v1, v[4:5]
	v_sub_co_u32 v2, vcc_lo, v2, s15
	v_subrev_co_ci_u32_e64 v3, null, s14, v3, vcc_lo
	s_waitcnt lgkmcnt(0)
	s_cmp_eq_u32 s6, 0
	v_lshlrev_b64 v[12:13], 3, v[2:3]
	v_add_co_u32 v2, vcc_lo, s0, v5
	v_add_co_ci_u32_e64 v3, null, s1, v6, vcc_lo
	v_add_co_u32 v6, vcc_lo, v12, 24
	v_add_co_ci_u32_e64 v7, null, 0, v13, vcc_lo
	v_add_co_u32 v10, vcc_lo, s12, v10
	v_add_co_ci_u32_e64 v11, null, s13, v11, vcc_lo
	v_add_co_u32 v4, vcc_lo, s2, v6
	v_add_co_ci_u32_e64 v5, null, s3, v7, vcc_lo
	v_add_co_u32 v6, vcc_lo, s4, v6
	v_add_co_ci_u32_e64 v7, null, s5, v7, vcc_lo
	s_cselect_b32 vcc_lo, -1, 0
	s_mov_b32 s12, s9
.LBB253_5:                              ; =>This Inner Loop Header: Depth=1
	v_add_co_u32 v14, s0, v10, v9
	v_add_co_ci_u32_e64 v15, null, v11, v8, s0
	v_add_co_u32 v16, s0, v10, 56
	v_add_co_ci_u32_e64 v17, null, 0, v11, s0
	;; [unrolled: 2-line block ×9, first 2 shown]
	v_add_co_u32 v34, s0, v14, 24
	global_load_dwordx2 v[24:25], v[2:3], off
	v_add_co_ci_u32_e64 v35, null, 0, v15, s0
	v_add_co_u32 v36, s0, v14, 32
	v_add_co_ci_u32_e64 v37, null, 0, v15, s0
	v_add_co_u32 v38, s0, v14, 40
	;; [unrolled: 2-line block ×3, first 2 shown]
	v_add_co_ci_u32_e64 v41, null, 0, v15, s0
	v_cndmask_b32_e32 v13, v11, v15, vcc_lo
	v_cndmask_b32_e32 v12, v10, v14, vcc_lo
	;; [unrolled: 1-line block ×14, first 2 shown]
	global_load_dwordx2 v[12:13], v[12:13], off
	global_load_dwordx2 v[14:15], v[14:15], off
	global_load_dwordx2 v[16:17], v[16:17], off
	global_load_dwordx2 v[18:19], v[18:19], off
	global_load_dwordx2 v[20:21], v[20:21], off
	global_load_dwordx2 v[22:23], v[22:23], off
	global_load_dwordx2 v[26:27], v[26:27], off
	v_add_co_u32 v0, s0, v0, 32
	v_add_co_ci_u32_e64 v1, null, 0, v1, s0
	v_add_co_u32 v2, s0, 0x100, v2
	v_add_co_ci_u32_e64 v3, null, 0, v3, s0
	;; [unrolled: 2-line block ×3, first 2 shown]
	v_cmp_le_i64_e64 s0, s[10:11], v[0:1]
	s_waitcnt vmcnt(5)
	global_store_dwordx4 v[4:5], v[12:15], off offset:-24
	s_waitcnt vmcnt(3)
	global_store_dwordx4 v[4:5], v[16:19], off offset:-8
	s_waitcnt vmcnt(1)
	global_store_dwordx4 v[4:5], v[20:23], off offset:8
	s_waitcnt vmcnt(0)
	global_store_dwordx2 v[4:5], v[26:27], off offset:24
	v_sub_co_u32 v24, s1, v24, s7
	v_subrev_co_ci_u32_e64 v28, null, 0, v25, s1
	v_add_co_u32 v4, s1, 0x700, v4
	v_mad_u64_u32 v[24:25], null, v24, 7, s[8:9]
	v_add_co_ci_u32_e64 v5, null, 0, v5, s1
	s_or_b32 s12, s0, s12
	v_mad_u64_u32 v[25:26], null, v28, 7, v[25:26]
	v_add_co_u32 v26, s6, v24, 1
	v_add_co_u32 v12, s1, v24, 2
	;; [unrolled: 1-line block ×5, first 2 shown]
	v_add_co_ci_u32_e64 v27, null, 0, v25, s6
	v_add_co_u32 v20, s5, v24, 6
	v_add_co_ci_u32_e64 v13, null, 0, v25, s1
	v_add_co_ci_u32_e64 v15, null, 0, v25, s2
	;; [unrolled: 1-line block ×5, first 2 shown]
	global_store_dwordx4 v[6:7], v[24:27], off offset:-24
	global_store_dwordx4 v[6:7], v[12:15], off offset:-8
	global_store_dwordx4 v[6:7], v[16:19], off offset:8
	global_store_dwordx2 v[6:7], v[20:21], off offset:24
	v_add_co_u32 v6, s1, 0x700, v6
	v_add_co_ci_u32_e64 v7, null, 0, v7, s1
	s_andn2_b32 exec_lo, exec_lo, s12
	s_cbranch_execnz .LBB253_5
.LBB253_6:
	s_endpgm
	.section	.rodata,"a",@progbits
	.p2align	6, 0x0
	.amdhsa_kernel _ZN9rocsparseL32bsr2csr_block_per_row_2_7_kernelILj256ELj7EdllEEv20rocsparse_direction_T3_S2_21rocsparse_index_base_PKT1_PKT2_PKS2_S2_S3_PS4_PS7_PS2_
		.amdhsa_group_segment_fixed_size 0
		.amdhsa_private_segment_fixed_size 0
		.amdhsa_kernarg_size 96
		.amdhsa_user_sgpr_count 6
		.amdhsa_user_sgpr_private_segment_buffer 1
		.amdhsa_user_sgpr_dispatch_ptr 0
		.amdhsa_user_sgpr_queue_ptr 0
		.amdhsa_user_sgpr_kernarg_segment_ptr 1
		.amdhsa_user_sgpr_dispatch_id 0
		.amdhsa_user_sgpr_flat_scratch_init 0
		.amdhsa_user_sgpr_private_segment_size 0
		.amdhsa_wavefront_size32 1
		.amdhsa_uses_dynamic_stack 0
		.amdhsa_system_sgpr_private_segment_wavefront_offset 0
		.amdhsa_system_sgpr_workgroup_id_x 1
		.amdhsa_system_sgpr_workgroup_id_y 0
		.amdhsa_system_sgpr_workgroup_id_z 0
		.amdhsa_system_sgpr_workgroup_info 0
		.amdhsa_system_vgpr_workitem_id 0
		.amdhsa_next_free_vgpr 42
		.amdhsa_next_free_sgpr 19
		.amdhsa_reserve_vcc 1
		.amdhsa_reserve_flat_scratch 0
		.amdhsa_float_round_mode_32 0
		.amdhsa_float_round_mode_16_64 0
		.amdhsa_float_denorm_mode_32 3
		.amdhsa_float_denorm_mode_16_64 3
		.amdhsa_dx10_clamp 1
		.amdhsa_ieee_mode 1
		.amdhsa_fp16_overflow 0
		.amdhsa_workgroup_processor_mode 1
		.amdhsa_memory_ordered 1
		.amdhsa_forward_progress 1
		.amdhsa_shared_vgpr_count 0
		.amdhsa_exception_fp_ieee_invalid_op 0
		.amdhsa_exception_fp_denorm_src 0
		.amdhsa_exception_fp_ieee_div_zero 0
		.amdhsa_exception_fp_ieee_overflow 0
		.amdhsa_exception_fp_ieee_underflow 0
		.amdhsa_exception_fp_ieee_inexact 0
		.amdhsa_exception_int_div_zero 0
	.end_amdhsa_kernel
	.section	.text._ZN9rocsparseL32bsr2csr_block_per_row_2_7_kernelILj256ELj7EdllEEv20rocsparse_direction_T3_S2_21rocsparse_index_base_PKT1_PKT2_PKS2_S2_S3_PS4_PS7_PS2_,"axG",@progbits,_ZN9rocsparseL32bsr2csr_block_per_row_2_7_kernelILj256ELj7EdllEEv20rocsparse_direction_T3_S2_21rocsparse_index_base_PKT1_PKT2_PKS2_S2_S3_PS4_PS7_PS2_,comdat
.Lfunc_end253:
	.size	_ZN9rocsparseL32bsr2csr_block_per_row_2_7_kernelILj256ELj7EdllEEv20rocsparse_direction_T3_S2_21rocsparse_index_base_PKT1_PKT2_PKS2_S2_S3_PS4_PS7_PS2_, .Lfunc_end253-_ZN9rocsparseL32bsr2csr_block_per_row_2_7_kernelILj256ELj7EdllEEv20rocsparse_direction_T3_S2_21rocsparse_index_base_PKT1_PKT2_PKS2_S2_S3_PS4_PS7_PS2_
                                        ; -- End function
	.set _ZN9rocsparseL32bsr2csr_block_per_row_2_7_kernelILj256ELj7EdllEEv20rocsparse_direction_T3_S2_21rocsparse_index_base_PKT1_PKT2_PKS2_S2_S3_PS4_PS7_PS2_.num_vgpr, 42
	.set _ZN9rocsparseL32bsr2csr_block_per_row_2_7_kernelILj256ELj7EdllEEv20rocsparse_direction_T3_S2_21rocsparse_index_base_PKT1_PKT2_PKS2_S2_S3_PS4_PS7_PS2_.num_agpr, 0
	.set _ZN9rocsparseL32bsr2csr_block_per_row_2_7_kernelILj256ELj7EdllEEv20rocsparse_direction_T3_S2_21rocsparse_index_base_PKT1_PKT2_PKS2_S2_S3_PS4_PS7_PS2_.numbered_sgpr, 19
	.set _ZN9rocsparseL32bsr2csr_block_per_row_2_7_kernelILj256ELj7EdllEEv20rocsparse_direction_T3_S2_21rocsparse_index_base_PKT1_PKT2_PKS2_S2_S3_PS4_PS7_PS2_.num_named_barrier, 0
	.set _ZN9rocsparseL32bsr2csr_block_per_row_2_7_kernelILj256ELj7EdllEEv20rocsparse_direction_T3_S2_21rocsparse_index_base_PKT1_PKT2_PKS2_S2_S3_PS4_PS7_PS2_.private_seg_size, 0
	.set _ZN9rocsparseL32bsr2csr_block_per_row_2_7_kernelILj256ELj7EdllEEv20rocsparse_direction_T3_S2_21rocsparse_index_base_PKT1_PKT2_PKS2_S2_S3_PS4_PS7_PS2_.uses_vcc, 1
	.set _ZN9rocsparseL32bsr2csr_block_per_row_2_7_kernelILj256ELj7EdllEEv20rocsparse_direction_T3_S2_21rocsparse_index_base_PKT1_PKT2_PKS2_S2_S3_PS4_PS7_PS2_.uses_flat_scratch, 0
	.set _ZN9rocsparseL32bsr2csr_block_per_row_2_7_kernelILj256ELj7EdllEEv20rocsparse_direction_T3_S2_21rocsparse_index_base_PKT1_PKT2_PKS2_S2_S3_PS4_PS7_PS2_.has_dyn_sized_stack, 0
	.set _ZN9rocsparseL32bsr2csr_block_per_row_2_7_kernelILj256ELj7EdllEEv20rocsparse_direction_T3_S2_21rocsparse_index_base_PKT1_PKT2_PKS2_S2_S3_PS4_PS7_PS2_.has_recursion, 0
	.set _ZN9rocsparseL32bsr2csr_block_per_row_2_7_kernelILj256ELj7EdllEEv20rocsparse_direction_T3_S2_21rocsparse_index_base_PKT1_PKT2_PKS2_S2_S3_PS4_PS7_PS2_.has_indirect_call, 0
	.section	.AMDGPU.csdata,"",@progbits
; Kernel info:
; codeLenInByte = 1220
; TotalNumSgprs: 21
; NumVgprs: 42
; ScratchSize: 0
; MemoryBound: 0
; FloatMode: 240
; IeeeMode: 1
; LDSByteSize: 0 bytes/workgroup (compile time only)
; SGPRBlocks: 0
; VGPRBlocks: 5
; NumSGPRsForWavesPerEU: 21
; NumVGPRsForWavesPerEU: 42
; Occupancy: 16
; WaveLimiterHint : 0
; COMPUTE_PGM_RSRC2:SCRATCH_EN: 0
; COMPUTE_PGM_RSRC2:USER_SGPR: 6
; COMPUTE_PGM_RSRC2:TRAP_HANDLER: 0
; COMPUTE_PGM_RSRC2:TGID_X_EN: 1
; COMPUTE_PGM_RSRC2:TGID_Y_EN: 0
; COMPUTE_PGM_RSRC2:TGID_Z_EN: 0
; COMPUTE_PGM_RSRC2:TIDIG_COMP_CNT: 0
	.section	.text._ZN9rocsparseL33bsr2csr_block_per_row_8_32_kernelILj1024ELj8EdllEEv20rocsparse_direction_T3_S2_21rocsparse_index_base_PKT1_PKT2_PKS2_S2_S3_PS4_PS7_PS2_,"axG",@progbits,_ZN9rocsparseL33bsr2csr_block_per_row_8_32_kernelILj1024ELj8EdllEEv20rocsparse_direction_T3_S2_21rocsparse_index_base_PKT1_PKT2_PKS2_S2_S3_PS4_PS7_PS2_,comdat
	.globl	_ZN9rocsparseL33bsr2csr_block_per_row_8_32_kernelILj1024ELj8EdllEEv20rocsparse_direction_T3_S2_21rocsparse_index_base_PKT1_PKT2_PKS2_S2_S3_PS4_PS7_PS2_ ; -- Begin function _ZN9rocsparseL33bsr2csr_block_per_row_8_32_kernelILj1024ELj8EdllEEv20rocsparse_direction_T3_S2_21rocsparse_index_base_PKT1_PKT2_PKS2_S2_S3_PS4_PS7_PS2_
	.p2align	8
	.type	_ZN9rocsparseL33bsr2csr_block_per_row_8_32_kernelILj1024ELj8EdllEEv20rocsparse_direction_T3_S2_21rocsparse_index_base_PKT1_PKT2_PKS2_S2_S3_PS4_PS7_PS2_,@function
_ZN9rocsparseL33bsr2csr_block_per_row_8_32_kernelILj1024ELj8EdllEEv20rocsparse_direction_T3_S2_21rocsparse_index_base_PKT1_PKT2_PKS2_S2_S3_PS4_PS7_PS2_: ; @_ZN9rocsparseL33bsr2csr_block_per_row_8_32_kernelILj1024ELj8EdllEEv20rocsparse_direction_T3_S2_21rocsparse_index_base_PKT1_PKT2_PKS2_S2_S3_PS4_PS7_PS2_
; %bb.0:
	s_clause 0x2
	s_load_dwordx2 s[0:1], s[4:5], 0x28
	s_load_dword s12, s[4:5], 0x40
	s_load_dwordx2 s[10:11], s[4:5], 0x50
	s_mov_b32 s7, 0
	v_or_b32_e32 v1, s6, v0
	s_lshl_b64 s[2:3], s[6:7], 3
	s_waitcnt lgkmcnt(0)
	s_add_u32 s8, s0, s2
	s_addc_u32 s9, s1, s3
	s_mov_b32 s0, exec_lo
	v_cmpx_eq_u32_e32 0, v1
	s_cbranch_execz .LBB254_2
; %bb.1:
	v_mov_b32_e32 v1, s12
	v_mov_b32_e32 v2, 0
	global_store_dwordx2 v2, v[1:2], s[10:11]
.LBB254_2:
	s_or_b32 exec_lo, exec_lo, s0
	s_load_dwordx2 s[2:3], s[4:5], 0x38
	v_mov_b32_e32 v3, 0
	v_bfe_u32 v4, v0, 3, 3
	v_and_b32_e32 v2, 7, v0
	v_mov_b32_e32 v5, v3
	s_waitcnt lgkmcnt(0)
	v_cmp_gt_i64_e32 vcc_lo, s[2:3], v[4:5]
	v_cmp_gt_i64_e64 s0, s[2:3], v[2:3]
	s_and_b32 s0, vcc_lo, s0
	s_and_saveexec_b32 s1, s0
	s_cbranch_execz .LBB254_6
; %bb.3:
	s_load_dwordx4 s[16:19], s[8:9], 0x0
	s_load_dword s14, s[4:5], 0x18
	s_mul_i32 s1, s2, s3
	s_mul_hi_u32 s0, s2, s2
	v_lshrrev_b32_e32 v5, 6, v0
	s_waitcnt lgkmcnt(0)
	s_sub_u32 s16, s16, s14
	s_subb_u32 s7, s17, 0
	s_sub_u32 s8, s18, s14
	s_subb_u32 s9, s19, 0
	s_add_i32 s13, s0, s1
	s_mul_i32 s0, s2, s2
	s_add_i32 s1, s13, s1
	s_mul_hi_u32 s13, s16, s0
	s_mul_i32 s15, s16, s1
	s_mul_i32 s17, s7, s0
	s_add_i32 s13, s13, s15
	s_mul_i32 s15, s16, s0
	s_add_i32 s19, s13, s17
	s_sub_u32 s17, s8, s16
	s_subb_u32 s13, s9, s7
	s_mul_i32 s18, s17, s3
	s_mul_hi_u32 s20, s17, s2
	s_mul_i32 s21, s13, s2
	s_add_i32 s18, s20, s18
	s_mul_i32 s20, s17, s2
	s_add_i32 s21, s18, s21
	s_add_u32 s18, s20, s12
	s_addc_u32 s22, s21, 0
	s_add_u32 s18, s18, s15
	s_addc_u32 s19, s22, s19
	s_mul_i32 s15, s3, s6
	v_mad_u64_u32 v[8:9], null, s20, v4, s[18:19]
	s_mul_hi_u32 s19, s2, s6
	s_mul_i32 s18, s2, s6
	s_add_i32 s19, s19, s15
	s_mov_b32 s15, 0
	s_lshl_b64 s[18:19], s[18:19], 3
	v_mov_b32_e32 v0, v9
	s_add_u32 s10, s10, s18
	s_addc_u32 s11, s11, s19
	v_mad_u64_u32 v[6:7], null, s21, v4, v[0:1]
	v_add_co_u32 v0, s6, s16, v5
	v_add_co_ci_u32_e64 v1, null, s7, 0, s6
	v_lshlrev_b32_e32 v7, 3, v4
	v_mov_b32_e32 v9, v6
	v_cmp_gt_i64_e32 vcc_lo, s[8:9], v[0:1]
	v_mov_b32_e32 v6, v3
	global_store_dwordx2 v7, v[8:9], s[10:11] offset:8
	s_and_b32 exec_lo, exec_lo, vcc_lo
	s_cbranch_execz .LBB254_6
; %bb.4:
	v_mad_u64_u32 v[8:9], null, s2, v2, 0
	v_mad_u64_u32 v[10:11], null, s2, v4, 0
	;; [unrolled: 1-line block ×3, first 2 shown]
	s_load_dwordx2 s[10:11], s[4:5], 0x20
	s_mul_i32 s6, s3, s16
	v_mov_b32_e32 v3, v9
	s_mul_i32 s7, s2, s7
	v_mov_b32_e32 v9, v11
	v_mul_lo_u32 v14, s0, v1
	v_add3_u32 v6, s7, s6, v6
	v_mad_u64_u32 v[11:12], null, s3, v2, v[3:4]
	v_mad_u64_u32 v[12:13], null, s3, v4, v[9:10]
	;; [unrolled: 1-line block ×3, first 2 shown]
	s_clause 0x2
	s_load_dwordx2 s[16:17], s[4:5], 0x30
	s_load_dwordx2 s[6:7], s[4:5], 0x48
	s_load_dword s18, s[4:5], 0x0
	v_mul_lo_u32 v13, s1, v0
	v_mov_b32_e32 v9, v11
	s_load_dwordx2 s[4:5], s[4:5], 0x58
	v_mov_b32_e32 v11, v12
	v_lshlrev_b32_e32 v12, 3, v2
	v_mov_b32_e32 v3, v6
	v_lshlrev_b64 v[8:9], 3, v[8:9]
	v_mul_lo_u32 v15, s3, v5
	v_lshlrev_b64 v[10:11], 3, v[10:11]
	v_mad_u64_u32 v[3:4], null, s13, v4, v[3:4]
	s_waitcnt lgkmcnt(0)
	v_add_co_u32 v6, vcc_lo, s10, v8
	v_add_co_ci_u32_e64 v8, null, s11, v9, vcc_lo
	v_add_co_u32 v9, vcc_lo, s10, v10
	v_add_co_ci_u32_e64 v10, null, s11, v11, vcc_lo
	v_add_co_u32 v11, vcc_lo, v6, v7
	v_mad_u64_u32 v[6:7], null, s0, v0, 0
	v_mul_lo_u32 v3, s2, v3
	v_mad_u64_u32 v[4:5], null, s2, v5, 0
	v_add_co_ci_u32_e64 v8, null, 0, v8, vcc_lo
	v_add_co_u32 v9, vcc_lo, v9, v12
	v_add3_u32 v7, v7, v14, v13
	s_cmp_eq_u32 s18, 0
	v_add_co_ci_u32_e64 v10, null, 0, v10, vcc_lo
	s_cselect_b32 vcc_lo, -1, 0
	v_lshlrev_b64 v[6:7], 3, v[6:7]
	v_cndmask_b32_e32 v11, v11, v9, vcc_lo
	v_add3_u32 v5, v5, v3, v15
	v_cndmask_b32_e32 v10, v8, v10, vcc_lo
	v_add_co_u32 v2, s10, v2, s12
	v_add_co_ci_u32_e64 v3, null, 0, 0, s10
	v_lshlrev_b64 v[8:9], 3, v[4:5]
	v_add_co_u32 v4, vcc_lo, v11, v6
	v_add_co_ci_u32_e64 v5, null, v10, v7, vcc_lo
	v_lshlrev_b64 v[6:7], 3, v[0:1]
	v_add_co_u32 v8, vcc_lo, v8, v12
	v_add_co_ci_u32_e64 v9, null, 0, v9, vcc_lo
	s_lshl_b64 s[10:11], s[0:1], 7
	v_add_co_u32 v6, vcc_lo, s16, v6
	v_add_co_ci_u32_e64 v7, null, s17, v7, vcc_lo
	s_lshl_b64 s[12:13], s[2:3], 7
.LBB254_5:                              ; =>This Inner Loop Header: Depth=1
	global_load_dwordx2 v[10:11], v[6:7], off
	global_load_dwordx2 v[12:13], v[4:5], off
	v_add_co_u32 v14, vcc_lo, s4, v8
	v_add_co_ci_u32_e64 v15, null, s5, v9, vcc_lo
	v_add_co_u32 v16, vcc_lo, s6, v8
	v_add_co_ci_u32_e64 v17, null, s7, v9, vcc_lo
	;; [unrolled: 2-line block ×4, first 2 shown]
	v_add_co_u32 v6, s0, 0x80, v6
	v_add_co_ci_u32_e64 v7, null, 0, v7, s0
	s_waitcnt vmcnt(1)
	v_sub_co_u32 v10, vcc_lo, v10, s14
	v_subrev_co_ci_u32_e64 v11, null, 0, v11, vcc_lo
	v_add_co_u32 v8, vcc_lo, v8, s12
	v_mul_lo_u32 v18, v10, s3
	v_mul_lo_u32 v19, v11, s2
	v_mad_u64_u32 v[10:11], null, v10, s2, v[2:3]
	v_add_co_ci_u32_e64 v9, null, s13, v9, vcc_lo
	v_cmp_le_i64_e32 vcc_lo, s[8:9], v[0:1]
	v_add3_u32 v11, v19, v11, v18
	s_waitcnt vmcnt(0)
	global_store_dwordx2 v[16:17], v[12:13], off
	global_store_dwordx2 v[14:15], v[10:11], off
	s_or_b32 s15, vcc_lo, s15
	s_andn2_b32 exec_lo, exec_lo, s15
	s_cbranch_execnz .LBB254_5
.LBB254_6:
	s_endpgm
	.section	.rodata,"a",@progbits
	.p2align	6, 0x0
	.amdhsa_kernel _ZN9rocsparseL33bsr2csr_block_per_row_8_32_kernelILj1024ELj8EdllEEv20rocsparse_direction_T3_S2_21rocsparse_index_base_PKT1_PKT2_PKS2_S2_S3_PS4_PS7_PS2_
		.amdhsa_group_segment_fixed_size 0
		.amdhsa_private_segment_fixed_size 0
		.amdhsa_kernarg_size 96
		.amdhsa_user_sgpr_count 6
		.amdhsa_user_sgpr_private_segment_buffer 1
		.amdhsa_user_sgpr_dispatch_ptr 0
		.amdhsa_user_sgpr_queue_ptr 0
		.amdhsa_user_sgpr_kernarg_segment_ptr 1
		.amdhsa_user_sgpr_dispatch_id 0
		.amdhsa_user_sgpr_flat_scratch_init 0
		.amdhsa_user_sgpr_private_segment_size 0
		.amdhsa_wavefront_size32 1
		.amdhsa_uses_dynamic_stack 0
		.amdhsa_system_sgpr_private_segment_wavefront_offset 0
		.amdhsa_system_sgpr_workgroup_id_x 1
		.amdhsa_system_sgpr_workgroup_id_y 0
		.amdhsa_system_sgpr_workgroup_id_z 0
		.amdhsa_system_sgpr_workgroup_info 0
		.amdhsa_system_vgpr_workitem_id 0
		.amdhsa_next_free_vgpr 20
		.amdhsa_next_free_sgpr 23
		.amdhsa_reserve_vcc 1
		.amdhsa_reserve_flat_scratch 0
		.amdhsa_float_round_mode_32 0
		.amdhsa_float_round_mode_16_64 0
		.amdhsa_float_denorm_mode_32 3
		.amdhsa_float_denorm_mode_16_64 3
		.amdhsa_dx10_clamp 1
		.amdhsa_ieee_mode 1
		.amdhsa_fp16_overflow 0
		.amdhsa_workgroup_processor_mode 1
		.amdhsa_memory_ordered 1
		.amdhsa_forward_progress 1
		.amdhsa_shared_vgpr_count 0
		.amdhsa_exception_fp_ieee_invalid_op 0
		.amdhsa_exception_fp_denorm_src 0
		.amdhsa_exception_fp_ieee_div_zero 0
		.amdhsa_exception_fp_ieee_overflow 0
		.amdhsa_exception_fp_ieee_underflow 0
		.amdhsa_exception_fp_ieee_inexact 0
		.amdhsa_exception_int_div_zero 0
	.end_amdhsa_kernel
	.section	.text._ZN9rocsparseL33bsr2csr_block_per_row_8_32_kernelILj1024ELj8EdllEEv20rocsparse_direction_T3_S2_21rocsparse_index_base_PKT1_PKT2_PKS2_S2_S3_PS4_PS7_PS2_,"axG",@progbits,_ZN9rocsparseL33bsr2csr_block_per_row_8_32_kernelILj1024ELj8EdllEEv20rocsparse_direction_T3_S2_21rocsparse_index_base_PKT1_PKT2_PKS2_S2_S3_PS4_PS7_PS2_,comdat
.Lfunc_end254:
	.size	_ZN9rocsparseL33bsr2csr_block_per_row_8_32_kernelILj1024ELj8EdllEEv20rocsparse_direction_T3_S2_21rocsparse_index_base_PKT1_PKT2_PKS2_S2_S3_PS4_PS7_PS2_, .Lfunc_end254-_ZN9rocsparseL33bsr2csr_block_per_row_8_32_kernelILj1024ELj8EdllEEv20rocsparse_direction_T3_S2_21rocsparse_index_base_PKT1_PKT2_PKS2_S2_S3_PS4_PS7_PS2_
                                        ; -- End function
	.set _ZN9rocsparseL33bsr2csr_block_per_row_8_32_kernelILj1024ELj8EdllEEv20rocsparse_direction_T3_S2_21rocsparse_index_base_PKT1_PKT2_PKS2_S2_S3_PS4_PS7_PS2_.num_vgpr, 20
	.set _ZN9rocsparseL33bsr2csr_block_per_row_8_32_kernelILj1024ELj8EdllEEv20rocsparse_direction_T3_S2_21rocsparse_index_base_PKT1_PKT2_PKS2_S2_S3_PS4_PS7_PS2_.num_agpr, 0
	.set _ZN9rocsparseL33bsr2csr_block_per_row_8_32_kernelILj1024ELj8EdllEEv20rocsparse_direction_T3_S2_21rocsparse_index_base_PKT1_PKT2_PKS2_S2_S3_PS4_PS7_PS2_.numbered_sgpr, 23
	.set _ZN9rocsparseL33bsr2csr_block_per_row_8_32_kernelILj1024ELj8EdllEEv20rocsparse_direction_T3_S2_21rocsparse_index_base_PKT1_PKT2_PKS2_S2_S3_PS4_PS7_PS2_.num_named_barrier, 0
	.set _ZN9rocsparseL33bsr2csr_block_per_row_8_32_kernelILj1024ELj8EdllEEv20rocsparse_direction_T3_S2_21rocsparse_index_base_PKT1_PKT2_PKS2_S2_S3_PS4_PS7_PS2_.private_seg_size, 0
	.set _ZN9rocsparseL33bsr2csr_block_per_row_8_32_kernelILj1024ELj8EdllEEv20rocsparse_direction_T3_S2_21rocsparse_index_base_PKT1_PKT2_PKS2_S2_S3_PS4_PS7_PS2_.uses_vcc, 1
	.set _ZN9rocsparseL33bsr2csr_block_per_row_8_32_kernelILj1024ELj8EdllEEv20rocsparse_direction_T3_S2_21rocsparse_index_base_PKT1_PKT2_PKS2_S2_S3_PS4_PS7_PS2_.uses_flat_scratch, 0
	.set _ZN9rocsparseL33bsr2csr_block_per_row_8_32_kernelILj1024ELj8EdllEEv20rocsparse_direction_T3_S2_21rocsparse_index_base_PKT1_PKT2_PKS2_S2_S3_PS4_PS7_PS2_.has_dyn_sized_stack, 0
	.set _ZN9rocsparseL33bsr2csr_block_per_row_8_32_kernelILj1024ELj8EdllEEv20rocsparse_direction_T3_S2_21rocsparse_index_base_PKT1_PKT2_PKS2_S2_S3_PS4_PS7_PS2_.has_recursion, 0
	.set _ZN9rocsparseL33bsr2csr_block_per_row_8_32_kernelILj1024ELj8EdllEEv20rocsparse_direction_T3_S2_21rocsparse_index_base_PKT1_PKT2_PKS2_S2_S3_PS4_PS7_PS2_.has_indirect_call, 0
	.section	.AMDGPU.csdata,"",@progbits
; Kernel info:
; codeLenInByte = 980
; TotalNumSgprs: 25
; NumVgprs: 20
; ScratchSize: 0
; MemoryBound: 0
; FloatMode: 240
; IeeeMode: 1
; LDSByteSize: 0 bytes/workgroup (compile time only)
; SGPRBlocks: 0
; VGPRBlocks: 2
; NumSGPRsForWavesPerEU: 25
; NumVGPRsForWavesPerEU: 20
; Occupancy: 16
; WaveLimiterHint : 0
; COMPUTE_PGM_RSRC2:SCRATCH_EN: 0
; COMPUTE_PGM_RSRC2:USER_SGPR: 6
; COMPUTE_PGM_RSRC2:TRAP_HANDLER: 0
; COMPUTE_PGM_RSRC2:TGID_X_EN: 1
; COMPUTE_PGM_RSRC2:TGID_Y_EN: 0
; COMPUTE_PGM_RSRC2:TGID_Z_EN: 0
; COMPUTE_PGM_RSRC2:TIDIG_COMP_CNT: 0
	.section	.text._ZN9rocsparseL33bsr2csr_block_per_row_8_32_kernelILj1024ELj16EdllEEv20rocsparse_direction_T3_S2_21rocsparse_index_base_PKT1_PKT2_PKS2_S2_S3_PS4_PS7_PS2_,"axG",@progbits,_ZN9rocsparseL33bsr2csr_block_per_row_8_32_kernelILj1024ELj16EdllEEv20rocsparse_direction_T3_S2_21rocsparse_index_base_PKT1_PKT2_PKS2_S2_S3_PS4_PS7_PS2_,comdat
	.globl	_ZN9rocsparseL33bsr2csr_block_per_row_8_32_kernelILj1024ELj16EdllEEv20rocsparse_direction_T3_S2_21rocsparse_index_base_PKT1_PKT2_PKS2_S2_S3_PS4_PS7_PS2_ ; -- Begin function _ZN9rocsparseL33bsr2csr_block_per_row_8_32_kernelILj1024ELj16EdllEEv20rocsparse_direction_T3_S2_21rocsparse_index_base_PKT1_PKT2_PKS2_S2_S3_PS4_PS7_PS2_
	.p2align	8
	.type	_ZN9rocsparseL33bsr2csr_block_per_row_8_32_kernelILj1024ELj16EdllEEv20rocsparse_direction_T3_S2_21rocsparse_index_base_PKT1_PKT2_PKS2_S2_S3_PS4_PS7_PS2_,@function
_ZN9rocsparseL33bsr2csr_block_per_row_8_32_kernelILj1024ELj16EdllEEv20rocsparse_direction_T3_S2_21rocsparse_index_base_PKT1_PKT2_PKS2_S2_S3_PS4_PS7_PS2_: ; @_ZN9rocsparseL33bsr2csr_block_per_row_8_32_kernelILj1024ELj16EdllEEv20rocsparse_direction_T3_S2_21rocsparse_index_base_PKT1_PKT2_PKS2_S2_S3_PS4_PS7_PS2_
; %bb.0:
	s_clause 0x2
	s_load_dwordx2 s[0:1], s[4:5], 0x28
	s_load_dword s12, s[4:5], 0x40
	s_load_dwordx2 s[10:11], s[4:5], 0x50
	s_mov_b32 s7, 0
	v_or_b32_e32 v1, s6, v0
	s_lshl_b64 s[2:3], s[6:7], 3
	s_waitcnt lgkmcnt(0)
	s_add_u32 s8, s0, s2
	s_addc_u32 s9, s1, s3
	s_mov_b32 s0, exec_lo
	v_cmpx_eq_u32_e32 0, v1
	s_cbranch_execz .LBB255_2
; %bb.1:
	v_mov_b32_e32 v1, s12
	v_mov_b32_e32 v2, 0
	global_store_dwordx2 v2, v[1:2], s[10:11]
.LBB255_2:
	s_or_b32 exec_lo, exec_lo, s0
	s_load_dwordx2 s[2:3], s[4:5], 0x38
	v_mov_b32_e32 v3, 0
	v_bfe_u32 v4, v0, 4, 4
	v_and_b32_e32 v2, 15, v0
	v_mov_b32_e32 v5, v3
	s_waitcnt lgkmcnt(0)
	v_cmp_gt_i64_e32 vcc_lo, s[2:3], v[4:5]
	v_cmp_gt_i64_e64 s0, s[2:3], v[2:3]
	s_and_b32 s0, vcc_lo, s0
	s_and_saveexec_b32 s1, s0
	s_cbranch_execz .LBB255_6
; %bb.3:
	s_load_dwordx4 s[16:19], s[8:9], 0x0
	s_load_dword s14, s[4:5], 0x18
	s_mul_i32 s1, s2, s3
	s_mul_hi_u32 s0, s2, s2
	v_lshrrev_b32_e32 v5, 8, v0
	s_waitcnt lgkmcnt(0)
	s_sub_u32 s16, s16, s14
	s_subb_u32 s7, s17, 0
	s_sub_u32 s8, s18, s14
	s_subb_u32 s9, s19, 0
	s_add_i32 s13, s0, s1
	s_mul_i32 s0, s2, s2
	s_add_i32 s1, s13, s1
	s_mul_hi_u32 s13, s16, s0
	s_mul_i32 s15, s16, s1
	s_mul_i32 s17, s7, s0
	s_add_i32 s13, s13, s15
	s_mul_i32 s15, s16, s0
	s_add_i32 s19, s13, s17
	s_sub_u32 s17, s8, s16
	s_subb_u32 s13, s9, s7
	s_mul_i32 s18, s17, s3
	s_mul_hi_u32 s20, s17, s2
	s_mul_i32 s21, s13, s2
	s_add_i32 s18, s20, s18
	s_mul_i32 s20, s17, s2
	s_add_i32 s21, s18, s21
	s_add_u32 s18, s20, s12
	s_addc_u32 s22, s21, 0
	s_add_u32 s18, s18, s15
	s_addc_u32 s19, s22, s19
	s_mul_i32 s15, s3, s6
	v_mad_u64_u32 v[8:9], null, s20, v4, s[18:19]
	s_mul_hi_u32 s19, s2, s6
	s_mul_i32 s18, s2, s6
	s_add_i32 s19, s19, s15
	s_mov_b32 s15, 0
	s_lshl_b64 s[18:19], s[18:19], 3
	v_mov_b32_e32 v0, v9
	s_add_u32 s10, s10, s18
	s_addc_u32 s11, s11, s19
	v_mad_u64_u32 v[6:7], null, s21, v4, v[0:1]
	v_add_co_u32 v0, s6, s16, v5
	v_add_co_ci_u32_e64 v1, null, s7, 0, s6
	v_lshlrev_b32_e32 v7, 3, v4
	v_mov_b32_e32 v9, v6
	v_cmp_gt_i64_e32 vcc_lo, s[8:9], v[0:1]
	v_mov_b32_e32 v6, v3
	global_store_dwordx2 v7, v[8:9], s[10:11] offset:8
	s_and_b32 exec_lo, exec_lo, vcc_lo
	s_cbranch_execz .LBB255_6
; %bb.4:
	v_mad_u64_u32 v[8:9], null, s2, v2, 0
	v_mad_u64_u32 v[10:11], null, s2, v4, 0
	;; [unrolled: 1-line block ×3, first 2 shown]
	s_load_dwordx2 s[10:11], s[4:5], 0x20
	s_mul_i32 s6, s3, s16
	v_mov_b32_e32 v3, v9
	s_mul_i32 s7, s2, s7
	v_mov_b32_e32 v9, v11
	v_mul_lo_u32 v14, s0, v1
	v_add3_u32 v6, s7, s6, v6
	v_mad_u64_u32 v[11:12], null, s3, v2, v[3:4]
	v_mad_u64_u32 v[12:13], null, s3, v4, v[9:10]
	v_mad_u64_u32 v[5:6], null, s17, v4, v[5:6]
	s_clause 0x2
	s_load_dwordx2 s[16:17], s[4:5], 0x30
	s_load_dwordx2 s[6:7], s[4:5], 0x48
	s_load_dword s18, s[4:5], 0x0
	v_mul_lo_u32 v13, s1, v0
	v_mov_b32_e32 v9, v11
	s_load_dwordx2 s[4:5], s[4:5], 0x58
	v_mov_b32_e32 v11, v12
	v_lshlrev_b32_e32 v12, 3, v2
	v_mov_b32_e32 v3, v6
	v_lshlrev_b64 v[8:9], 3, v[8:9]
	v_mul_lo_u32 v15, s3, v5
	v_lshlrev_b64 v[10:11], 3, v[10:11]
	v_mad_u64_u32 v[3:4], null, s13, v4, v[3:4]
	s_waitcnt lgkmcnt(0)
	v_add_co_u32 v6, vcc_lo, s10, v8
	v_add_co_ci_u32_e64 v8, null, s11, v9, vcc_lo
	v_add_co_u32 v9, vcc_lo, s10, v10
	v_add_co_ci_u32_e64 v10, null, s11, v11, vcc_lo
	v_add_co_u32 v11, vcc_lo, v6, v7
	v_mad_u64_u32 v[6:7], null, s0, v0, 0
	v_mul_lo_u32 v3, s2, v3
	v_mad_u64_u32 v[4:5], null, s2, v5, 0
	v_add_co_ci_u32_e64 v8, null, 0, v8, vcc_lo
	v_add_co_u32 v9, vcc_lo, v9, v12
	v_add3_u32 v7, v7, v14, v13
	s_cmp_eq_u32 s18, 0
	v_add_co_ci_u32_e64 v10, null, 0, v10, vcc_lo
	s_cselect_b32 vcc_lo, -1, 0
	v_lshlrev_b64 v[6:7], 3, v[6:7]
	v_cndmask_b32_e32 v11, v11, v9, vcc_lo
	v_add3_u32 v5, v5, v3, v15
	v_cndmask_b32_e32 v10, v8, v10, vcc_lo
	v_add_co_u32 v2, s10, v2, s12
	v_add_co_ci_u32_e64 v3, null, 0, 0, s10
	v_lshlrev_b64 v[8:9], 3, v[4:5]
	v_add_co_u32 v4, vcc_lo, v11, v6
	v_add_co_ci_u32_e64 v5, null, v10, v7, vcc_lo
	v_lshlrev_b64 v[6:7], 3, v[0:1]
	v_add_co_u32 v8, vcc_lo, v8, v12
	v_add_co_ci_u32_e64 v9, null, 0, v9, vcc_lo
	s_lshl_b64 s[10:11], s[0:1], 5
	v_add_co_u32 v6, vcc_lo, s16, v6
	v_add_co_ci_u32_e64 v7, null, s17, v7, vcc_lo
	s_lshl_b64 s[12:13], s[2:3], 5
	s_inst_prefetch 0x1
	.p2align	6
.LBB255_5:                              ; =>This Inner Loop Header: Depth=1
	global_load_dwordx2 v[10:11], v[6:7], off
	global_load_dwordx2 v[12:13], v[4:5], off
	v_add_co_u32 v14, vcc_lo, s4, v8
	v_add_co_ci_u32_e64 v15, null, s5, v9, vcc_lo
	v_add_co_u32 v16, vcc_lo, s6, v8
	v_add_co_ci_u32_e64 v17, null, s7, v9, vcc_lo
	;; [unrolled: 2-line block ×4, first 2 shown]
	v_add_co_u32 v6, s0, v6, 32
	v_add_co_ci_u32_e64 v7, null, 0, v7, s0
	s_waitcnt vmcnt(1)
	v_sub_co_u32 v10, vcc_lo, v10, s14
	v_subrev_co_ci_u32_e64 v11, null, 0, v11, vcc_lo
	v_add_co_u32 v8, vcc_lo, v8, s12
	v_mul_lo_u32 v18, v10, s3
	v_mul_lo_u32 v19, v11, s2
	v_mad_u64_u32 v[10:11], null, v10, s2, v[2:3]
	v_add_co_ci_u32_e64 v9, null, s13, v9, vcc_lo
	v_cmp_le_i64_e32 vcc_lo, s[8:9], v[0:1]
	v_add3_u32 v11, v19, v11, v18
	s_waitcnt vmcnt(0)
	global_store_dwordx2 v[16:17], v[12:13], off
	global_store_dwordx2 v[14:15], v[10:11], off
	s_or_b32 s15, vcc_lo, s15
	s_andn2_b32 exec_lo, exec_lo, s15
	s_cbranch_execnz .LBB255_5
.LBB255_6:
	s_inst_prefetch 0x2
	s_endpgm
	.section	.rodata,"a",@progbits
	.p2align	6, 0x0
	.amdhsa_kernel _ZN9rocsparseL33bsr2csr_block_per_row_8_32_kernelILj1024ELj16EdllEEv20rocsparse_direction_T3_S2_21rocsparse_index_base_PKT1_PKT2_PKS2_S2_S3_PS4_PS7_PS2_
		.amdhsa_group_segment_fixed_size 0
		.amdhsa_private_segment_fixed_size 0
		.amdhsa_kernarg_size 96
		.amdhsa_user_sgpr_count 6
		.amdhsa_user_sgpr_private_segment_buffer 1
		.amdhsa_user_sgpr_dispatch_ptr 0
		.amdhsa_user_sgpr_queue_ptr 0
		.amdhsa_user_sgpr_kernarg_segment_ptr 1
		.amdhsa_user_sgpr_dispatch_id 0
		.amdhsa_user_sgpr_flat_scratch_init 0
		.amdhsa_user_sgpr_private_segment_size 0
		.amdhsa_wavefront_size32 1
		.amdhsa_uses_dynamic_stack 0
		.amdhsa_system_sgpr_private_segment_wavefront_offset 0
		.amdhsa_system_sgpr_workgroup_id_x 1
		.amdhsa_system_sgpr_workgroup_id_y 0
		.amdhsa_system_sgpr_workgroup_id_z 0
		.amdhsa_system_sgpr_workgroup_info 0
		.amdhsa_system_vgpr_workitem_id 0
		.amdhsa_next_free_vgpr 20
		.amdhsa_next_free_sgpr 23
		.amdhsa_reserve_vcc 1
		.amdhsa_reserve_flat_scratch 0
		.amdhsa_float_round_mode_32 0
		.amdhsa_float_round_mode_16_64 0
		.amdhsa_float_denorm_mode_32 3
		.amdhsa_float_denorm_mode_16_64 3
		.amdhsa_dx10_clamp 1
		.amdhsa_ieee_mode 1
		.amdhsa_fp16_overflow 0
		.amdhsa_workgroup_processor_mode 1
		.amdhsa_memory_ordered 1
		.amdhsa_forward_progress 1
		.amdhsa_shared_vgpr_count 0
		.amdhsa_exception_fp_ieee_invalid_op 0
		.amdhsa_exception_fp_denorm_src 0
		.amdhsa_exception_fp_ieee_div_zero 0
		.amdhsa_exception_fp_ieee_overflow 0
		.amdhsa_exception_fp_ieee_underflow 0
		.amdhsa_exception_fp_ieee_inexact 0
		.amdhsa_exception_int_div_zero 0
	.end_amdhsa_kernel
	.section	.text._ZN9rocsparseL33bsr2csr_block_per_row_8_32_kernelILj1024ELj16EdllEEv20rocsparse_direction_T3_S2_21rocsparse_index_base_PKT1_PKT2_PKS2_S2_S3_PS4_PS7_PS2_,"axG",@progbits,_ZN9rocsparseL33bsr2csr_block_per_row_8_32_kernelILj1024ELj16EdllEEv20rocsparse_direction_T3_S2_21rocsparse_index_base_PKT1_PKT2_PKS2_S2_S3_PS4_PS7_PS2_,comdat
.Lfunc_end255:
	.size	_ZN9rocsparseL33bsr2csr_block_per_row_8_32_kernelILj1024ELj16EdllEEv20rocsparse_direction_T3_S2_21rocsparse_index_base_PKT1_PKT2_PKS2_S2_S3_PS4_PS7_PS2_, .Lfunc_end255-_ZN9rocsparseL33bsr2csr_block_per_row_8_32_kernelILj1024ELj16EdllEEv20rocsparse_direction_T3_S2_21rocsparse_index_base_PKT1_PKT2_PKS2_S2_S3_PS4_PS7_PS2_
                                        ; -- End function
	.set _ZN9rocsparseL33bsr2csr_block_per_row_8_32_kernelILj1024ELj16EdllEEv20rocsparse_direction_T3_S2_21rocsparse_index_base_PKT1_PKT2_PKS2_S2_S3_PS4_PS7_PS2_.num_vgpr, 20
	.set _ZN9rocsparseL33bsr2csr_block_per_row_8_32_kernelILj1024ELj16EdllEEv20rocsparse_direction_T3_S2_21rocsparse_index_base_PKT1_PKT2_PKS2_S2_S3_PS4_PS7_PS2_.num_agpr, 0
	.set _ZN9rocsparseL33bsr2csr_block_per_row_8_32_kernelILj1024ELj16EdllEEv20rocsparse_direction_T3_S2_21rocsparse_index_base_PKT1_PKT2_PKS2_S2_S3_PS4_PS7_PS2_.numbered_sgpr, 23
	.set _ZN9rocsparseL33bsr2csr_block_per_row_8_32_kernelILj1024ELj16EdllEEv20rocsparse_direction_T3_S2_21rocsparse_index_base_PKT1_PKT2_PKS2_S2_S3_PS4_PS7_PS2_.num_named_barrier, 0
	.set _ZN9rocsparseL33bsr2csr_block_per_row_8_32_kernelILj1024ELj16EdllEEv20rocsparse_direction_T3_S2_21rocsparse_index_base_PKT1_PKT2_PKS2_S2_S3_PS4_PS7_PS2_.private_seg_size, 0
	.set _ZN9rocsparseL33bsr2csr_block_per_row_8_32_kernelILj1024ELj16EdllEEv20rocsparse_direction_T3_S2_21rocsparse_index_base_PKT1_PKT2_PKS2_S2_S3_PS4_PS7_PS2_.uses_vcc, 1
	.set _ZN9rocsparseL33bsr2csr_block_per_row_8_32_kernelILj1024ELj16EdllEEv20rocsparse_direction_T3_S2_21rocsparse_index_base_PKT1_PKT2_PKS2_S2_S3_PS4_PS7_PS2_.uses_flat_scratch, 0
	.set _ZN9rocsparseL33bsr2csr_block_per_row_8_32_kernelILj1024ELj16EdllEEv20rocsparse_direction_T3_S2_21rocsparse_index_base_PKT1_PKT2_PKS2_S2_S3_PS4_PS7_PS2_.has_dyn_sized_stack, 0
	.set _ZN9rocsparseL33bsr2csr_block_per_row_8_32_kernelILj1024ELj16EdllEEv20rocsparse_direction_T3_S2_21rocsparse_index_base_PKT1_PKT2_PKS2_S2_S3_PS4_PS7_PS2_.has_recursion, 0
	.set _ZN9rocsparseL33bsr2csr_block_per_row_8_32_kernelILj1024ELj16EdllEEv20rocsparse_direction_T3_S2_21rocsparse_index_base_PKT1_PKT2_PKS2_S2_S3_PS4_PS7_PS2_.has_indirect_call, 0
	.section	.AMDGPU.csdata,"",@progbits
; Kernel info:
; codeLenInByte = 1040
; TotalNumSgprs: 25
; NumVgprs: 20
; ScratchSize: 0
; MemoryBound: 0
; FloatMode: 240
; IeeeMode: 1
; LDSByteSize: 0 bytes/workgroup (compile time only)
; SGPRBlocks: 0
; VGPRBlocks: 2
; NumSGPRsForWavesPerEU: 25
; NumVGPRsForWavesPerEU: 20
; Occupancy: 16
; WaveLimiterHint : 0
; COMPUTE_PGM_RSRC2:SCRATCH_EN: 0
; COMPUTE_PGM_RSRC2:USER_SGPR: 6
; COMPUTE_PGM_RSRC2:TRAP_HANDLER: 0
; COMPUTE_PGM_RSRC2:TGID_X_EN: 1
; COMPUTE_PGM_RSRC2:TGID_Y_EN: 0
; COMPUTE_PGM_RSRC2:TGID_Z_EN: 0
; COMPUTE_PGM_RSRC2:TIDIG_COMP_CNT: 0
	.section	.text._ZN9rocsparseL33bsr2csr_block_per_row_8_32_kernelILj1024ELj32EdllEEv20rocsparse_direction_T3_S2_21rocsparse_index_base_PKT1_PKT2_PKS2_S2_S3_PS4_PS7_PS2_,"axG",@progbits,_ZN9rocsparseL33bsr2csr_block_per_row_8_32_kernelILj1024ELj32EdllEEv20rocsparse_direction_T3_S2_21rocsparse_index_base_PKT1_PKT2_PKS2_S2_S3_PS4_PS7_PS2_,comdat
	.globl	_ZN9rocsparseL33bsr2csr_block_per_row_8_32_kernelILj1024ELj32EdllEEv20rocsparse_direction_T3_S2_21rocsparse_index_base_PKT1_PKT2_PKS2_S2_S3_PS4_PS7_PS2_ ; -- Begin function _ZN9rocsparseL33bsr2csr_block_per_row_8_32_kernelILj1024ELj32EdllEEv20rocsparse_direction_T3_S2_21rocsparse_index_base_PKT1_PKT2_PKS2_S2_S3_PS4_PS7_PS2_
	.p2align	8
	.type	_ZN9rocsparseL33bsr2csr_block_per_row_8_32_kernelILj1024ELj32EdllEEv20rocsparse_direction_T3_S2_21rocsparse_index_base_PKT1_PKT2_PKS2_S2_S3_PS4_PS7_PS2_,@function
_ZN9rocsparseL33bsr2csr_block_per_row_8_32_kernelILj1024ELj32EdllEEv20rocsparse_direction_T3_S2_21rocsparse_index_base_PKT1_PKT2_PKS2_S2_S3_PS4_PS7_PS2_: ; @_ZN9rocsparseL33bsr2csr_block_per_row_8_32_kernelILj1024ELj32EdllEEv20rocsparse_direction_T3_S2_21rocsparse_index_base_PKT1_PKT2_PKS2_S2_S3_PS4_PS7_PS2_
; %bb.0:
	s_clause 0x2
	s_load_dwordx2 s[0:1], s[4:5], 0x28
	s_load_dword s22, s[4:5], 0x40
	s_load_dwordx2 s[20:21], s[4:5], 0x50
	s_mov_b32 s7, 0
	v_or_b32_e32 v1, s6, v0
	s_lshl_b64 s[2:3], s[6:7], 3
	s_waitcnt lgkmcnt(0)
	s_add_u32 s2, s0, s2
	s_addc_u32 s3, s1, s3
	s_mov_b32 s0, exec_lo
	v_cmpx_eq_u32_e32 0, v1
	s_cbranch_execz .LBB256_2
; %bb.1:
	v_mov_b32_e32 v1, s22
	v_mov_b32_e32 v2, 0
	global_store_dwordx2 v2, v[1:2], s[20:21]
.LBB256_2:
	s_or_b32 exec_lo, exec_lo, s0
	s_load_dwordx2 s[8:9], s[4:5], 0x38
	v_mov_b32_e32 v1, 0
	v_lshrrev_b32_e32 v2, 5, v0
	v_and_b32_e32 v0, 31, v0
	v_mov_b32_e32 v3, v1
	s_waitcnt lgkmcnt(0)
	v_cmp_gt_i64_e32 vcc_lo, s[8:9], v[2:3]
	v_cmp_gt_i64_e64 s0, s[8:9], v[0:1]
	s_and_b32 s0, vcc_lo, s0
	s_and_saveexec_b32 s1, s0
	s_cbranch_execz .LBB256_6
; %bb.3:
	s_load_dwordx4 s[0:3], s[2:3], 0x0
	s_load_dword s10, s[4:5], 0x18
	s_mul_i32 s7, s8, s9
	s_mul_hi_u32 s11, s8, s8
	s_mul_i32 s16, s8, s8
	s_waitcnt lgkmcnt(0)
	s_sub_u32 s12, s0, s10
	s_subb_u32 s13, s1, 0
	s_sub_u32 s14, s2, s10
	s_subb_u32 s15, s3, 0
	s_add_i32 s11, s11, s7
	s_mul_i32 s19, s13, s16
	s_add_i32 s17, s11, s7
	s_mul_hi_u32 s7, s12, s16
	s_mul_i32 s11, s12, s17
	s_mul_i32 s18, s12, s16
	s_add_i32 s7, s7, s11
	s_add_i32 s19, s7, s19
	s_sub_u32 s23, s14, s12
	s_subb_u32 s7, s15, s13
	s_mul_i32 s11, s23, s9
	s_mul_hi_u32 s24, s23, s8
	s_mul_i32 s25, s7, s8
	s_add_i32 s11, s24, s11
	s_mul_i32 s26, s23, s8
	s_add_i32 s11, s11, s25
	s_add_u32 s24, s26, s22
	s_addc_u32 s25, s11, 0
	s_add_u32 s24, s24, s18
	s_addc_u32 s25, s25, s19
	v_mad_u64_u32 v[3:4], null, s26, v2, s[24:25]
	s_mul_hi_u32 s25, s8, s6
	s_mul_i32 s24, s8, s6
	v_mov_b32_e32 v1, v4
	v_mad_u64_u32 v[4:5], null, s11, v2, v[1:2]
	s_mul_i32 s11, s9, s6
	v_cmp_ge_i64_e64 s6, s[0:1], s[2:3]
	s_add_i32 s25, s25, s11
	v_lshlrev_b32_e32 v1, 3, v2
	s_lshl_b64 s[2:3], s[24:25], 3
	s_mov_b32 s11, 0
	s_add_u32 s2, s20, s2
	s_addc_u32 s3, s21, s3
	s_and_b32 vcc_lo, exec_lo, s6
	global_store_dwordx2 v1, v[3:4], s[2:3] offset:8
	s_cbranch_vccnz .LBB256_6
; %bb.4:
	v_mad_u64_u32 v[3:4], null, s8, v0, 0
	v_mad_u64_u32 v[5:6], null, s8, v2, 0
	s_clause 0x3
	s_load_dwordx2 s[20:21], s[4:5], 0x30
	s_load_dwordx2 s[2:3], s[4:5], 0x48
	s_load_dword s6, s[4:5], 0x0
	s_load_dwordx2 s[24:25], s[4:5], 0x20
	s_mul_i32 s26, s8, s13
	s_mul_hi_u32 s27, s8, s12
	s_load_dwordx2 s[4:5], s[4:5], 0x58
	v_mad_u64_u32 v[7:8], null, s9, v0, v[4:5]
	v_mad_u64_u32 v[8:9], null, s9, v2, v[6:7]
	v_mov_b32_e32 v4, v7
	v_lshlrev_b32_e32 v7, 3, v0
	s_waitcnt lgkmcnt(0)
	s_cmp_eq_u32 s6, 0
	v_lshlrev_b64 v[3:4], 3, v[3:4]
	v_mov_b32_e32 v6, v8
	v_add_co_u32 v3, vcc_lo, s24, v3
	v_lshlrev_b64 v[5:6], 3, v[5:6]
	v_add_co_ci_u32_e64 v4, null, s25, v4, vcc_lo
	v_add_co_u32 v5, vcc_lo, s24, v5
	v_add_co_ci_u32_e64 v6, null, s25, v6, vcc_lo
	v_add_co_u32 v8, vcc_lo, v3, v1
	;; [unrolled: 2-line block ×3, first 2 shown]
	v_add_co_ci_u32_e64 v6, null, 0, v6, vcc_lo
	s_cselect_b32 vcc_lo, -1, 0
	s_add_i32 s6, s27, s26
	s_mul_i32 s24, s9, s12
	v_cndmask_b32_e32 v8, v8, v5, vcc_lo
	s_add_i32 s25, s6, s24
	s_mul_i32 s24, s8, s12
	v_cndmask_b32_e32 v6, v9, v6, vcc_lo
	v_mad_u64_u32 v[3:4], null, v2, s23, s[24:25]
	s_lshl_b64 s[18:19], s[18:19], 3
	v_add_co_u32 v0, s6, v0, s22
	s_lshl_b64 s[0:1], s[0:1], 3
	s_lshl_b64 s[22:23], s[10:11], 3
	v_mov_b32_e32 v1, v4
	v_mul_lo_u32 v4, s9, v3
	v_mad_u64_u32 v[1:2], null, v2, s7, v[1:2]
	v_mad_u64_u32 v[2:3], null, s8, v3, 0
	v_mul_lo_u32 v10, s8, v1
	v_add_co_ci_u32_e64 v1, null, 0, 0, s6
	s_lshl_b64 s[6:7], s[16:17], 3
	s_lshl_b64 s[16:17], s[8:9], 3
	s_sub_u32 s0, s0, s22
	s_subb_u32 s1, s1, s23
	s_add_u32 s0, s20, s0
	v_add3_u32 v3, v3, v10, v4
	s_addc_u32 s1, s21, s1
	v_lshlrev_b64 v[4:5], 3, v[2:3]
	v_add_co_u32 v2, vcc_lo, v8, s18
	v_add_co_ci_u32_e64 v3, null, s19, v6, vcc_lo
	v_add_co_u32 v4, vcc_lo, v4, v7
	v_add_co_ci_u32_e64 v5, null, 0, v5, vcc_lo
	s_inst_prefetch 0x1
	.p2align	6
.LBB256_5:                              ; =>This Inner Loop Header: Depth=1
	global_load_dwordx2 v[6:7], v[2:3], off
	s_load_dwordx2 s[18:19], s[0:1], 0x0
	v_add_co_u32 v8, vcc_lo, s4, v4
	v_add_co_ci_u32_e64 v9, null, s5, v5, vcc_lo
	v_add_co_u32 v10, vcc_lo, s2, v4
	v_add_co_ci_u32_e64 v11, null, s3, v5, vcc_lo
	;; [unrolled: 2-line block ×4, first 2 shown]
	s_waitcnt lgkmcnt(0)
	s_sub_u32 s11, s18, s10
	s_subb_u32 s18, s19, 0
	v_mad_u64_u32 v[12:13], null, s11, s8, v[0:1]
	s_add_u32 s12, s12, 1
	s_addc_u32 s13, s13, 0
	s_mul_i32 s11, s11, s9
	v_cmp_lt_i64_e64 s19, s[12:13], s[14:15]
	s_mul_i32 s18, s18, s8
	s_add_u32 s0, s0, 8
	v_add3_u32 v13, s11, s18, v13
	s_addc_u32 s1, s1, 0
	global_store_dwordx2 v[8:9], v[12:13], off
	s_waitcnt vmcnt(0)
	global_store_dwordx2 v[10:11], v[6:7], off
	s_and_b32 vcc_lo, exec_lo, s19
	s_cbranch_vccnz .LBB256_5
.LBB256_6:
	s_inst_prefetch 0x2
	s_endpgm
	.section	.rodata,"a",@progbits
	.p2align	6, 0x0
	.amdhsa_kernel _ZN9rocsparseL33bsr2csr_block_per_row_8_32_kernelILj1024ELj32EdllEEv20rocsparse_direction_T3_S2_21rocsparse_index_base_PKT1_PKT2_PKS2_S2_S3_PS4_PS7_PS2_
		.amdhsa_group_segment_fixed_size 0
		.amdhsa_private_segment_fixed_size 0
		.amdhsa_kernarg_size 96
		.amdhsa_user_sgpr_count 6
		.amdhsa_user_sgpr_private_segment_buffer 1
		.amdhsa_user_sgpr_dispatch_ptr 0
		.amdhsa_user_sgpr_queue_ptr 0
		.amdhsa_user_sgpr_kernarg_segment_ptr 1
		.amdhsa_user_sgpr_dispatch_id 0
		.amdhsa_user_sgpr_flat_scratch_init 0
		.amdhsa_user_sgpr_private_segment_size 0
		.amdhsa_wavefront_size32 1
		.amdhsa_uses_dynamic_stack 0
		.amdhsa_system_sgpr_private_segment_wavefront_offset 0
		.amdhsa_system_sgpr_workgroup_id_x 1
		.amdhsa_system_sgpr_workgroup_id_y 0
		.amdhsa_system_sgpr_workgroup_id_z 0
		.amdhsa_system_sgpr_workgroup_info 0
		.amdhsa_system_vgpr_workitem_id 0
		.amdhsa_next_free_vgpr 14
		.amdhsa_next_free_sgpr 28
		.amdhsa_reserve_vcc 1
		.amdhsa_reserve_flat_scratch 0
		.amdhsa_float_round_mode_32 0
		.amdhsa_float_round_mode_16_64 0
		.amdhsa_float_denorm_mode_32 3
		.amdhsa_float_denorm_mode_16_64 3
		.amdhsa_dx10_clamp 1
		.amdhsa_ieee_mode 1
		.amdhsa_fp16_overflow 0
		.amdhsa_workgroup_processor_mode 1
		.amdhsa_memory_ordered 1
		.amdhsa_forward_progress 1
		.amdhsa_shared_vgpr_count 0
		.amdhsa_exception_fp_ieee_invalid_op 0
		.amdhsa_exception_fp_denorm_src 0
		.amdhsa_exception_fp_ieee_div_zero 0
		.amdhsa_exception_fp_ieee_overflow 0
		.amdhsa_exception_fp_ieee_underflow 0
		.amdhsa_exception_fp_ieee_inexact 0
		.amdhsa_exception_int_div_zero 0
	.end_amdhsa_kernel
	.section	.text._ZN9rocsparseL33bsr2csr_block_per_row_8_32_kernelILj1024ELj32EdllEEv20rocsparse_direction_T3_S2_21rocsparse_index_base_PKT1_PKT2_PKS2_S2_S3_PS4_PS7_PS2_,"axG",@progbits,_ZN9rocsparseL33bsr2csr_block_per_row_8_32_kernelILj1024ELj32EdllEEv20rocsparse_direction_T3_S2_21rocsparse_index_base_PKT1_PKT2_PKS2_S2_S3_PS4_PS7_PS2_,comdat
.Lfunc_end256:
	.size	_ZN9rocsparseL33bsr2csr_block_per_row_8_32_kernelILj1024ELj32EdllEEv20rocsparse_direction_T3_S2_21rocsparse_index_base_PKT1_PKT2_PKS2_S2_S3_PS4_PS7_PS2_, .Lfunc_end256-_ZN9rocsparseL33bsr2csr_block_per_row_8_32_kernelILj1024ELj32EdllEEv20rocsparse_direction_T3_S2_21rocsparse_index_base_PKT1_PKT2_PKS2_S2_S3_PS4_PS7_PS2_
                                        ; -- End function
	.set _ZN9rocsparseL33bsr2csr_block_per_row_8_32_kernelILj1024ELj32EdllEEv20rocsparse_direction_T3_S2_21rocsparse_index_base_PKT1_PKT2_PKS2_S2_S3_PS4_PS7_PS2_.num_vgpr, 14
	.set _ZN9rocsparseL33bsr2csr_block_per_row_8_32_kernelILj1024ELj32EdllEEv20rocsparse_direction_T3_S2_21rocsparse_index_base_PKT1_PKT2_PKS2_S2_S3_PS4_PS7_PS2_.num_agpr, 0
	.set _ZN9rocsparseL33bsr2csr_block_per_row_8_32_kernelILj1024ELj32EdllEEv20rocsparse_direction_T3_S2_21rocsparse_index_base_PKT1_PKT2_PKS2_S2_S3_PS4_PS7_PS2_.numbered_sgpr, 28
	.set _ZN9rocsparseL33bsr2csr_block_per_row_8_32_kernelILj1024ELj32EdllEEv20rocsparse_direction_T3_S2_21rocsparse_index_base_PKT1_PKT2_PKS2_S2_S3_PS4_PS7_PS2_.num_named_barrier, 0
	.set _ZN9rocsparseL33bsr2csr_block_per_row_8_32_kernelILj1024ELj32EdllEEv20rocsparse_direction_T3_S2_21rocsparse_index_base_PKT1_PKT2_PKS2_S2_S3_PS4_PS7_PS2_.private_seg_size, 0
	.set _ZN9rocsparseL33bsr2csr_block_per_row_8_32_kernelILj1024ELj32EdllEEv20rocsparse_direction_T3_S2_21rocsparse_index_base_PKT1_PKT2_PKS2_S2_S3_PS4_PS7_PS2_.uses_vcc, 1
	.set _ZN9rocsparseL33bsr2csr_block_per_row_8_32_kernelILj1024ELj32EdllEEv20rocsparse_direction_T3_S2_21rocsparse_index_base_PKT1_PKT2_PKS2_S2_S3_PS4_PS7_PS2_.uses_flat_scratch, 0
	.set _ZN9rocsparseL33bsr2csr_block_per_row_8_32_kernelILj1024ELj32EdllEEv20rocsparse_direction_T3_S2_21rocsparse_index_base_PKT1_PKT2_PKS2_S2_S3_PS4_PS7_PS2_.has_dyn_sized_stack, 0
	.set _ZN9rocsparseL33bsr2csr_block_per_row_8_32_kernelILj1024ELj32EdllEEv20rocsparse_direction_T3_S2_21rocsparse_index_base_PKT1_PKT2_PKS2_S2_S3_PS4_PS7_PS2_.has_recursion, 0
	.set _ZN9rocsparseL33bsr2csr_block_per_row_8_32_kernelILj1024ELj32EdllEEv20rocsparse_direction_T3_S2_21rocsparse_index_base_PKT1_PKT2_PKS2_S2_S3_PS4_PS7_PS2_.has_indirect_call, 0
	.section	.AMDGPU.csdata,"",@progbits
; Kernel info:
; codeLenInByte = 880
; TotalNumSgprs: 30
; NumVgprs: 14
; ScratchSize: 0
; MemoryBound: 0
; FloatMode: 240
; IeeeMode: 1
; LDSByteSize: 0 bytes/workgroup (compile time only)
; SGPRBlocks: 0
; VGPRBlocks: 1
; NumSGPRsForWavesPerEU: 30
; NumVGPRsForWavesPerEU: 14
; Occupancy: 16
; WaveLimiterHint : 0
; COMPUTE_PGM_RSRC2:SCRATCH_EN: 0
; COMPUTE_PGM_RSRC2:USER_SGPR: 6
; COMPUTE_PGM_RSRC2:TRAP_HANDLER: 0
; COMPUTE_PGM_RSRC2:TGID_X_EN: 1
; COMPUTE_PGM_RSRC2:TGID_Y_EN: 0
; COMPUTE_PGM_RSRC2:TGID_Z_EN: 0
; COMPUTE_PGM_RSRC2:TIDIG_COMP_CNT: 0
	.section	.text._ZN9rocsparseL35bsr2csr_block_per_row_33_256_kernelILj1024ELj64ELj32EdllEEv20rocsparse_direction_T4_S2_21rocsparse_index_base_PKT2_PKT3_PKS2_S2_S3_PS4_PS7_PS2_,"axG",@progbits,_ZN9rocsparseL35bsr2csr_block_per_row_33_256_kernelILj1024ELj64ELj32EdllEEv20rocsparse_direction_T4_S2_21rocsparse_index_base_PKT2_PKT3_PKS2_S2_S3_PS4_PS7_PS2_,comdat
	.globl	_ZN9rocsparseL35bsr2csr_block_per_row_33_256_kernelILj1024ELj64ELj32EdllEEv20rocsparse_direction_T4_S2_21rocsparse_index_base_PKT2_PKT3_PKS2_S2_S3_PS4_PS7_PS2_ ; -- Begin function _ZN9rocsparseL35bsr2csr_block_per_row_33_256_kernelILj1024ELj64ELj32EdllEEv20rocsparse_direction_T4_S2_21rocsparse_index_base_PKT2_PKT3_PKS2_S2_S3_PS4_PS7_PS2_
	.p2align	8
	.type	_ZN9rocsparseL35bsr2csr_block_per_row_33_256_kernelILj1024ELj64ELj32EdllEEv20rocsparse_direction_T4_S2_21rocsparse_index_base_PKT2_PKT3_PKS2_S2_S3_PS4_PS7_PS2_,@function
_ZN9rocsparseL35bsr2csr_block_per_row_33_256_kernelILj1024ELj64ELj32EdllEEv20rocsparse_direction_T4_S2_21rocsparse_index_base_PKT2_PKT3_PKS2_S2_S3_PS4_PS7_PS2_: ; @_ZN9rocsparseL35bsr2csr_block_per_row_33_256_kernelILj1024ELj64ELj32EdllEEv20rocsparse_direction_T4_S2_21rocsparse_index_base_PKT2_PKT3_PKS2_S2_S3_PS4_PS7_PS2_
; %bb.0:
	s_load_dwordx2 s[0:1], s[4:5], 0x28
	s_mov_b32 s13, 0
	s_clause 0x1
	s_load_dword s14, s[4:5], 0x40
	s_load_dwordx2 s[2:3], s[4:5], 0x50
	s_mov_b32 s7, s13
	v_or_b32_e32 v1, s6, v0
	s_lshl_b64 s[8:9], s[6:7], 3
	s_waitcnt lgkmcnt(0)
	s_add_u32 s0, s0, s8
	s_addc_u32 s1, s1, s9
	s_load_dwordx4 s[8:11], s[0:1], 0x0
	s_mov_b32 s0, exec_lo
	v_cmpx_eq_u32_e32 0, v1
	s_cbranch_execz .LBB257_2
; %bb.1:
	s_mov_b32 s15, s13
	v_mov_b32_e32 v1, s14
	v_mov_b32_e32 v3, 0
	;; [unrolled: 1-line block ×3, first 2 shown]
	global_store_dwordx2 v3, v[1:2], s[2:3]
.LBB257_2:
	s_or_b32 exec_lo, exec_lo, s0
	s_clause 0x1
	s_load_dword s12, s[4:5], 0x18
	s_load_dwordx2 s[16:17], s[4:5], 0x38
	v_mov_b32_e32 v10, 0
	v_lshrrev_b32_e32 v9, 5, v0
	v_lshlrev_b32_e32 v11, 3, v9
	s_waitcnt lgkmcnt(0)
	s_sub_u32 s18, s8, s12
	s_subb_u32 s19, s9, 0
	s_mul_hi_u32 s0, s16, s18
	s_mul_i32 s20, s16, s19
	s_mul_i32 s1, s17, s6
	s_mul_hi_u32 s25, s16, s6
	s_mul_i32 s24, s16, s6
	s_sub_u32 s6, s10, s12
	s_mul_i32 s15, s17, s18
	s_mul_i32 s22, s16, s18
	s_subb_u32 s7, s11, 0
	s_add_i32 s0, s0, s20
	s_mul_i32 s21, s22, s17
	s_mul_hi_u32 s20, s22, s16
	s_add_i32 s23, s0, s15
	s_add_i32 s0, s20, s21
	s_mul_i32 s15, s23, s16
	s_mul_i32 s20, s22, s16
	s_add_i32 s21, s0, s15
	s_sub_u32 s34, s6, s18
	s_subb_u32 s33, s7, s19
	s_mul_i32 s0, s34, s17
	s_mul_hi_u32 s15, s34, s16
	s_mul_i32 s26, s33, s16
	s_add_i32 s0, s15, s0
	s_mul_i32 s15, s34, s16
	s_add_i32 s0, s0, s26
	s_add_u32 s20, s20, s14
	s_addc_u32 s21, s21, 0
	s_add_u32 s20, s20, s15
	s_addc_u32 s21, s21, s0
	s_add_i32 s25, s25, s1
	v_cmp_gt_i64_e64 s1, s[16:17], v[9:10]
	s_lshl_b64 s[24:25], s[24:25], 3
	s_add_u32 s24, s2, s24
	s_addc_u32 s25, s3, s25
	s_and_saveexec_b32 s2, s1
	s_cbranch_execz .LBB257_4
; %bb.3:
	v_mad_u64_u32 v[1:2], null, v9, s15, s[20:21]
	v_mad_u64_u32 v[2:3], null, v9, s0, v[2:3]
	global_store_dwordx2 v11, v[1:2], s[24:25] offset:8
.LBB257_4:
	s_or_b32 exec_lo, exec_lo, s2
	v_or_b32_e32 v1, 32, v9
	v_mov_b32_e32 v2, v10
	v_cmp_gt_i64_e64 s2, s[16:17], v[1:2]
	s_and_saveexec_b32 s3, s2
	s_cbranch_execz .LBB257_6
; %bb.5:
	v_mad_u64_u32 v[2:3], null, v1, s15, s[20:21]
	v_mad_u64_u32 v[3:4], null, v1, s0, v[3:4]
	global_store_dwordx2 v11, v[2:3], s[24:25] offset:264
.LBB257_6:
	s_or_b32 exec_lo, exec_lo, s3
	v_cmp_lt_i64_e64 s0, s[8:9], s[10:11]
	s_and_b32 vcc_lo, exec_lo, s0
	s_cbranch_vccz .LBB257_17
; %bb.7:
	s_clause 0x4
	s_load_dwordx2 s[28:29], s[4:5], 0x30
	s_load_dwordx2 s[24:25], s[4:5], 0x48
	s_load_dword s0, s[4:5], 0x0
	s_load_dwordx2 s[20:21], s[4:5], 0x20
	s_load_dwordx2 s[26:27], s[4:5], 0x58
	v_and_b32_e32 v0, 31, v0
	v_mov_b32_e32 v1, 0
	s_mul_i32 s5, s16, s17
	s_mul_hi_u32 s31, s16, s16
	v_mad_u64_u32 v[14:15], null, v9, s34, s[22:23]
	v_or_b32_e32 v2, 32, v0
	v_mov_b32_e32 v3, v1
	v_cmp_gt_i64_e32 vcc_lo, s[16:17], v[0:1]
	v_mov_b32_e32 v12, v1
	v_lshlrev_b32_e32 v13, 3, v0
	s_mul_i32 s4, s16, s16
	v_cmp_gt_i64_e64 s3, s[16:17], v[2:3]
	v_mul_lo_u32 v25, s17, v14
	s_waitcnt lgkmcnt(0)
	s_cmp_eq_u32 s0, 0
	s_cselect_b32 s0, -1, 0
	s_lshl_b64 s[36:37], s[22:23], 3
	s_add_i32 s35, s31, s5
	v_add_co_u32 v1, s30, s36, v11
	v_add_co_ci_u32_e64 v5, null, s37, 0, s30
	s_and_b32 s15, s1, vcc_lo
	s_and_b32 s30, s1, s3
	v_add_co_u32 v3, s1, 0x100, v1
	s_add_i32 s5, s35, s5
	v_add_co_ci_u32_e64 v4, null, 0, v5, s1
	s_and_b32 s1, s2, vcc_lo
	s_and_b32 s31, s2, s3
	s_lshl_b64 s[2:3], s[4:5], 3
	v_add_co_u32 v19, s4, s36, v13
	v_add_co_ci_u32_e64 v10, null, s37, 0, s4
	v_mul_lo_u32 v20, s16, v5
	v_mul_lo_u32 v21, s17, v1
	v_mad_u64_u32 v[5:6], null, s16, v1, s[20:21]
	v_mov_b32_e32 v1, v15
	v_add_co_u32 v7, vcc_lo, 0x100, v19
	s_lshl_b64 s[4:5], s[8:9], 3
	s_lshl_b64 s[22:23], s[12:13], 3
	v_add_co_ci_u32_e64 v8, null, 0, v10, vcc_lo
	v_mul_lo_u32 v24, s16, v10
	v_mad_u64_u32 v[9:10], null, v9, s33, v[1:2]
	s_sub_u32 s4, s4, s22
	s_subb_u32 s5, s5, s23
	s_add_u32 s4, s28, s4
	s_addc_u32 s5, s29, s5
	s_lshl_b64 s[10:11], s[10:11], 5
	s_lshl_b64 s[8:9], s[8:9], 5
	v_add_co_u32 v10, vcc_lo, v14, s10
	v_mul_lo_u32 v26, s16, v9
	v_add_co_ci_u32_e64 v9, null, s11, v9, vcc_lo
	v_mad_u64_u32 v[15:16], null, s16, v14, 0
	v_sub_co_u32 v14, vcc_lo, v10, s8
	v_subrev_co_ci_u32_e64 v27, null, s9, v9, vcc_lo
	v_mul_lo_u32 v22, s16, v8
	v_mul_lo_u32 v23, s17, v7
	v_mad_u64_u32 v[7:8], null, s16, v7, v[11:12]
	v_mul_lo_u32 v1, s17, v19
	v_mad_u64_u32 v[9:10], null, s16, v19, v[11:12]
	v_add3_u32 v16, v16, v26, v25
	v_mul_lo_u32 v19, s17, v14
	v_mul_lo_u32 v25, s16, v27
	v_mad_u64_u32 v[11:12], null, s16, v14, 0
	v_mul_lo_u32 v17, s16, v4
	v_mul_lo_u32 v18, s17, v3
	v_mad_u64_u32 v[3:4], null, s16, v3, s[20:21]
	v_lshlrev_b64 v[14:15], 3, v[15:16]
	v_add3_u32 v10, v1, v10, v24
	v_add3_u32 v12, v12, v25, v19
	;; [unrolled: 1-line block ×4, first 2 shown]
	s_lshl_b64 s[8:9], s[16:17], 3
	v_add3_u32 v4, v18, v4, v17
	v_add_co_u32 v17, vcc_lo, 0x100, v14
	v_add_co_ci_u32_e64 v18, null, 0, v15, vcc_lo
	v_lshlrev_b64 v[15:16], 3, v[11:12]
	v_add_co_u32 v1, vcc_lo, s26, v17
	v_add_co_ci_u32_e64 v11, null, s27, v18, vcc_lo
	v_add_co_u32 v12, vcc_lo, s24, v15
	v_add_co_ci_u32_e64 v14, null, s25, v16, vcc_lo
	v_add_co_u32 v15, vcc_lo, s26, v15
	v_add_co_ci_u32_e64 v16, null, s27, v16, vcc_lo
	v_add_co_u32 v17, vcc_lo, s24, v17
	v_add_co_ci_u32_e64 v18, null, s25, v18, vcc_lo
	s_branch .LBB257_9
.LBB257_8:                              ;   in Loop: Header=BB257_9 Depth=1
	s_or_b32 exec_lo, exec_lo, s13
	v_add_co_u32 v3, vcc_lo, v3, s2
	v_add_co_ci_u32_e64 v4, null, s3, v4, vcc_lo
	v_add_co_u32 v5, vcc_lo, v5, s2
	v_add_co_ci_u32_e64 v6, null, s3, v6, vcc_lo
	v_add_co_u32 v1, vcc_lo, v1, s8
	s_add_u32 s18, s18, 1
	v_add_co_ci_u32_e64 v11, null, s9, v11, vcc_lo
	v_add_co_u32 v12, vcc_lo, v12, s8
	s_addc_u32 s19, s19, 0
	v_add_co_ci_u32_e64 v14, null, s9, v14, vcc_lo
	v_add_co_u32 v15, vcc_lo, v15, s8
	v_cmp_ge_i64_e64 s10, s[18:19], s[6:7]
	v_add_co_ci_u32_e64 v16, null, s9, v16, vcc_lo
	v_add_co_u32 v17, vcc_lo, v17, s8
	s_add_u32 s20, s20, s2
	v_add_co_ci_u32_e64 v18, null, s9, v18, vcc_lo
	s_addc_u32 s21, s21, s3
	s_add_u32 s4, s4, 8
	s_addc_u32 s5, s5, 0
	s_and_b32 vcc_lo, exec_lo, s10
	s_cbranch_vccnz .LBB257_17
.LBB257_9:                              ; =>This Inner Loop Header: Depth=1
	s_load_dwordx2 s[10:11], s[4:5], 0x0
	s_waitcnt lgkmcnt(0)
	s_sub_u32 s10, s10, s12
	s_subb_u32 s11, s11, 0
	s_mul_i32 s13, s10, s17
	s_mul_hi_u32 s22, s10, s16
	s_mul_i32 s11, s11, s16
	s_add_i32 s13, s22, s13
	s_mul_i32 s10, s10, s16
	s_add_i32 s13, s13, s11
	s_add_u32 s10, s10, s14
	s_addc_u32 s11, s13, 0
	s_and_saveexec_b32 s13, s15
	s_cbranch_execnz .LBB257_13
; %bb.10:                               ;   in Loop: Header=BB257_9 Depth=1
	s_or_b32 exec_lo, exec_lo, s13
	s_and_saveexec_b32 s13, s30
	s_cbranch_execnz .LBB257_14
.LBB257_11:                             ;   in Loop: Header=BB257_9 Depth=1
	s_or_b32 exec_lo, exec_lo, s13
	s_and_saveexec_b32 s13, s1
	s_cbranch_execnz .LBB257_15
.LBB257_12:                             ;   in Loop: Header=BB257_9 Depth=1
	s_or_b32 exec_lo, exec_lo, s13
	s_and_saveexec_b32 s13, s31
	s_cbranch_execz .LBB257_8
	s_branch .LBB257_16
.LBB257_13:                             ;   in Loop: Header=BB257_9 Depth=1
	v_add_co_u32 v19, vcc_lo, v5, v13
	v_add_co_ci_u32_e64 v20, null, 0, v6, vcc_lo
	v_add_co_u32 v21, vcc_lo, s20, v9
	v_add_co_ci_u32_e64 v22, null, s21, v10, vcc_lo
	v_add_co_u32 v23, vcc_lo, v1, v13
	v_cndmask_b32_e64 v19, v21, v19, s0
	v_cndmask_b32_e64 v20, v22, v20, s0
	v_add_co_u32 v21, s22, s10, v0
	v_add_co_ci_u32_e64 v24, null, 0, v11, vcc_lo
	global_load_dwordx2 v[19:20], v[19:20], off
	v_add_co_u32 v25, vcc_lo, v17, v13
	v_add_co_ci_u32_e64 v22, null, s11, 0, s22
	v_add_co_ci_u32_e64 v26, null, 0, v18, vcc_lo
	global_store_dwordx2 v[23:24], v[21:22], off offset:-256
	s_waitcnt vmcnt(0)
	global_store_dwordx2 v[25:26], v[19:20], off offset:-256
	s_or_b32 exec_lo, exec_lo, s13
	s_and_saveexec_b32 s13, s30
	s_cbranch_execz .LBB257_11
.LBB257_14:                             ;   in Loop: Header=BB257_9 Depth=1
	v_add_co_u32 v19, vcc_lo, v5, v13
	v_add_co_ci_u32_e64 v20, null, 0, v6, vcc_lo
	v_add_co_u32 v19, vcc_lo, 0x100, v19
	v_add_co_ci_u32_e64 v20, null, 0, v20, vcc_lo
	;; [unrolled: 2-line block ×3, first 2 shown]
	v_add_co_u32 v23, vcc_lo, v1, v13
	v_cndmask_b32_e64 v19, v21, v19, s0
	v_cndmask_b32_e64 v20, v22, v20, s0
	v_add_co_u32 v21, s22, s10, v2
	v_add_co_ci_u32_e64 v24, null, 0, v11, vcc_lo
	global_load_dwordx2 v[19:20], v[19:20], off
	v_add_co_u32 v25, vcc_lo, v17, v13
	v_add_co_ci_u32_e64 v22, null, s11, 0, s22
	v_add_co_ci_u32_e64 v26, null, 0, v18, vcc_lo
	global_store_dwordx2 v[23:24], v[21:22], off
	s_waitcnt vmcnt(0)
	global_store_dwordx2 v[25:26], v[19:20], off
	s_or_b32 exec_lo, exec_lo, s13
	s_and_saveexec_b32 s13, s1
	s_cbranch_execz .LBB257_12
.LBB257_15:                             ;   in Loop: Header=BB257_9 Depth=1
	v_add_co_u32 v19, vcc_lo, s20, v9
	v_add_co_ci_u32_e64 v20, null, s21, v10, vcc_lo
	v_add_co_u32 v21, vcc_lo, v3, v13
	v_add_co_ci_u32_e64 v22, null, 0, v4, vcc_lo
	;; [unrolled: 2-line block ×3, first 2 shown]
	v_add_co_u32 v23, vcc_lo, v15, v13
	v_cndmask_b32_e64 v19, v19, v21, s0
	v_cndmask_b32_e64 v20, v20, v22, s0
	v_add_co_u32 v21, s22, s10, v0
	v_add_co_ci_u32_e64 v24, null, 0, v16, vcc_lo
	global_load_dwordx2 v[19:20], v[19:20], off
	v_add_co_u32 v25, vcc_lo, v12, v13
	v_add_co_ci_u32_e64 v22, null, s11, 0, s22
	v_add_co_ci_u32_e64 v26, null, 0, v14, vcc_lo
	global_store_dwordx2 v[23:24], v[21:22], off
	s_waitcnt vmcnt(0)
	global_store_dwordx2 v[25:26], v[19:20], off
	s_or_b32 exec_lo, exec_lo, s13
	s_and_saveexec_b32 s13, s31
	s_cbranch_execz .LBB257_8
.LBB257_16:                             ;   in Loop: Header=BB257_9 Depth=1
	v_add_co_u32 v19, vcc_lo, v3, v13
	v_add_co_ci_u32_e64 v20, null, 0, v4, vcc_lo
	v_add_co_u32 v21, vcc_lo, s20, v7
	v_add_co_ci_u32_e64 v22, null, s21, v8, vcc_lo
	v_add_co_u32 v23, vcc_lo, v15, v13
	v_cndmask_b32_e64 v19, v21, v19, s0
	v_cndmask_b32_e64 v20, v22, v20, s0
	v_add_co_u32 v21, s10, s10, v2
	v_add_co_ci_u32_e64 v24, null, 0, v16, vcc_lo
	global_load_dwordx2 v[19:20], v[19:20], off offset:256
	v_add_co_u32 v25, vcc_lo, v12, v13
	v_add_co_ci_u32_e64 v22, null, s11, 0, s10
	v_add_co_ci_u32_e64 v26, null, 0, v14, vcc_lo
	global_store_dwordx2 v[23:24], v[21:22], off offset:256
	s_waitcnt vmcnt(0)
	global_store_dwordx2 v[25:26], v[19:20], off offset:256
	s_branch .LBB257_8
.LBB257_17:
	s_endpgm
	.section	.rodata,"a",@progbits
	.p2align	6, 0x0
	.amdhsa_kernel _ZN9rocsparseL35bsr2csr_block_per_row_33_256_kernelILj1024ELj64ELj32EdllEEv20rocsparse_direction_T4_S2_21rocsparse_index_base_PKT2_PKT3_PKS2_S2_S3_PS4_PS7_PS2_
		.amdhsa_group_segment_fixed_size 0
		.amdhsa_private_segment_fixed_size 0
		.amdhsa_kernarg_size 96
		.amdhsa_user_sgpr_count 6
		.amdhsa_user_sgpr_private_segment_buffer 1
		.amdhsa_user_sgpr_dispatch_ptr 0
		.amdhsa_user_sgpr_queue_ptr 0
		.amdhsa_user_sgpr_kernarg_segment_ptr 1
		.amdhsa_user_sgpr_dispatch_id 0
		.amdhsa_user_sgpr_flat_scratch_init 0
		.amdhsa_user_sgpr_private_segment_size 0
		.amdhsa_wavefront_size32 1
		.amdhsa_uses_dynamic_stack 0
		.amdhsa_system_sgpr_private_segment_wavefront_offset 0
		.amdhsa_system_sgpr_workgroup_id_x 1
		.amdhsa_system_sgpr_workgroup_id_y 0
		.amdhsa_system_sgpr_workgroup_id_z 0
		.amdhsa_system_sgpr_workgroup_info 0
		.amdhsa_system_vgpr_workitem_id 0
		.amdhsa_next_free_vgpr 28
		.amdhsa_next_free_sgpr 38
		.amdhsa_reserve_vcc 1
		.amdhsa_reserve_flat_scratch 0
		.amdhsa_float_round_mode_32 0
		.amdhsa_float_round_mode_16_64 0
		.amdhsa_float_denorm_mode_32 3
		.amdhsa_float_denorm_mode_16_64 3
		.amdhsa_dx10_clamp 1
		.amdhsa_ieee_mode 1
		.amdhsa_fp16_overflow 0
		.amdhsa_workgroup_processor_mode 1
		.amdhsa_memory_ordered 1
		.amdhsa_forward_progress 1
		.amdhsa_shared_vgpr_count 0
		.amdhsa_exception_fp_ieee_invalid_op 0
		.amdhsa_exception_fp_denorm_src 0
		.amdhsa_exception_fp_ieee_div_zero 0
		.amdhsa_exception_fp_ieee_overflow 0
		.amdhsa_exception_fp_ieee_underflow 0
		.amdhsa_exception_fp_ieee_inexact 0
		.amdhsa_exception_int_div_zero 0
	.end_amdhsa_kernel
	.section	.text._ZN9rocsparseL35bsr2csr_block_per_row_33_256_kernelILj1024ELj64ELj32EdllEEv20rocsparse_direction_T4_S2_21rocsparse_index_base_PKT2_PKT3_PKS2_S2_S3_PS4_PS7_PS2_,"axG",@progbits,_ZN9rocsparseL35bsr2csr_block_per_row_33_256_kernelILj1024ELj64ELj32EdllEEv20rocsparse_direction_T4_S2_21rocsparse_index_base_PKT2_PKT3_PKS2_S2_S3_PS4_PS7_PS2_,comdat
.Lfunc_end257:
	.size	_ZN9rocsparseL35bsr2csr_block_per_row_33_256_kernelILj1024ELj64ELj32EdllEEv20rocsparse_direction_T4_S2_21rocsparse_index_base_PKT2_PKT3_PKS2_S2_S3_PS4_PS7_PS2_, .Lfunc_end257-_ZN9rocsparseL35bsr2csr_block_per_row_33_256_kernelILj1024ELj64ELj32EdllEEv20rocsparse_direction_T4_S2_21rocsparse_index_base_PKT2_PKT3_PKS2_S2_S3_PS4_PS7_PS2_
                                        ; -- End function
	.set _ZN9rocsparseL35bsr2csr_block_per_row_33_256_kernelILj1024ELj64ELj32EdllEEv20rocsparse_direction_T4_S2_21rocsparse_index_base_PKT2_PKT3_PKS2_S2_S3_PS4_PS7_PS2_.num_vgpr, 28
	.set _ZN9rocsparseL35bsr2csr_block_per_row_33_256_kernelILj1024ELj64ELj32EdllEEv20rocsparse_direction_T4_S2_21rocsparse_index_base_PKT2_PKT3_PKS2_S2_S3_PS4_PS7_PS2_.num_agpr, 0
	.set _ZN9rocsparseL35bsr2csr_block_per_row_33_256_kernelILj1024ELj64ELj32EdllEEv20rocsparse_direction_T4_S2_21rocsparse_index_base_PKT2_PKT3_PKS2_S2_S3_PS4_PS7_PS2_.numbered_sgpr, 38
	.set _ZN9rocsparseL35bsr2csr_block_per_row_33_256_kernelILj1024ELj64ELj32EdllEEv20rocsparse_direction_T4_S2_21rocsparse_index_base_PKT2_PKT3_PKS2_S2_S3_PS4_PS7_PS2_.num_named_barrier, 0
	.set _ZN9rocsparseL35bsr2csr_block_per_row_33_256_kernelILj1024ELj64ELj32EdllEEv20rocsparse_direction_T4_S2_21rocsparse_index_base_PKT2_PKT3_PKS2_S2_S3_PS4_PS7_PS2_.private_seg_size, 0
	.set _ZN9rocsparseL35bsr2csr_block_per_row_33_256_kernelILj1024ELj64ELj32EdllEEv20rocsparse_direction_T4_S2_21rocsparse_index_base_PKT2_PKT3_PKS2_S2_S3_PS4_PS7_PS2_.uses_vcc, 1
	.set _ZN9rocsparseL35bsr2csr_block_per_row_33_256_kernelILj1024ELj64ELj32EdllEEv20rocsparse_direction_T4_S2_21rocsparse_index_base_PKT2_PKT3_PKS2_S2_S3_PS4_PS7_PS2_.uses_flat_scratch, 0
	.set _ZN9rocsparseL35bsr2csr_block_per_row_33_256_kernelILj1024ELj64ELj32EdllEEv20rocsparse_direction_T4_S2_21rocsparse_index_base_PKT2_PKT3_PKS2_S2_S3_PS4_PS7_PS2_.has_dyn_sized_stack, 0
	.set _ZN9rocsparseL35bsr2csr_block_per_row_33_256_kernelILj1024ELj64ELj32EdllEEv20rocsparse_direction_T4_S2_21rocsparse_index_base_PKT2_PKT3_PKS2_S2_S3_PS4_PS7_PS2_.has_recursion, 0
	.set _ZN9rocsparseL35bsr2csr_block_per_row_33_256_kernelILj1024ELj64ELj32EdllEEv20rocsparse_direction_T4_S2_21rocsparse_index_base_PKT2_PKT3_PKS2_S2_S3_PS4_PS7_PS2_.has_indirect_call, 0
	.section	.AMDGPU.csdata,"",@progbits
; Kernel info:
; codeLenInByte = 1804
; TotalNumSgprs: 40
; NumVgprs: 28
; ScratchSize: 0
; MemoryBound: 0
; FloatMode: 240
; IeeeMode: 1
; LDSByteSize: 0 bytes/workgroup (compile time only)
; SGPRBlocks: 0
; VGPRBlocks: 3
; NumSGPRsForWavesPerEU: 40
; NumVGPRsForWavesPerEU: 28
; Occupancy: 16
; WaveLimiterHint : 1
; COMPUTE_PGM_RSRC2:SCRATCH_EN: 0
; COMPUTE_PGM_RSRC2:USER_SGPR: 6
; COMPUTE_PGM_RSRC2:TRAP_HANDLER: 0
; COMPUTE_PGM_RSRC2:TGID_X_EN: 1
; COMPUTE_PGM_RSRC2:TGID_Y_EN: 0
; COMPUTE_PGM_RSRC2:TGID_Z_EN: 0
; COMPUTE_PGM_RSRC2:TIDIG_COMP_CNT: 0
	.section	.text._ZN9rocsparseL35bsr2csr_block_per_row_33_256_kernelILj1024ELj128ELj32EdllEEv20rocsparse_direction_T4_S2_21rocsparse_index_base_PKT2_PKT3_PKS2_S2_S3_PS4_PS7_PS2_,"axG",@progbits,_ZN9rocsparseL35bsr2csr_block_per_row_33_256_kernelILj1024ELj128ELj32EdllEEv20rocsparse_direction_T4_S2_21rocsparse_index_base_PKT2_PKT3_PKS2_S2_S3_PS4_PS7_PS2_,comdat
	.globl	_ZN9rocsparseL35bsr2csr_block_per_row_33_256_kernelILj1024ELj128ELj32EdllEEv20rocsparse_direction_T4_S2_21rocsparse_index_base_PKT2_PKT3_PKS2_S2_S3_PS4_PS7_PS2_ ; -- Begin function _ZN9rocsparseL35bsr2csr_block_per_row_33_256_kernelILj1024ELj128ELj32EdllEEv20rocsparse_direction_T4_S2_21rocsparse_index_base_PKT2_PKT3_PKS2_S2_S3_PS4_PS7_PS2_
	.p2align	8
	.type	_ZN9rocsparseL35bsr2csr_block_per_row_33_256_kernelILj1024ELj128ELj32EdllEEv20rocsparse_direction_T4_S2_21rocsparse_index_base_PKT2_PKT3_PKS2_S2_S3_PS4_PS7_PS2_,@function
_ZN9rocsparseL35bsr2csr_block_per_row_33_256_kernelILj1024ELj128ELj32EdllEEv20rocsparse_direction_T4_S2_21rocsparse_index_base_PKT2_PKT3_PKS2_S2_S3_PS4_PS7_PS2_: ; @_ZN9rocsparseL35bsr2csr_block_per_row_33_256_kernelILj1024ELj128ELj32EdllEEv20rocsparse_direction_T4_S2_21rocsparse_index_base_PKT2_PKT3_PKS2_S2_S3_PS4_PS7_PS2_
; %bb.0:
	s_load_dwordx2 s[0:1], s[4:5], 0x28
	s_mov_b32 s11, 0
	s_clause 0x1
	s_load_dword s16, s[4:5], 0x40
	s_load_dwordx2 s[2:3], s[4:5], 0x50
	s_mov_b32 s7, s11
	v_or_b32_e32 v1, s6, v0
	s_lshl_b64 s[8:9], s[6:7], 3
	s_waitcnt lgkmcnt(0)
	s_add_u32 s0, s0, s8
	s_addc_u32 s1, s1, s9
	s_load_dwordx4 s[12:15], s[0:1], 0x0
	s_mov_b32 s0, exec_lo
	v_cmpx_eq_u32_e32 0, v1
	s_cbranch_execz .LBB258_2
; %bb.1:
	s_mov_b32 s17, s11
	v_mov_b32_e32 v1, s16
	v_mov_b32_e32 v3, 0
	;; [unrolled: 1-line block ×3, first 2 shown]
	global_store_dwordx2 v3, v[1:2], s[2:3]
.LBB258_2:
	s_or_b32 exec_lo, exec_lo, s0
	s_clause 0x1
	s_load_dword s10, s[4:5], 0x18
	s_load_dwordx2 s[18:19], s[4:5], 0x38
	v_mov_b32_e32 v22, 0
	v_lshrrev_b32_e32 v21, 5, v0
	v_lshlrev_b32_e32 v23, 3, v21
	s_waitcnt lgkmcnt(0)
	s_sub_u32 s20, s12, s10
	s_subb_u32 s21, s13, 0
	s_mul_hi_u32 s0, s18, s20
	s_mul_i32 s7, s18, s21
	s_sub_u32 s22, s14, s10
	s_mul_i32 s1, s19, s6
	s_mul_hi_u32 s17, s18, s6
	s_mul_i32 s24, s18, s6
	s_mul_i32 s6, s19, s20
	;; [unrolled: 1-line block ×3, first 2 shown]
	s_subb_u32 s23, s15, 0
	s_add_i32 s0, s0, s7
	s_mul_i32 s8, s28, s19
	s_mul_hi_u32 s7, s28, s18
	s_add_i32 s29, s0, s6
	s_add_i32 s0, s7, s8
	s_mul_i32 s6, s29, s18
	s_mul_i32 s8, s28, s18
	s_add_i32 s6, s0, s6
	s_sub_u32 s48, s22, s20
	s_subb_u32 s47, s23, s21
	s_mul_i32 s0, s48, s19
	s_mul_hi_u32 s7, s48, s18
	s_mul_i32 s9, s47, s18
	s_add_i32 s0, s7, s0
	s_mul_i32 s7, s48, s18
	s_add_i32 s0, s0, s9
	s_add_u32 s8, s8, s16
	s_addc_u32 s6, s6, 0
	s_add_u32 s8, s8, s7
	s_addc_u32 s9, s6, s0
	s_add_i32 s25, s17, s1
	v_cmp_gt_i64_e64 s1, s[18:19], v[21:22]
	s_lshl_b64 s[24:25], s[24:25], 3
	s_add_u32 s24, s2, s24
	s_addc_u32 s25, s3, s25
	s_and_saveexec_b32 s2, s1
	s_cbranch_execz .LBB258_4
; %bb.3:
	v_mad_u64_u32 v[1:2], null, v21, s7, s[8:9]
	v_mad_u64_u32 v[2:3], null, v21, s0, v[2:3]
	global_store_dwordx2 v23, v[1:2], s[24:25] offset:8
.LBB258_4:
	s_or_b32 exec_lo, exec_lo, s2
	v_or_b32_e32 v1, 32, v21
	v_mov_b32_e32 v2, v22
	v_cmp_gt_i64_e64 s2, s[18:19], v[1:2]
	s_and_saveexec_b32 s3, s2
	s_cbranch_execz .LBB258_6
; %bb.5:
	v_mad_u64_u32 v[2:3], null, v1, s7, s[8:9]
	v_mad_u64_u32 v[3:4], null, v1, s0, v[3:4]
	global_store_dwordx2 v23, v[2:3], s[24:25] offset:264
.LBB258_6:
	s_or_b32 exec_lo, exec_lo, s3
	v_or_b32_e32 v1, 64, v21
	v_mov_b32_e32 v2, v22
	v_cmp_gt_i64_e64 s3, s[18:19], v[1:2]
	;; [unrolled: 11-line block ×3, first 2 shown]
	s_and_saveexec_b32 s17, s6
	s_cbranch_execz .LBB258_10
; %bb.9:
	v_mad_u64_u32 v[2:3], null, v1, s7, s[8:9]
	v_mad_u64_u32 v[3:4], null, v1, s0, v[3:4]
	global_store_dwordx2 v23, v[2:3], s[24:25] offset:776
.LBB258_10:
	s_or_b32 exec_lo, exec_lo, s17
	v_cmp_lt_i64_e64 s0, s[12:13], s[14:15]
	s_and_b32 vcc_lo, exec_lo, s0
	s_cbranch_vccz .LBB258_45
; %bb.11:
	s_clause 0x2
	s_load_dwordx2 s[34:35], s[4:5], 0x30
	s_load_dwordx2 s[26:27], s[4:5], 0x48
	s_load_dword s0, s[4:5], 0x0
	v_and_b32_e32 v0, 31, v0
	v_mov_b32_e32 v1, 0
	s_clause 0x1
	s_load_dwordx2 s[24:25], s[4:5], 0x20
	s_load_dwordx2 s[30:31], s[4:5], 0x58
	v_or_b32_e32 v2, 32, v0
	v_mov_b32_e32 v3, v1
	v_or_b32_e32 v4, 64, v0
	v_mov_b32_e32 v5, v1
	;; [unrolled: 2-line block ×3, first 2 shown]
	v_cmp_gt_i64_e32 vcc_lo, s[18:19], v[0:1]
	v_cmp_gt_i64_e64 s7, s[18:19], v[2:3]
	v_cmp_gt_i64_e64 s8, s[18:19], v[4:5]
	v_mov_b32_e32 v24, v1
	v_cmp_gt_i64_e64 s9, s[18:19], v[6:7]
	s_waitcnt lgkmcnt(0)
	s_cmp_eq_u32 s0, 0
	s_cselect_b32 s0, -1, 0
	s_lshl_b64 s[4:5], s[28:29], 3
	s_and_b32 s17, s1, vcc_lo
	s_and_b32 s33, s1, s7
	s_and_b32 s36, s1, s8
	;; [unrolled: 1-line block ×3, first 2 shown]
	v_add_co_u32 v5, s1, s4, v23
	v_add_co_ci_u32_e64 v13, null, s5, 0, s1
	s_and_b32 s38, s2, vcc_lo
	v_add_co_u32 v3, s1, 0x300, v5
	v_add_co_ci_u32_e64 v7, null, 0, v13, s1
	s_and_b32 s42, s3, vcc_lo
	v_mul_lo_u32 v10, s19, v3
	s_and_b32 s1, s6, vcc_lo
	v_mul_lo_u32 v9, s18, v7
	v_mad_u64_u32 v[7:8], null, s18, v3, s[24:25]
	v_lshlrev_b32_e32 v3, 3, v0
	v_add_co_u32 v1, vcc_lo, 0x200, v5
	v_mul_lo_u32 v20, s18, v13
	v_mul_lo_u32 v25, s19, v5
	v_add_co_u32 v22, s4, s4, v3
	v_add3_u32 v8, v10, v8, v9
	v_add_co_ci_u32_e64 v9, null, 0, v13, vcc_lo
	v_add_co_u32 v11, vcc_lo, 0x100, v5
	v_add_co_ci_u32_e64 v27, null, s5, 0, s4
	v_add_co_ci_u32_e64 v12, null, 0, v13, vcc_lo
	v_mad_u64_u32 v[13:14], null, s18, v5, s[24:25]
	v_mul_lo_u32 v5, s18, v27
	v_mul_lo_u32 v26, s19, v22
	v_mad_u64_u32 v[15:16], null, s18, v22, v[23:24]
	v_mul_lo_u32 v17, s18, v9
	v_mul_lo_u32 v18, s19, v1
	;; [unrolled: 3-line block ×3, first 2 shown]
	v_mad_u64_u32 v[11:12], null, s18, v11, s[24:25]
	v_add_co_u32 v28, vcc_lo, 0x100, v22
	v_add3_u32 v14, v25, v14, v20
	v_add3_u32 v16, v26, v16, v5
	v_mad_u64_u32 v[25:26], null, v21, s48, s[28:29]
	v_add_co_ci_u32_e64 v29, null, 0, v27, vcc_lo
	v_add3_u32 v12, v19, v12, v1
	v_add_co_u32 v1, vcc_lo, 0x200, v22
	v_add_co_ci_u32_e64 v19, null, 0, v27, vcc_lo
	v_add_co_u32 v22, vcc_lo, 0x300, v22
	v_mul_lo_u32 v31, s19, v1
	v_mul_lo_u32 v30, s18, v19
	v_mad_u64_u32 v[19:20], null, s18, v1, v[23:24]
	v_mov_b32_e32 v1, v26
	v_add3_u32 v10, v18, v10, v17
	v_mul_lo_u32 v5, s18, v29
	v_mul_lo_u32 v29, s19, v28
	v_mad_u64_u32 v[17:18], null, s18, v28, v[23:24]
	v_add_co_ci_u32_e64 v26, null, 0, v27, vcc_lo
	v_mad_u64_u32 v[27:28], null, v21, s47, v[1:2]
	s_and_b32 s39, s2, s7
	s_and_b32 s40, s2, s8
	s_and_b32 s41, s2, s9
	s_and_b32 s43, s3, s7
	s_and_b32 s44, s3, s8
	s_and_b32 s45, s3, s9
	s_mul_i32 s2, s18, s19
	s_mul_hi_u32 s3, s18, s18
	s_and_b32 s46, s6, s7
	s_add_i32 s3, s3, s2
	s_and_b32 s8, s6, s8
	s_add_i32 s3, s3, s2
	s_mul_i32 s2, s18, s18
	s_and_b32 s9, s6, s9
	s_lshl_b64 s[4:5], s[12:13], 3
	s_lshl_b64 s[6:7], s[10:11], 3
	;; [unrolled: 1-line block ×3, first 2 shown]
	v_add3_u32 v18, v29, v18, v5
	v_add3_u32 v20, v31, v20, v30
	v_mul_lo_u32 v1, s18, v26
	v_mul_lo_u32 v30, s19, v25
	;; [unrolled: 1-line block ×3, first 2 shown]
	v_mad_u64_u32 v[28:29], null, s18, v25, 0
	v_mov_b32_e32 v26, v27
	s_sub_u32 s4, s4, s6
	s_subb_u32 s5, s5, s7
	s_add_u32 s4, s34, s4
	s_addc_u32 s5, s35, s5
	s_lshl_b64 s[6:7], s[14:15], 5
	v_mul_lo_u32 v5, s19, v22
	v_mad_u64_u32 v[21:22], null, s18, v22, v[23:24]
	v_mad_u64_u32 v[23:24], null, 0x60, s14, v[25:26]
	v_add_co_u32 v26, vcc_lo, v25, s6
	v_add3_u32 v29, v29, v31, v30
	v_add_co_ci_u32_e64 v30, null, s7, v27, vcc_lo
	s_lshl_b64 s[6:7], s[12:13], 5
	v_add3_u32 v22, v5, v22, v1
	v_sub_co_u32 v26, vcc_lo, v26, s6
	v_subrev_co_ci_u32_e64 v30, null, s7, v30, vcc_lo
	v_mov_b32_e32 v1, v24
	s_mul_i32 s6, s13, 0x60
	s_mul_hi_u32 s7, s12, 0x60
	v_mul_lo_u32 v33, s18, v30
	v_lshlrev_b64 v[28:29], 3, v[28:29]
	v_mad_u64_u32 v[30:31], null, 0x60, s15, v[1:2]
	v_mul_lo_u32 v24, s19, v26
	v_mad_u64_u32 v[31:32], null, s18, v26, 0
	s_add_i32 s7, s7, s6
	s_mul_i32 s6, s12, 0x60
	v_sub_co_u32 v23, vcc_lo, v23, s6
	v_subrev_co_ci_u32_e64 v26, null, s7, v30, vcc_lo
	v_add_co_u32 v1, vcc_lo, s30, v28
	s_lshl_b64 s[6:7], s[14:15], 6
	v_add_co_ci_u32_e64 v5, null, s31, v29, vcc_lo
	v_add3_u32 v32, v32, v33, v24
	v_mul_lo_u32 v30, s19, v23
	v_mad_u64_u32 v[33:34], null, s18, v23, 0
	v_add_co_u32 v23, vcc_lo, v25, s6
	v_add_co_ci_u32_e64 v24, null, s7, v27, vcc_lo
	s_lshl_b64 s[6:7], s[12:13], 6
	v_mul_lo_u32 v26, s18, v26
	v_sub_co_u32 v25, vcc_lo, v23, s6
	v_subrev_co_ci_u32_e64 v35, null, s7, v24, vcc_lo
	v_add_co_u32 v23, vcc_lo, s26, v28
	v_add_co_ci_u32_e64 v24, null, s27, v29, vcc_lo
	v_lshlrev_b64 v[27:28], 3, v[31:32]
	v_add3_u32 v34, v34, v26, v30
	v_mul_lo_u32 v29, s19, v25
	v_mul_lo_u32 v30, s18, v35
	v_mad_u64_u32 v[31:32], null, s18, v25, 0
	v_lshlrev_b64 v[33:34], 3, v[33:34]
	v_add_co_u32 v25, vcc_lo, s26, v27
	v_add_co_ci_u32_e64 v26, null, s27, v28, vcc_lo
	v_add_co_u32 v27, vcc_lo, s30, v27
	v_add3_u32 v32, v32, v30, v29
	v_add_co_ci_u32_e64 v28, null, s31, v28, vcc_lo
	v_add_co_u32 v29, vcc_lo, s30, v33
	v_lshlrev_b64 v[35:36], 3, v[31:32]
	v_add_co_ci_u32_e64 v30, null, s31, v34, vcc_lo
	v_add_co_u32 v31, vcc_lo, s26, v33
	v_add_co_ci_u32_e64 v32, null, s27, v34, vcc_lo
	v_add_co_u32 v33, vcc_lo, s26, v35
	;; [unrolled: 2-line block ×3, first 2 shown]
	v_add_co_ci_u32_e64 v36, null, s31, v36, vcc_lo
	s_lshl_b64 s[6:7], s[18:19], 3
	s_branch .LBB258_13
.LBB258_12:                             ;   in Loop: Header=BB258_13 Depth=1
	s_or_b32 exec_lo, exec_lo, s13
	v_add_co_u32 v7, vcc_lo, v7, s2
	v_add_co_ci_u32_e64 v8, null, s3, v8, vcc_lo
	v_add_co_u32 v9, vcc_lo, v9, s2
	v_add_co_ci_u32_e64 v10, null, s3, v10, vcc_lo
	v_add_co_u32 v11, vcc_lo, v11, s2
	v_add_co_ci_u32_e64 v12, null, s3, v12, vcc_lo
	v_add_co_u32 v13, vcc_lo, v13, s2
	v_add_co_ci_u32_e64 v14, null, s3, v14, vcc_lo
	v_add_co_u32 v1, vcc_lo, v1, s6
	v_add_co_ci_u32_e64 v5, null, s7, v5, vcc_lo
	v_add_co_u32 v23, vcc_lo, v23, s6
	v_add_co_ci_u32_e64 v24, null, s7, v24, vcc_lo
	v_add_co_u32 v25, vcc_lo, v25, s6
	v_add_co_ci_u32_e64 v26, null, s7, v26, vcc_lo
	v_add_co_u32 v27, vcc_lo, v27, s6
	v_add_co_ci_u32_e64 v28, null, s7, v28, vcc_lo
	v_add_co_u32 v29, vcc_lo, v29, s6
	s_add_u32 s20, s20, 1
	v_add_co_ci_u32_e64 v30, null, s7, v30, vcc_lo
	v_add_co_u32 v31, vcc_lo, v31, s6
	s_addc_u32 s21, s21, 0
	v_add_co_ci_u32_e64 v32, null, s7, v32, vcc_lo
	v_add_co_u32 v33, vcc_lo, v33, s6
	v_cmp_ge_i64_e64 s11, s[20:21], s[22:23]
	v_add_co_ci_u32_e64 v34, null, s7, v34, vcc_lo
	v_add_co_u32 v35, vcc_lo, v35, s6
	s_add_u32 s24, s24, s2
	v_add_co_ci_u32_e64 v36, null, s7, v36, vcc_lo
	s_addc_u32 s25, s25, s3
	s_add_u32 s4, s4, 8
	s_addc_u32 s5, s5, 0
	s_and_b32 vcc_lo, exec_lo, s11
	s_cbranch_vccnz .LBB258_45
.LBB258_13:                             ; =>This Inner Loop Header: Depth=1
	s_load_dwordx2 s[12:13], s[4:5], 0x0
	s_waitcnt lgkmcnt(0)
	s_sub_u32 s11, s12, s10
	s_subb_u32 s13, s13, 0
	s_mul_i32 s12, s11, s19
	s_mul_hi_u32 s14, s11, s18
	s_mul_i32 s13, s13, s18
	s_add_i32 s12, s14, s12
	s_mul_i32 s11, s11, s18
	s_add_i32 s12, s12, s13
	s_add_u32 s11, s11, s16
	s_addc_u32 s12, s12, 0
	s_and_saveexec_b32 s13, s17
	s_cbranch_execnz .LBB258_29
; %bb.14:                               ;   in Loop: Header=BB258_13 Depth=1
	s_or_b32 exec_lo, exec_lo, s13
	s_and_saveexec_b32 s13, s33
	s_cbranch_execnz .LBB258_30
.LBB258_15:                             ;   in Loop: Header=BB258_13 Depth=1
	s_or_b32 exec_lo, exec_lo, s13
	s_and_saveexec_b32 s13, s36
	s_cbranch_execnz .LBB258_31
.LBB258_16:                             ;   in Loop: Header=BB258_13 Depth=1
	s_or_b32 exec_lo, exec_lo, s13
	s_and_saveexec_b32 s13, s37
	s_cbranch_execnz .LBB258_32
.LBB258_17:                             ;   in Loop: Header=BB258_13 Depth=1
	s_or_b32 exec_lo, exec_lo, s13
	s_and_saveexec_b32 s13, s38
	s_cbranch_execnz .LBB258_33
.LBB258_18:                             ;   in Loop: Header=BB258_13 Depth=1
	s_or_b32 exec_lo, exec_lo, s13
	s_and_saveexec_b32 s13, s39
	s_cbranch_execnz .LBB258_34
.LBB258_19:                             ;   in Loop: Header=BB258_13 Depth=1
	s_or_b32 exec_lo, exec_lo, s13
	s_and_saveexec_b32 s13, s40
	s_cbranch_execnz .LBB258_35
.LBB258_20:                             ;   in Loop: Header=BB258_13 Depth=1
	s_or_b32 exec_lo, exec_lo, s13
	s_and_saveexec_b32 s13, s41
	s_cbranch_execnz .LBB258_36
.LBB258_21:                             ;   in Loop: Header=BB258_13 Depth=1
	s_or_b32 exec_lo, exec_lo, s13
	s_and_saveexec_b32 s13, s42
	s_cbranch_execnz .LBB258_37
.LBB258_22:                             ;   in Loop: Header=BB258_13 Depth=1
	s_or_b32 exec_lo, exec_lo, s13
	s_and_saveexec_b32 s13, s43
	s_cbranch_execnz .LBB258_38
.LBB258_23:                             ;   in Loop: Header=BB258_13 Depth=1
	s_or_b32 exec_lo, exec_lo, s13
	s_and_saveexec_b32 s13, s44
	s_cbranch_execnz .LBB258_39
.LBB258_24:                             ;   in Loop: Header=BB258_13 Depth=1
	s_or_b32 exec_lo, exec_lo, s13
	s_and_saveexec_b32 s13, s45
	s_cbranch_execnz .LBB258_40
.LBB258_25:                             ;   in Loop: Header=BB258_13 Depth=1
	s_or_b32 exec_lo, exec_lo, s13
	s_and_saveexec_b32 s13, s1
	s_cbranch_execnz .LBB258_41
.LBB258_26:                             ;   in Loop: Header=BB258_13 Depth=1
	s_or_b32 exec_lo, exec_lo, s13
	s_and_saveexec_b32 s13, s46
	s_cbranch_execnz .LBB258_42
.LBB258_27:                             ;   in Loop: Header=BB258_13 Depth=1
	s_or_b32 exec_lo, exec_lo, s13
	s_and_saveexec_b32 s13, s8
	s_cbranch_execnz .LBB258_43
.LBB258_28:                             ;   in Loop: Header=BB258_13 Depth=1
	s_or_b32 exec_lo, exec_lo, s13
	s_and_saveexec_b32 s13, s9
	s_cbranch_execz .LBB258_12
	s_branch .LBB258_44
.LBB258_29:                             ;   in Loop: Header=BB258_13 Depth=1
	v_add_co_u32 v37, vcc_lo, v13, v3
	v_add_co_ci_u32_e64 v38, null, 0, v14, vcc_lo
	v_add_co_u32 v39, vcc_lo, s24, v15
	v_add_co_ci_u32_e64 v40, null, s25, v16, vcc_lo
	v_add_co_u32 v41, vcc_lo, v1, v3
	v_cndmask_b32_e64 v37, v39, v37, s0
	v_cndmask_b32_e64 v38, v40, v38, s0
	v_add_co_u32 v39, s14, s11, v0
	v_add_co_ci_u32_e64 v42, null, 0, v5, vcc_lo
	global_load_dwordx2 v[37:38], v[37:38], off
	v_add_co_u32 v43, vcc_lo, v23, v3
	v_add_co_ci_u32_e64 v40, null, s12, 0, s14
	v_add_co_ci_u32_e64 v44, null, 0, v24, vcc_lo
	global_store_dwordx2 v[41:42], v[39:40], off
	s_waitcnt vmcnt(0)
	global_store_dwordx2 v[43:44], v[37:38], off
	s_or_b32 exec_lo, exec_lo, s13
	s_and_saveexec_b32 s13, s33
	s_cbranch_execz .LBB258_15
.LBB258_30:                             ;   in Loop: Header=BB258_13 Depth=1
	v_add_co_u32 v37, vcc_lo, v13, v3
	v_add_co_ci_u32_e64 v38, null, 0, v14, vcc_lo
	v_add_co_u32 v37, vcc_lo, 0x100, v37
	v_add_co_ci_u32_e64 v38, null, 0, v38, vcc_lo
	;; [unrolled: 2-line block ×3, first 2 shown]
	v_add_co_u32 v41, vcc_lo, v1, v3
	v_cndmask_b32_e64 v37, v39, v37, s0
	v_cndmask_b32_e64 v38, v40, v38, s0
	v_add_co_u32 v39, s14, s11, v2
	v_add_co_ci_u32_e64 v42, null, 0, v5, vcc_lo
	global_load_dwordx2 v[37:38], v[37:38], off
	v_add_co_u32 v43, vcc_lo, v23, v3
	v_add_co_ci_u32_e64 v40, null, s12, 0, s14
	v_add_co_ci_u32_e64 v44, null, 0, v24, vcc_lo
	global_store_dwordx2 v[41:42], v[39:40], off offset:256
	s_waitcnt vmcnt(0)
	global_store_dwordx2 v[43:44], v[37:38], off offset:256
	s_or_b32 exec_lo, exec_lo, s13
	s_and_saveexec_b32 s13, s36
	s_cbranch_execz .LBB258_16
.LBB258_31:                             ;   in Loop: Header=BB258_13 Depth=1
	v_add_co_u32 v37, vcc_lo, v13, v3
	v_add_co_ci_u32_e64 v38, null, 0, v14, vcc_lo
	v_add_co_u32 v37, vcc_lo, 0x200, v37
	v_add_co_ci_u32_e64 v38, null, 0, v38, vcc_lo
	v_add_co_u32 v39, vcc_lo, s24, v19
	v_add_co_ci_u32_e64 v40, null, s25, v20, vcc_lo
	v_add_co_u32 v41, vcc_lo, v1, v3
	v_cndmask_b32_e64 v37, v39, v37, s0
	v_cndmask_b32_e64 v38, v40, v38, s0
	v_add_co_u32 v39, s14, s11, v4
	v_add_co_ci_u32_e64 v42, null, 0, v5, vcc_lo
	global_load_dwordx2 v[37:38], v[37:38], off
	v_add_co_u32 v43, vcc_lo, v23, v3
	v_add_co_ci_u32_e64 v40, null, s12, 0, s14
	v_add_co_ci_u32_e64 v44, null, 0, v24, vcc_lo
	global_store_dwordx2 v[41:42], v[39:40], off offset:512
	s_waitcnt vmcnt(0)
	global_store_dwordx2 v[43:44], v[37:38], off offset:512
	s_or_b32 exec_lo, exec_lo, s13
	s_and_saveexec_b32 s13, s37
	s_cbranch_execz .LBB258_17
.LBB258_32:                             ;   in Loop: Header=BB258_13 Depth=1
	v_add_co_u32 v37, vcc_lo, v13, v3
	v_add_co_ci_u32_e64 v38, null, 0, v14, vcc_lo
	v_add_co_u32 v37, vcc_lo, 0x300, v37
	v_add_co_ci_u32_e64 v38, null, 0, v38, vcc_lo
	;; [unrolled: 2-line block ×3, first 2 shown]
	v_add_co_u32 v41, vcc_lo, v1, v3
	v_cndmask_b32_e64 v37, v39, v37, s0
	v_cndmask_b32_e64 v38, v40, v38, s0
	v_add_co_u32 v39, s14, s11, v6
	v_add_co_ci_u32_e64 v42, null, 0, v5, vcc_lo
	global_load_dwordx2 v[37:38], v[37:38], off
	v_add_co_u32 v43, vcc_lo, v23, v3
	v_add_co_ci_u32_e64 v40, null, s12, 0, s14
	v_add_co_ci_u32_e64 v44, null, 0, v24, vcc_lo
	global_store_dwordx2 v[41:42], v[39:40], off offset:768
	s_waitcnt vmcnt(0)
	global_store_dwordx2 v[43:44], v[37:38], off offset:768
	s_or_b32 exec_lo, exec_lo, s13
	s_and_saveexec_b32 s13, s38
	s_cbranch_execz .LBB258_18
.LBB258_33:                             ;   in Loop: Header=BB258_13 Depth=1
	v_add_co_u32 v37, vcc_lo, s24, v15
	v_add_co_ci_u32_e64 v38, null, s25, v16, vcc_lo
	v_add_co_u32 v39, vcc_lo, v11, v3
	v_add_co_ci_u32_e64 v40, null, 0, v12, vcc_lo
	;; [unrolled: 2-line block ×3, first 2 shown]
	v_add_co_u32 v41, vcc_lo, v27, v3
	v_cndmask_b32_e64 v37, v37, v39, s0
	v_cndmask_b32_e64 v38, v38, v40, s0
	v_add_co_u32 v39, s14, s11, v0
	v_add_co_ci_u32_e64 v42, null, 0, v28, vcc_lo
	global_load_dwordx2 v[37:38], v[37:38], off
	v_add_co_u32 v43, vcc_lo, v25, v3
	v_add_co_ci_u32_e64 v40, null, s12, 0, s14
	v_add_co_ci_u32_e64 v44, null, 0, v26, vcc_lo
	global_store_dwordx2 v[41:42], v[39:40], off
	s_waitcnt vmcnt(0)
	global_store_dwordx2 v[43:44], v[37:38], off
	s_or_b32 exec_lo, exec_lo, s13
	s_and_saveexec_b32 s13, s39
	s_cbranch_execz .LBB258_19
.LBB258_34:                             ;   in Loop: Header=BB258_13 Depth=1
	v_add_co_u32 v37, vcc_lo, v11, v3
	v_add_co_ci_u32_e64 v38, null, 0, v12, vcc_lo
	v_add_co_u32 v39, vcc_lo, s24, v17
	v_add_co_ci_u32_e64 v40, null, s25, v18, vcc_lo
	v_add_co_u32 v41, vcc_lo, v27, v3
	v_cndmask_b32_e64 v37, v39, v37, s0
	v_cndmask_b32_e64 v38, v40, v38, s0
	v_add_co_u32 v39, s14, s11, v2
	v_add_co_ci_u32_e64 v42, null, 0, v28, vcc_lo
	global_load_dwordx2 v[37:38], v[37:38], off offset:256
	v_add_co_u32 v43, vcc_lo, v25, v3
	v_add_co_ci_u32_e64 v40, null, s12, 0, s14
	v_add_co_ci_u32_e64 v44, null, 0, v26, vcc_lo
	global_store_dwordx2 v[41:42], v[39:40], off offset:256
	s_waitcnt vmcnt(0)
	global_store_dwordx2 v[43:44], v[37:38], off offset:256
	s_or_b32 exec_lo, exec_lo, s13
	s_and_saveexec_b32 s13, s40
	s_cbranch_execz .LBB258_20
.LBB258_35:                             ;   in Loop: Header=BB258_13 Depth=1
	v_add_co_u32 v37, vcc_lo, v11, v3
	v_add_co_ci_u32_e64 v38, null, 0, v12, vcc_lo
	v_add_co_u32 v39, vcc_lo, s24, v19
	v_add_co_ci_u32_e64 v40, null, s25, v20, vcc_lo
	;; [unrolled: 2-line block ×4, first 2 shown]
	v_add_co_u32 v41, vcc_lo, v27, v3
	v_cndmask_b32_e64 v37, v39, v37, s0
	v_cndmask_b32_e64 v38, v40, v38, s0
	v_add_co_u32 v39, s14, s11, v4
	v_add_co_ci_u32_e64 v42, null, 0, v28, vcc_lo
	global_load_dwordx2 v[37:38], v[37:38], off
	v_add_co_u32 v43, vcc_lo, v25, v3
	v_add_co_ci_u32_e64 v40, null, s12, 0, s14
	v_add_co_ci_u32_e64 v44, null, 0, v26, vcc_lo
	global_store_dwordx2 v[41:42], v[39:40], off offset:512
	s_waitcnt vmcnt(0)
	global_store_dwordx2 v[43:44], v[37:38], off offset:512
	s_or_b32 exec_lo, exec_lo, s13
	s_and_saveexec_b32 s13, s41
	s_cbranch_execz .LBB258_21
.LBB258_36:                             ;   in Loop: Header=BB258_13 Depth=1
	v_add_co_u32 v37, vcc_lo, v11, v3
	v_add_co_ci_u32_e64 v38, null, 0, v12, vcc_lo
	v_add_co_u32 v39, vcc_lo, s24, v21
	v_add_co_ci_u32_e64 v40, null, s25, v22, vcc_lo
	;; [unrolled: 2-line block ×4, first 2 shown]
	v_add_co_u32 v41, vcc_lo, v27, v3
	v_cndmask_b32_e64 v37, v39, v37, s0
	v_cndmask_b32_e64 v38, v40, v38, s0
	v_add_co_u32 v39, s14, s11, v6
	v_add_co_ci_u32_e64 v42, null, 0, v28, vcc_lo
	global_load_dwordx2 v[37:38], v[37:38], off
	v_add_co_u32 v43, vcc_lo, v25, v3
	v_add_co_ci_u32_e64 v40, null, s12, 0, s14
	v_add_co_ci_u32_e64 v44, null, 0, v26, vcc_lo
	global_store_dwordx2 v[41:42], v[39:40], off offset:768
	s_waitcnt vmcnt(0)
	global_store_dwordx2 v[43:44], v[37:38], off offset:768
	s_or_b32 exec_lo, exec_lo, s13
	s_and_saveexec_b32 s13, s42
	s_cbranch_execz .LBB258_22
.LBB258_37:                             ;   in Loop: Header=BB258_13 Depth=1
	v_add_co_u32 v37, vcc_lo, s24, v15
	v_add_co_ci_u32_e64 v38, null, s25, v16, vcc_lo
	v_add_co_u32 v39, vcc_lo, v9, v3
	v_add_co_ci_u32_e64 v40, null, 0, v10, vcc_lo
	;; [unrolled: 2-line block ×3, first 2 shown]
	v_add_co_u32 v41, vcc_lo, v35, v3
	v_cndmask_b32_e64 v37, v37, v39, s0
	v_cndmask_b32_e64 v38, v38, v40, s0
	v_add_co_u32 v39, s14, s11, v0
	v_add_co_ci_u32_e64 v42, null, 0, v36, vcc_lo
	global_load_dwordx2 v[37:38], v[37:38], off
	v_add_co_u32 v43, vcc_lo, v33, v3
	v_add_co_ci_u32_e64 v40, null, s12, 0, s14
	v_add_co_ci_u32_e64 v44, null, 0, v34, vcc_lo
	global_store_dwordx2 v[41:42], v[39:40], off
	s_waitcnt vmcnt(0)
	global_store_dwordx2 v[43:44], v[37:38], off
	s_or_b32 exec_lo, exec_lo, s13
	s_and_saveexec_b32 s13, s43
	s_cbranch_execz .LBB258_23
.LBB258_38:                             ;   in Loop: Header=BB258_13 Depth=1
	v_add_co_u32 v37, vcc_lo, v9, v3
	v_add_co_ci_u32_e64 v38, null, 0, v10, vcc_lo
	v_add_co_u32 v39, vcc_lo, s24, v17
	v_add_co_ci_u32_e64 v40, null, s25, v18, vcc_lo
	;; [unrolled: 2-line block ×4, first 2 shown]
	v_add_co_u32 v41, vcc_lo, v35, v3
	v_cndmask_b32_e64 v37, v39, v37, s0
	v_cndmask_b32_e64 v38, v40, v38, s0
	v_add_co_u32 v39, s14, s11, v2
	v_add_co_ci_u32_e64 v42, null, 0, v36, vcc_lo
	global_load_dwordx2 v[37:38], v[37:38], off
	v_add_co_u32 v43, vcc_lo, v33, v3
	v_add_co_ci_u32_e64 v40, null, s12, 0, s14
	v_add_co_ci_u32_e64 v44, null, 0, v34, vcc_lo
	global_store_dwordx2 v[41:42], v[39:40], off offset:256
	s_waitcnt vmcnt(0)
	global_store_dwordx2 v[43:44], v[37:38], off offset:256
	s_or_b32 exec_lo, exec_lo, s13
	s_and_saveexec_b32 s13, s44
	s_cbranch_execz .LBB258_24
.LBB258_39:                             ;   in Loop: Header=BB258_13 Depth=1
	v_add_co_u32 v37, vcc_lo, v9, v3
	v_add_co_ci_u32_e64 v38, null, 0, v10, vcc_lo
	v_add_co_u32 v39, vcc_lo, s24, v19
	v_add_co_ci_u32_e64 v40, null, s25, v20, vcc_lo
	v_add_co_u32 v41, vcc_lo, v35, v3
	v_cndmask_b32_e64 v37, v39, v37, s0
	v_cndmask_b32_e64 v38, v40, v38, s0
	v_add_co_u32 v39, s14, s11, v4
	v_add_co_ci_u32_e64 v42, null, 0, v36, vcc_lo
	global_load_dwordx2 v[37:38], v[37:38], off offset:512
	v_add_co_u32 v43, vcc_lo, v33, v3
	v_add_co_ci_u32_e64 v40, null, s12, 0, s14
	v_add_co_ci_u32_e64 v44, null, 0, v34, vcc_lo
	global_store_dwordx2 v[41:42], v[39:40], off offset:512
	s_waitcnt vmcnt(0)
	global_store_dwordx2 v[43:44], v[37:38], off offset:512
	s_or_b32 exec_lo, exec_lo, s13
	s_and_saveexec_b32 s13, s45
	s_cbranch_execz .LBB258_25
.LBB258_40:                             ;   in Loop: Header=BB258_13 Depth=1
	v_add_co_u32 v37, vcc_lo, v9, v3
	v_add_co_ci_u32_e64 v38, null, 0, v10, vcc_lo
	v_add_co_u32 v39, vcc_lo, s24, v21
	v_add_co_ci_u32_e64 v40, null, s25, v22, vcc_lo
	;; [unrolled: 2-line block ×4, first 2 shown]
	v_add_co_u32 v41, vcc_lo, v35, v3
	v_cndmask_b32_e64 v37, v39, v37, s0
	v_cndmask_b32_e64 v38, v40, v38, s0
	v_add_co_u32 v39, s14, s11, v6
	v_add_co_ci_u32_e64 v42, null, 0, v36, vcc_lo
	global_load_dwordx2 v[37:38], v[37:38], off
	v_add_co_u32 v43, vcc_lo, v33, v3
	v_add_co_ci_u32_e64 v40, null, s12, 0, s14
	v_add_co_ci_u32_e64 v44, null, 0, v34, vcc_lo
	global_store_dwordx2 v[41:42], v[39:40], off offset:768
	s_waitcnt vmcnt(0)
	global_store_dwordx2 v[43:44], v[37:38], off offset:768
	s_or_b32 exec_lo, exec_lo, s13
	s_and_saveexec_b32 s13, s1
	s_cbranch_execz .LBB258_26
.LBB258_41:                             ;   in Loop: Header=BB258_13 Depth=1
	v_add_co_u32 v37, vcc_lo, s24, v15
	v_add_co_ci_u32_e64 v38, null, s25, v16, vcc_lo
	v_add_co_u32 v39, vcc_lo, v7, v3
	v_add_co_ci_u32_e64 v40, null, 0, v8, vcc_lo
	;; [unrolled: 2-line block ×3, first 2 shown]
	v_add_co_u32 v41, vcc_lo, v29, v3
	v_cndmask_b32_e64 v37, v37, v39, s0
	v_cndmask_b32_e64 v38, v38, v40, s0
	v_add_co_u32 v39, s14, s11, v0
	v_add_co_ci_u32_e64 v42, null, 0, v30, vcc_lo
	global_load_dwordx2 v[37:38], v[37:38], off
	v_add_co_u32 v43, vcc_lo, v31, v3
	v_add_co_ci_u32_e64 v40, null, s12, 0, s14
	v_add_co_ci_u32_e64 v44, null, 0, v32, vcc_lo
	global_store_dwordx2 v[41:42], v[39:40], off
	s_waitcnt vmcnt(0)
	global_store_dwordx2 v[43:44], v[37:38], off
	s_or_b32 exec_lo, exec_lo, s13
	s_and_saveexec_b32 s13, s46
	s_cbranch_execz .LBB258_27
.LBB258_42:                             ;   in Loop: Header=BB258_13 Depth=1
	v_add_co_u32 v37, vcc_lo, v7, v3
	v_add_co_ci_u32_e64 v38, null, 0, v8, vcc_lo
	v_add_co_u32 v39, vcc_lo, s24, v17
	v_add_co_ci_u32_e64 v40, null, s25, v18, vcc_lo
	;; [unrolled: 2-line block ×4, first 2 shown]
	v_add_co_u32 v41, vcc_lo, v29, v3
	v_cndmask_b32_e64 v37, v39, v37, s0
	v_cndmask_b32_e64 v38, v40, v38, s0
	v_add_co_u32 v39, s14, s11, v2
	v_add_co_ci_u32_e64 v42, null, 0, v30, vcc_lo
	global_load_dwordx2 v[37:38], v[37:38], off
	v_add_co_u32 v43, vcc_lo, v31, v3
	v_add_co_ci_u32_e64 v40, null, s12, 0, s14
	v_add_co_ci_u32_e64 v44, null, 0, v32, vcc_lo
	global_store_dwordx2 v[41:42], v[39:40], off offset:256
	s_waitcnt vmcnt(0)
	global_store_dwordx2 v[43:44], v[37:38], off offset:256
	s_or_b32 exec_lo, exec_lo, s13
	s_and_saveexec_b32 s13, s8
	s_cbranch_execz .LBB258_28
.LBB258_43:                             ;   in Loop: Header=BB258_13 Depth=1
	v_add_co_u32 v37, vcc_lo, v7, v3
	v_add_co_ci_u32_e64 v38, null, 0, v8, vcc_lo
	v_add_co_u32 v39, vcc_lo, s24, v19
	v_add_co_ci_u32_e64 v40, null, s25, v20, vcc_lo
	;; [unrolled: 2-line block ×4, first 2 shown]
	v_add_co_u32 v41, vcc_lo, v29, v3
	v_cndmask_b32_e64 v37, v39, v37, s0
	v_cndmask_b32_e64 v38, v40, v38, s0
	v_add_co_u32 v39, s14, s11, v4
	v_add_co_ci_u32_e64 v42, null, 0, v30, vcc_lo
	global_load_dwordx2 v[37:38], v[37:38], off
	v_add_co_u32 v43, vcc_lo, v31, v3
	v_add_co_ci_u32_e64 v40, null, s12, 0, s14
	v_add_co_ci_u32_e64 v44, null, 0, v32, vcc_lo
	global_store_dwordx2 v[41:42], v[39:40], off offset:512
	s_waitcnt vmcnt(0)
	global_store_dwordx2 v[43:44], v[37:38], off offset:512
	s_or_b32 exec_lo, exec_lo, s13
	s_and_saveexec_b32 s13, s9
	s_cbranch_execz .LBB258_12
.LBB258_44:                             ;   in Loop: Header=BB258_13 Depth=1
	v_add_co_u32 v37, vcc_lo, v7, v3
	v_add_co_ci_u32_e64 v38, null, 0, v8, vcc_lo
	v_add_co_u32 v39, vcc_lo, s24, v21
	v_add_co_ci_u32_e64 v40, null, s25, v22, vcc_lo
	v_add_co_u32 v41, vcc_lo, v29, v3
	v_cndmask_b32_e64 v37, v39, v37, s0
	v_cndmask_b32_e64 v38, v40, v38, s0
	v_add_co_u32 v39, s11, s11, v6
	v_add_co_ci_u32_e64 v42, null, 0, v30, vcc_lo
	global_load_dwordx2 v[37:38], v[37:38], off offset:768
	v_add_co_u32 v43, vcc_lo, v31, v3
	v_add_co_ci_u32_e64 v40, null, s12, 0, s11
	v_add_co_ci_u32_e64 v44, null, 0, v32, vcc_lo
	global_store_dwordx2 v[41:42], v[39:40], off offset:768
	s_waitcnt vmcnt(0)
	global_store_dwordx2 v[43:44], v[37:38], off offset:768
	s_branch .LBB258_12
.LBB258_45:
	s_endpgm
	.section	.rodata,"a",@progbits
	.p2align	6, 0x0
	.amdhsa_kernel _ZN9rocsparseL35bsr2csr_block_per_row_33_256_kernelILj1024ELj128ELj32EdllEEv20rocsparse_direction_T4_S2_21rocsparse_index_base_PKT2_PKT3_PKS2_S2_S3_PS4_PS7_PS2_
		.amdhsa_group_segment_fixed_size 0
		.amdhsa_private_segment_fixed_size 0
		.amdhsa_kernarg_size 96
		.amdhsa_user_sgpr_count 6
		.amdhsa_user_sgpr_private_segment_buffer 1
		.amdhsa_user_sgpr_dispatch_ptr 0
		.amdhsa_user_sgpr_queue_ptr 0
		.amdhsa_user_sgpr_kernarg_segment_ptr 1
		.amdhsa_user_sgpr_dispatch_id 0
		.amdhsa_user_sgpr_flat_scratch_init 0
		.amdhsa_user_sgpr_private_segment_size 0
		.amdhsa_wavefront_size32 1
		.amdhsa_uses_dynamic_stack 0
		.amdhsa_system_sgpr_private_segment_wavefront_offset 0
		.amdhsa_system_sgpr_workgroup_id_x 1
		.amdhsa_system_sgpr_workgroup_id_y 0
		.amdhsa_system_sgpr_workgroup_id_z 0
		.amdhsa_system_sgpr_workgroup_info 0
		.amdhsa_system_vgpr_workitem_id 0
		.amdhsa_next_free_vgpr 45
		.amdhsa_next_free_sgpr 49
		.amdhsa_reserve_vcc 1
		.amdhsa_reserve_flat_scratch 0
		.amdhsa_float_round_mode_32 0
		.amdhsa_float_round_mode_16_64 0
		.amdhsa_float_denorm_mode_32 3
		.amdhsa_float_denorm_mode_16_64 3
		.amdhsa_dx10_clamp 1
		.amdhsa_ieee_mode 1
		.amdhsa_fp16_overflow 0
		.amdhsa_workgroup_processor_mode 1
		.amdhsa_memory_ordered 1
		.amdhsa_forward_progress 1
		.amdhsa_shared_vgpr_count 0
		.amdhsa_exception_fp_ieee_invalid_op 0
		.amdhsa_exception_fp_denorm_src 0
		.amdhsa_exception_fp_ieee_div_zero 0
		.amdhsa_exception_fp_ieee_overflow 0
		.amdhsa_exception_fp_ieee_underflow 0
		.amdhsa_exception_fp_ieee_inexact 0
		.amdhsa_exception_int_div_zero 0
	.end_amdhsa_kernel
	.section	.text._ZN9rocsparseL35bsr2csr_block_per_row_33_256_kernelILj1024ELj128ELj32EdllEEv20rocsparse_direction_T4_S2_21rocsparse_index_base_PKT2_PKT3_PKS2_S2_S3_PS4_PS7_PS2_,"axG",@progbits,_ZN9rocsparseL35bsr2csr_block_per_row_33_256_kernelILj1024ELj128ELj32EdllEEv20rocsparse_direction_T4_S2_21rocsparse_index_base_PKT2_PKT3_PKS2_S2_S3_PS4_PS7_PS2_,comdat
.Lfunc_end258:
	.size	_ZN9rocsparseL35bsr2csr_block_per_row_33_256_kernelILj1024ELj128ELj32EdllEEv20rocsparse_direction_T4_S2_21rocsparse_index_base_PKT2_PKT3_PKS2_S2_S3_PS4_PS7_PS2_, .Lfunc_end258-_ZN9rocsparseL35bsr2csr_block_per_row_33_256_kernelILj1024ELj128ELj32EdllEEv20rocsparse_direction_T4_S2_21rocsparse_index_base_PKT2_PKT3_PKS2_S2_S3_PS4_PS7_PS2_
                                        ; -- End function
	.set _ZN9rocsparseL35bsr2csr_block_per_row_33_256_kernelILj1024ELj128ELj32EdllEEv20rocsparse_direction_T4_S2_21rocsparse_index_base_PKT2_PKT3_PKS2_S2_S3_PS4_PS7_PS2_.num_vgpr, 45
	.set _ZN9rocsparseL35bsr2csr_block_per_row_33_256_kernelILj1024ELj128ELj32EdllEEv20rocsparse_direction_T4_S2_21rocsparse_index_base_PKT2_PKT3_PKS2_S2_S3_PS4_PS7_PS2_.num_agpr, 0
	.set _ZN9rocsparseL35bsr2csr_block_per_row_33_256_kernelILj1024ELj128ELj32EdllEEv20rocsparse_direction_T4_S2_21rocsparse_index_base_PKT2_PKT3_PKS2_S2_S3_PS4_PS7_PS2_.numbered_sgpr, 49
	.set _ZN9rocsparseL35bsr2csr_block_per_row_33_256_kernelILj1024ELj128ELj32EdllEEv20rocsparse_direction_T4_S2_21rocsparse_index_base_PKT2_PKT3_PKS2_S2_S3_PS4_PS7_PS2_.num_named_barrier, 0
	.set _ZN9rocsparseL35bsr2csr_block_per_row_33_256_kernelILj1024ELj128ELj32EdllEEv20rocsparse_direction_T4_S2_21rocsparse_index_base_PKT2_PKT3_PKS2_S2_S3_PS4_PS7_PS2_.private_seg_size, 0
	.set _ZN9rocsparseL35bsr2csr_block_per_row_33_256_kernelILj1024ELj128ELj32EdllEEv20rocsparse_direction_T4_S2_21rocsparse_index_base_PKT2_PKT3_PKS2_S2_S3_PS4_PS7_PS2_.uses_vcc, 1
	.set _ZN9rocsparseL35bsr2csr_block_per_row_33_256_kernelILj1024ELj128ELj32EdllEEv20rocsparse_direction_T4_S2_21rocsparse_index_base_PKT2_PKT3_PKS2_S2_S3_PS4_PS7_PS2_.uses_flat_scratch, 0
	.set _ZN9rocsparseL35bsr2csr_block_per_row_33_256_kernelILj1024ELj128ELj32EdllEEv20rocsparse_direction_T4_S2_21rocsparse_index_base_PKT2_PKT3_PKS2_S2_S3_PS4_PS7_PS2_.has_dyn_sized_stack, 0
	.set _ZN9rocsparseL35bsr2csr_block_per_row_33_256_kernelILj1024ELj128ELj32EdllEEv20rocsparse_direction_T4_S2_21rocsparse_index_base_PKT2_PKT3_PKS2_S2_S3_PS4_PS7_PS2_.has_recursion, 0
	.set _ZN9rocsparseL35bsr2csr_block_per_row_33_256_kernelILj1024ELj128ELj32EdllEEv20rocsparse_direction_T4_S2_21rocsparse_index_base_PKT2_PKT3_PKS2_S2_S3_PS4_PS7_PS2_.has_indirect_call, 0
	.section	.AMDGPU.csdata,"",@progbits
; Kernel info:
; codeLenInByte = 4640
; TotalNumSgprs: 51
; NumVgprs: 45
; ScratchSize: 0
; MemoryBound: 0
; FloatMode: 240
; IeeeMode: 1
; LDSByteSize: 0 bytes/workgroup (compile time only)
; SGPRBlocks: 0
; VGPRBlocks: 5
; NumSGPRsForWavesPerEU: 51
; NumVGPRsForWavesPerEU: 45
; Occupancy: 16
; WaveLimiterHint : 1
; COMPUTE_PGM_RSRC2:SCRATCH_EN: 0
; COMPUTE_PGM_RSRC2:USER_SGPR: 6
; COMPUTE_PGM_RSRC2:TRAP_HANDLER: 0
; COMPUTE_PGM_RSRC2:TGID_X_EN: 1
; COMPUTE_PGM_RSRC2:TGID_Y_EN: 0
; COMPUTE_PGM_RSRC2:TGID_Z_EN: 0
; COMPUTE_PGM_RSRC2:TIDIG_COMP_CNT: 0
	.section	.text._ZN9rocsparseL35bsr2csr_block_per_row_33_256_kernelILj1024ELj256ELj32EdllEEv20rocsparse_direction_T4_S2_21rocsparse_index_base_PKT2_PKT3_PKS2_S2_S3_PS4_PS7_PS2_,"axG",@progbits,_ZN9rocsparseL35bsr2csr_block_per_row_33_256_kernelILj1024ELj256ELj32EdllEEv20rocsparse_direction_T4_S2_21rocsparse_index_base_PKT2_PKT3_PKS2_S2_S3_PS4_PS7_PS2_,comdat
	.globl	_ZN9rocsparseL35bsr2csr_block_per_row_33_256_kernelILj1024ELj256ELj32EdllEEv20rocsparse_direction_T4_S2_21rocsparse_index_base_PKT2_PKT3_PKS2_S2_S3_PS4_PS7_PS2_ ; -- Begin function _ZN9rocsparseL35bsr2csr_block_per_row_33_256_kernelILj1024ELj256ELj32EdllEEv20rocsparse_direction_T4_S2_21rocsparse_index_base_PKT2_PKT3_PKS2_S2_S3_PS4_PS7_PS2_
	.p2align	8
	.type	_ZN9rocsparseL35bsr2csr_block_per_row_33_256_kernelILj1024ELj256ELj32EdllEEv20rocsparse_direction_T4_S2_21rocsparse_index_base_PKT2_PKT3_PKS2_S2_S3_PS4_PS7_PS2_,@function
_ZN9rocsparseL35bsr2csr_block_per_row_33_256_kernelILj1024ELj256ELj32EdllEEv20rocsparse_direction_T4_S2_21rocsparse_index_base_PKT2_PKT3_PKS2_S2_S3_PS4_PS7_PS2_: ; @_ZN9rocsparseL35bsr2csr_block_per_row_33_256_kernelILj1024ELj256ELj32EdllEEv20rocsparse_direction_T4_S2_21rocsparse_index_base_PKT2_PKT3_PKS2_S2_S3_PS4_PS7_PS2_
; %bb.0:
	s_load_dwordx2 s[0:1], s[4:5], 0x28
	s_mov_b32 s19, 0
	s_clause 0x1
	s_load_dword s18, s[4:5], 0x40
	s_load_dwordx2 s[2:3], s[4:5], 0x50
	s_mov_b32 s7, s19
	v_or_b32_e32 v1, s6, v0
	s_lshl_b64 s[8:9], s[6:7], 3
	s_waitcnt lgkmcnt(0)
	s_add_u32 s0, s0, s8
	s_addc_u32 s1, s1, s9
	s_load_dwordx4 s[12:15], s[0:1], 0x0
	s_mov_b32 s0, exec_lo
	v_cmpx_eq_u32_e32 0, v1
	s_cbranch_execz .LBB259_2
; %bb.1:
	v_mov_b32_e32 v1, s18
	v_mov_b32_e32 v3, 0
	;; [unrolled: 1-line block ×3, first 2 shown]
	global_store_dwordx2 v3, v[1:2], s[2:3]
.LBB259_2:
	s_or_b32 exec_lo, exec_lo, s0
	s_clause 0x1
	s_load_dword s19, s[4:5], 0x18
	s_load_dwordx2 s[20:21], s[4:5], 0x38
	v_mov_b32_e32 v13, 0
	v_lshrrev_b32_e32 v12, 5, v0
	v_lshlrev_b32_e32 v47, 3, v12
	s_waitcnt lgkmcnt(0)
	s_sub_u32 s22, s12, s19
	s_subb_u32 s23, s13, 0
	s_mul_hi_u32 s0, s20, s22
	s_mul_i32 s10, s20, s23
	s_sub_u32 s24, s14, s19
	s_mul_i32 s8, s21, s22
	s_mul_i32 s9, s20, s22
	s_subb_u32 s25, s15, 0
	s_add_i32 s0, s0, s10
	s_mul_i32 s11, s9, s21
	s_mul_hi_u32 s10, s9, s20
	s_add_i32 s0, s0, s8
	s_add_i32 s8, s10, s11
	s_mul_i32 s0, s0, s20
	s_mul_i32 s9, s9, s20
	s_add_i32 s8, s8, s0
	s_sub_u32 s40, s24, s22
	s_subb_u32 s41, s25, s23
	s_mul_i32 s0, s40, s21
	s_mul_hi_u32 s10, s40, s20
	s_mul_i32 s16, s41, s20
	s_add_i32 s0, s10, s0
	s_mul_i32 s11, s40, s20
	s_add_i32 s0, s0, s16
	s_add_u32 s9, s9, s18
	s_mul_i32 s1, s21, s6
	s_mul_hi_u32 s7, s20, s6
	s_addc_u32 s8, s8, 0
	s_add_u32 s16, s9, s11
	s_mul_i32 s6, s20, s6
	s_addc_u32 s17, s8, s0
	s_add_i32 s7, s7, s1
	v_cmp_gt_i64_e64 s1, s[20:21], v[12:13]
	s_lshl_b64 s[6:7], s[6:7], 3
	s_add_u32 s26, s2, s6
	s_addc_u32 s27, s3, s7
	s_and_saveexec_b32 s2, s1
	s_cbranch_execz .LBB259_4
; %bb.3:
	v_mad_u64_u32 v[1:2], null, v12, s11, s[16:17]
	v_mad_u64_u32 v[2:3], null, v12, s0, v[2:3]
	global_store_dwordx2 v47, v[1:2], s[26:27] offset:8
.LBB259_4:
	s_or_b32 exec_lo, exec_lo, s2
	v_or_b32_e32 v1, 32, v12
	v_mov_b32_e32 v2, v13
	v_cmp_gt_i64_e64 s2, s[20:21], v[1:2]
	s_and_saveexec_b32 s3, s2
	s_cbranch_execz .LBB259_6
; %bb.5:
	v_mad_u64_u32 v[2:3], null, v1, s11, s[16:17]
	v_mad_u64_u32 v[3:4], null, v1, s0, v[3:4]
	global_store_dwordx2 v47, v[2:3], s[26:27] offset:264
.LBB259_6:
	s_or_b32 exec_lo, exec_lo, s3
	v_or_b32_e32 v1, 64, v12
	v_mov_b32_e32 v2, v13
	v_cmp_gt_i64_e64 s3, s[20:21], v[1:2]
	;; [unrolled: 11-line block ×7, first 2 shown]
	s_and_saveexec_b32 s28, s9
	s_cbranch_execz .LBB259_18
; %bb.17:
	v_mad_u64_u32 v[2:3], null, v1, s11, s[16:17]
	v_mad_u64_u32 v[3:4], null, v1, s0, v[3:4]
	global_store_dwordx2 v47, v[2:3], s[26:27] offset:1800
.LBB259_18:
	s_or_b32 exec_lo, exec_lo, s28
	v_cmp_lt_i64_e64 s0, s[12:13], s[14:15]
	s_and_b32 vcc_lo, exec_lo, s0
	s_cbranch_vccz .LBB259_149
; %bb.19:
	v_and_b32_e32 v0, 31, v0
	s_clause 0x2
	s_load_dwordx2 s[26:27], s[4:5], 0x30
	s_load_dwordx2 s[28:29], s[4:5], 0x48
	s_load_dword s0, s[4:5], 0x0
	s_mul_i32 s11, s20, s21
	s_mul_hi_u32 s12, s20, s20
	v_mov_b32_e32 v1, 0
	v_mad_u64_u32 v[13:14], null, v0, s20, 0
	s_add_i32 s12, s12, s11
	s_mul_i32 s33, s20, s20
	s_add_i32 s17, s12, s11
	s_clause 0x1
	s_load_dwordx2 s[30:31], s[4:5], 0x20
	s_load_dwordx2 s[34:35], s[4:5], 0x58
	s_mul_i32 s4, s22, s17
	v_mov_b32_e32 v2, v14
	s_mul_hi_u32 s5, s22, s33
	v_mov_b32_e32 v4, v1
	s_add_i32 s4, s5, s4
	s_mul_i32 s5, s23, s33
	v_mad_u64_u32 v[5:6], null, v0, s21, v[2:3]
	v_or_b32_e32 v2, 32, v0
	v_mov_b32_e32 v3, v1
	s_add_i32 s37, s4, s5
	s_waitcnt lgkmcnt(0)
	s_cmp_eq_u32 s0, 0
	v_mov_b32_e32 v6, v1
	s_cselect_b32 s0, -1, 0
	v_cmp_gt_i64_e64 s4, s[20:21], v[2:3]
	v_or_b32_e32 v3, 64, v0
	s_lshl_b64 s[38:39], s[20:21], 5
	v_mov_b32_e32 v14, v5
	v_add_co_u32 v15, s5, v13, s38
	v_add_co_ci_u32_e64 v16, null, s39, v5, s5
	v_cmp_gt_i64_e64 s5, s[20:21], v[3:4]
	v_or_b32_e32 v4, 0x60, v0
	v_mov_b32_e32 v5, v1
	v_add_co_u32 v17, s11, v15, s38
	v_add_co_ci_u32_e64 v18, null, s39, v16, s11
	v_cmp_gt_i64_e64 s11, s[20:21], v[4:5]
	v_or_b32_e32 v5, 0x80, v0
	v_add_co_u32 v19, s12, v17, s38
	v_add_co_ci_u32_e64 v20, null, s39, v18, s12
	v_cmp_gt_i64_e64 s12, s[20:21], v[5:6]
	v_or_b32_e32 v6, 0xa0, v0
	v_mov_b32_e32 v7, v1
	v_mad_u64_u32 v[9:10], null, v12, s40, 0
	v_add_co_u32 v21, s13, v19, s38
	v_add_co_ci_u32_e64 v22, null, s39, v20, s13
	v_cmp_gt_i64_e64 s13, s[20:21], v[6:7]
	v_or_b32_e32 v7, 0xc0, v0
	v_mov_b32_e32 v8, v1
	v_mad_u64_u32 v[23:24], null, v12, s20, 0
	v_add_co_u32 v25, s14, v21, s38
	v_add_co_ci_u32_e64 v26, null, s39, v22, s14
	v_cmp_gt_i64_e64 s14, s[20:21], v[7:8]
	v_mov_b32_e32 v8, v10
	v_or_b32_e32 v10, 0xe0, v0
	v_mov_b32_e32 v11, v1
	v_cmp_gt_i64_e32 vcc_lo, s[20:21], v[0:1]
	s_lshl_b64 s[92:93], s[40:41], 5
	v_mad_u64_u32 v[27:28], null, v12, s41, v[8:9]
	v_mad_u64_u32 v[28:29], null, v12, s21, v[24:25]
	v_add_co_u32 v29, s15, v25, s38
	v_add_co_ci_u32_e64 v30, null, s39, v26, s15
	v_cmp_gt_i64_e64 s15, s[20:21], v[10:11]
	v_add_co_u32 v31, s16, v29, s38
	v_add_co_ci_u32_e64 v32, null, s39, v30, s16
	s_and_b32 s16, s1, vcc_lo
	s_and_b32 s42, s1, s4
	s_and_b32 s43, s1, s5
	;; [unrolled: 1-line block ×7, first 2 shown]
	v_add_co_u32 v8, s1, v9, s92
	v_add_co_ci_u32_e64 v48, null, s93, v27, s1
	v_mov_b32_e32 v24, v28
	v_add_co_u32 v49, s1, v8, s92
	v_add_co_ci_u32_e64 v50, null, s93, v48, s1
	v_mov_b32_e32 v1, v27
	v_add_co_u32 v51, s1, v49, s92
	v_add_co_ci_u32_e64 v52, null, s93, v50, s1
	v_lshlrev_b64 v[11:12], 3, v[23:24]
	v_add_co_u32 v53, s1, v51, s92
	v_add_co_ci_u32_e64 v54, null, s93, v52, s1
	v_lshlrev_b64 v[13:14], 3, v[13:14]
	;; [unrolled: 3-line block ×4, first 2 shown]
	v_add_co_u32 v59, s1, v57, s92
	v_lshlrev_b64 v[19:20], 3, v[19:20]
	v_lshlrev_b64 v[21:22], 3, v[21:22]
	;; [unrolled: 1-line block ×5, first 2 shown]
	v_add_co_ci_u32_e64 v60, null, s93, v58, s1
	s_mul_i32 s36, s22, s33
	s_and_b32 s40, s2, vcc_lo
	s_and_b32 s41, s2, s4
	s_and_b32 s49, s2, s5
	s_and_b32 s50, s2, s11
	s_and_b32 s51, s2, s12
	s_and_b32 s52, s2, s13
	s_and_b32 s53, s2, s14
	s_and_b32 s54, s2, s15
	s_and_b32 s55, s3, vcc_lo
	s_and_b32 s56, s3, s4
	s_and_b32 s57, s3, s5
	s_and_b32 s58, s3, s11
	s_and_b32 s59, s3, s12
	s_and_b32 s60, s3, s13
	s_and_b32 s61, s3, s14
	s_and_b32 s62, s3, s15
	;; [unrolled: 8-line block ×7, first 2 shown]
	s_mov_b64 s[2:3], s[22:23]
	s_branch .LBB259_21
.LBB259_20:                             ;   in Loop: Header=BB259_21 Depth=1
	s_or_b32 exec_lo, exec_lo, s4
	s_add_u32 s2, s2, 1
	s_addc_u32 s3, s3, 0
	v_cmp_ge_i64_e64 s4, s[2:3], s[24:25]
	s_and_b32 vcc_lo, exec_lo, s4
	s_cbranch_vccnz .LBB259_149
.LBB259_21:                             ; =>This Inner Loop Header: Depth=1
	s_lshl_b64 s[4:5], s[2:3], 3
	s_mul_i32 s95, s2, s17
	s_add_u32 s4, s26, s4
	s_addc_u32 s5, s27, s5
	s_mul_hi_u32 s96, s2, s33
	s_load_dwordx2 s[4:5], s[4:5], 0x0
	s_mul_i32 s97, s3, s33
	s_mul_i32 s94, s2, s33
	v_lshlrev_b32_e32 v63, 3, v0
	s_waitcnt lgkmcnt(0)
	s_sub_u32 s4, s4, s19
	s_subb_u32 s5, s5, 0
	s_sub_u32 s15, s2, s22
	s_mul_i32 s98, s4, s21
	s_mul_hi_u32 s99, s4, s20
	s_subb_u32 s93, s3, s23
	v_add_co_u32 v29, vcc_lo, v9, s15
	s_mul_i32 s5, s5, s20
	s_add_i32 s98, s99, s98
	s_mul_i32 s4, s4, s20
	v_add_co_ci_u32_e64 v30, null, s93, v1, vcc_lo
	s_add_i32 s98, s98, s5
	s_add_u32 s4, s4, s18
	s_addc_u32 s5, s98, 0
	s_add_i32 s95, s96, s95
	v_mul_lo_u32 v31, v29, s21
	v_mad_u64_u32 v[45:46], null, v29, s20, s[36:37]
	s_add_i32 s95, s95, s97
	v_mul_lo_u32 v32, v30, s20
	s_lshl_b64 s[94:95], s[94:95], 3
	v_add_co_u32 v29, s96, s4, v0
	s_add_u32 s94, s30, s94
	v_add_co_ci_u32_e64 v30, null, s5, 0, s96
	s_addc_u32 s95, s31, s95
	v_add_co_u32 v61, s96, s94, v47
	v_add_co_u32 v64, vcc_lo, s94, v11
	v_add_co_ci_u32_e64 v62, null, s95, 0, s96
	v_add3_u32 v46, v32, v46, v31
	v_add_co_ci_u32_e64 v65, null, s95, v12, vcc_lo
	s_and_saveexec_b32 s94, s16
	s_cbranch_execz .LBB259_23
; %bb.22:                               ;   in Loop: Header=BB259_21 Depth=1
	v_add_co_u32 v31, vcc_lo, v64, v63
	v_add_co_ci_u32_e64 v32, null, 0, v65, vcc_lo
	v_add_co_u32 v33, vcc_lo, v61, v13
	v_add_co_ci_u32_e64 v34, null, v62, v14, vcc_lo
	v_cndmask_b32_e64 v31, v33, v31, s0
	v_add_co_u32 v33, vcc_lo, v45, v0
	v_cndmask_b32_e64 v32, v34, v32, s0
	v_add_co_ci_u32_e64 v34, null, 0, v46, vcc_lo
	global_load_dwordx2 v[31:32], v[31:32], off
	v_lshlrev_b64 v[33:34], 3, v[33:34]
	v_add_co_u32 v35, vcc_lo, s34, v33
	v_add_co_ci_u32_e64 v36, null, s35, v34, vcc_lo
	v_add_co_u32 v33, vcc_lo, s28, v33
	v_add_co_ci_u32_e64 v34, null, s29, v34, vcc_lo
	global_store_dwordx2 v[35:36], v[29:30], off
	s_waitcnt vmcnt(0)
	global_store_dwordx2 v[33:34], v[31:32], off
.LBB259_23:                             ;   in Loop: Header=BB259_21 Depth=1
	s_or_b32 exec_lo, exec_lo, s94
	v_add_co_u32 v31, s94, s4, v2
	v_add_co_ci_u32_e64 v32, null, s5, 0, s94
	s_and_saveexec_b32 s94, s42
	s_cbranch_execz .LBB259_25
; %bb.24:                               ;   in Loop: Header=BB259_21 Depth=1
	v_add_co_u32 v33, vcc_lo, v64, v63
	v_add_co_ci_u32_e64 v34, null, 0, v65, vcc_lo
	v_add_co_u32 v33, vcc_lo, 0x100, v33
	v_add_co_ci_u32_e64 v34, null, 0, v34, vcc_lo
	v_add_co_u32 v35, vcc_lo, v61, v15
	v_add_co_ci_u32_e64 v36, null, v62, v16, vcc_lo
	v_cndmask_b32_e64 v33, v35, v33, s0
	v_add_co_u32 v35, vcc_lo, v45, v0
	v_cndmask_b32_e64 v34, v36, v34, s0
	v_add_co_ci_u32_e64 v36, null, 0, v46, vcc_lo
	global_load_dwordx2 v[33:34], v[33:34], off
	v_lshlrev_b64 v[35:36], 3, v[35:36]
	v_add_co_u32 v37, vcc_lo, s34, v35
	v_add_co_ci_u32_e64 v38, null, s35, v36, vcc_lo
	v_add_co_u32 v35, vcc_lo, s28, v35
	v_add_co_ci_u32_e64 v36, null, s29, v36, vcc_lo
	global_store_dwordx2 v[37:38], v[31:32], off offset:256
	s_waitcnt vmcnt(0)
	global_store_dwordx2 v[35:36], v[33:34], off offset:256
.LBB259_25:                             ;   in Loop: Header=BB259_21 Depth=1
	s_or_b32 exec_lo, exec_lo, s94
	v_add_co_u32 v33, s94, s4, v3
	v_add_co_ci_u32_e64 v34, null, s5, 0, s94
	s_and_saveexec_b32 s94, s43
	s_cbranch_execz .LBB259_27
; %bb.26:                               ;   in Loop: Header=BB259_21 Depth=1
	v_add_co_u32 v35, vcc_lo, v64, v63
	v_add_co_ci_u32_e64 v36, null, 0, v65, vcc_lo
	v_add_co_u32 v35, vcc_lo, 0x200, v35
	v_add_co_ci_u32_e64 v36, null, 0, v36, vcc_lo
	v_add_co_u32 v37, vcc_lo, v61, v17
	v_add_co_ci_u32_e64 v38, null, v62, v18, vcc_lo
	v_cndmask_b32_e64 v35, v37, v35, s0
	v_add_co_u32 v37, vcc_lo, v45, v0
	v_cndmask_b32_e64 v36, v38, v36, s0
	v_add_co_ci_u32_e64 v38, null, 0, v46, vcc_lo
	global_load_dwordx2 v[35:36], v[35:36], off
	v_lshlrev_b64 v[37:38], 3, v[37:38]
	v_add_co_u32 v39, vcc_lo, s34, v37
	v_add_co_ci_u32_e64 v40, null, s35, v38, vcc_lo
	v_add_co_u32 v37, vcc_lo, s28, v37
	v_add_co_ci_u32_e64 v38, null, s29, v38, vcc_lo
	global_store_dwordx2 v[39:40], v[33:34], off offset:512
	s_waitcnt vmcnt(0)
	global_store_dwordx2 v[37:38], v[35:36], off offset:512
.LBB259_27:                             ;   in Loop: Header=BB259_21 Depth=1
	s_or_b32 exec_lo, exec_lo, s94
	v_add_co_u32 v35, s94, s4, v4
	v_add_co_ci_u32_e64 v36, null, s5, 0, s94
	s_and_saveexec_b32 s94, s44
	s_cbranch_execz .LBB259_29
; %bb.28:                               ;   in Loop: Header=BB259_21 Depth=1
	v_add_co_u32 v37, vcc_lo, v64, v63
	v_add_co_ci_u32_e64 v38, null, 0, v65, vcc_lo
	v_add_co_u32 v37, vcc_lo, 0x300, v37
	v_add_co_ci_u32_e64 v38, null, 0, v38, vcc_lo
	v_add_co_u32 v39, vcc_lo, v61, v19
	v_add_co_ci_u32_e64 v40, null, v62, v20, vcc_lo
	v_cndmask_b32_e64 v37, v39, v37, s0
	v_add_co_u32 v39, vcc_lo, v45, v0
	v_cndmask_b32_e64 v38, v40, v38, s0
	v_add_co_ci_u32_e64 v40, null, 0, v46, vcc_lo
	global_load_dwordx2 v[37:38], v[37:38], off
	v_lshlrev_b64 v[39:40], 3, v[39:40]
	v_add_co_u32 v41, vcc_lo, s34, v39
	v_add_co_ci_u32_e64 v42, null, s35, v40, vcc_lo
	v_add_co_u32 v39, vcc_lo, s28, v39
	v_add_co_ci_u32_e64 v40, null, s29, v40, vcc_lo
	global_store_dwordx2 v[41:42], v[35:36], off offset:768
	s_waitcnt vmcnt(0)
	global_store_dwordx2 v[39:40], v[37:38], off offset:768
.LBB259_29:                             ;   in Loop: Header=BB259_21 Depth=1
	s_or_b32 exec_lo, exec_lo, s94
	v_add_co_u32 v37, s94, s4, v5
	v_add_co_ci_u32_e64 v38, null, s5, 0, s94
	s_and_saveexec_b32 s94, s45
	s_cbranch_execz .LBB259_31
; %bb.30:                               ;   in Loop: Header=BB259_21 Depth=1
	v_add_co_u32 v39, vcc_lo, v64, v63
	v_add_co_ci_u32_e64 v40, null, 0, v65, vcc_lo
	v_add_co_u32 v39, vcc_lo, 0x400, v39
	v_add_co_ci_u32_e64 v40, null, 0, v40, vcc_lo
	v_add_co_u32 v41, vcc_lo, v61, v21
	v_add_co_ci_u32_e64 v42, null, v62, v22, vcc_lo
	v_cndmask_b32_e64 v39, v41, v39, s0
	v_add_co_u32 v41, vcc_lo, v45, v0
	v_cndmask_b32_e64 v40, v42, v40, s0
	v_add_co_ci_u32_e64 v42, null, 0, v46, vcc_lo
	global_load_dwordx2 v[39:40], v[39:40], off
	v_lshlrev_b64 v[41:42], 3, v[41:42]
	v_add_co_u32 v43, vcc_lo, s34, v41
	v_add_co_ci_u32_e64 v44, null, s35, v42, vcc_lo
	v_add_co_u32 v41, vcc_lo, s28, v41
	v_add_co_ci_u32_e64 v42, null, s29, v42, vcc_lo
	global_store_dwordx2 v[43:44], v[37:38], off offset:1024
	s_waitcnt vmcnt(0)
	global_store_dwordx2 v[41:42], v[39:40], off offset:1024
.LBB259_31:                             ;   in Loop: Header=BB259_21 Depth=1
	s_or_b32 exec_lo, exec_lo, s94
	v_add_co_u32 v39, s94, s4, v6
	v_add_co_ci_u32_e64 v40, null, s5, 0, s94
	s_and_saveexec_b32 s94, s46
	s_cbranch_execz .LBB259_33
; %bb.32:                               ;   in Loop: Header=BB259_21 Depth=1
	v_add_co_u32 v41, vcc_lo, v64, v63
	v_add_co_ci_u32_e64 v42, null, 0, v65, vcc_lo
	v_add_co_u32 v41, vcc_lo, 0x500, v41
	v_add_co_ci_u32_e64 v42, null, 0, v42, vcc_lo
	v_add_co_u32 v43, vcc_lo, v61, v23
	v_add_co_ci_u32_e64 v44, null, v62, v24, vcc_lo
	v_cndmask_b32_e64 v41, v43, v41, s0
	v_add_co_u32 v43, vcc_lo, v45, v0
	v_cndmask_b32_e64 v42, v44, v42, s0
	v_add_co_ci_u32_e64 v44, null, 0, v46, vcc_lo
	global_load_dwordx2 v[41:42], v[41:42], off
	v_lshlrev_b64 v[43:44], 3, v[43:44]
	v_add_co_u32 v66, vcc_lo, s34, v43
	v_add_co_ci_u32_e64 v67, null, s35, v44, vcc_lo
	v_add_co_u32 v43, vcc_lo, s28, v43
	v_add_co_ci_u32_e64 v44, null, s29, v44, vcc_lo
	global_store_dwordx2 v[66:67], v[39:40], off offset:1280
	s_waitcnt vmcnt(0)
	global_store_dwordx2 v[43:44], v[41:42], off offset:1280
.LBB259_33:                             ;   in Loop: Header=BB259_21 Depth=1
	s_or_b32 exec_lo, exec_lo, s94
	v_add_co_u32 v41, s94, s4, v7
	v_add_co_ci_u32_e64 v42, null, s5, 0, s94
	s_and_saveexec_b32 s94, s47
	s_cbranch_execz .LBB259_35
; %bb.34:                               ;   in Loop: Header=BB259_21 Depth=1
	v_add_co_u32 v43, vcc_lo, v64, v63
	v_add_co_ci_u32_e64 v44, null, 0, v65, vcc_lo
	v_add_co_u32 v43, vcc_lo, 0x600, v43
	v_add_co_ci_u32_e64 v44, null, 0, v44, vcc_lo
	v_add_co_u32 v66, vcc_lo, v61, v25
	v_add_co_ci_u32_e64 v67, null, v62, v26, vcc_lo
	v_cndmask_b32_e64 v43, v66, v43, s0
	v_add_co_u32 v66, vcc_lo, v45, v0
	v_cndmask_b32_e64 v44, v67, v44, s0
	v_add_co_ci_u32_e64 v67, null, 0, v46, vcc_lo
	global_load_dwordx2 v[43:44], v[43:44], off
	v_lshlrev_b64 v[66:67], 3, v[66:67]
	v_add_co_u32 v68, vcc_lo, s34, v66
	v_add_co_ci_u32_e64 v69, null, s35, v67, vcc_lo
	v_add_co_u32 v66, vcc_lo, s28, v66
	v_add_co_ci_u32_e64 v67, null, s29, v67, vcc_lo
	global_store_dwordx2 v[68:69], v[41:42], off offset:1536
	s_waitcnt vmcnt(0)
	global_store_dwordx2 v[66:67], v[43:44], off offset:1536
.LBB259_35:                             ;   in Loop: Header=BB259_21 Depth=1
	s_or_b32 exec_lo, exec_lo, s94
	v_add_co_u32 v43, s4, s4, v10
	v_add_co_ci_u32_e64 v44, null, s5, 0, s4
	s_and_saveexec_b32 s4, s48
	s_cbranch_execz .LBB259_37
; %bb.36:                               ;   in Loop: Header=BB259_21 Depth=1
	v_add_co_u32 v66, vcc_lo, v64, v63
	v_add_co_ci_u32_e64 v67, null, 0, v65, vcc_lo
	v_add_co_u32 v66, vcc_lo, 0x700, v66
	v_add_co_ci_u32_e64 v67, null, 0, v67, vcc_lo
	v_add_co_u32 v68, vcc_lo, v61, v27
	v_add_co_ci_u32_e64 v69, null, v62, v28, vcc_lo
	v_add_co_u32 v45, vcc_lo, v45, v0
	v_cndmask_b32_e64 v66, v68, v66, s0
	v_cndmask_b32_e64 v67, v69, v67, s0
	v_add_co_ci_u32_e64 v46, null, 0, v46, vcc_lo
	global_load_dwordx2 v[66:67], v[66:67], off
	v_lshlrev_b64 v[45:46], 3, v[45:46]
	v_add_co_u32 v68, vcc_lo, s34, v45
	v_add_co_ci_u32_e64 v69, null, s35, v46, vcc_lo
	v_add_co_u32 v45, vcc_lo, s28, v45
	v_add_co_ci_u32_e64 v46, null, s29, v46, vcc_lo
	global_store_dwordx2 v[68:69], v[43:44], off offset:1792
	s_waitcnt vmcnt(0)
	global_store_dwordx2 v[45:46], v[66:67], off offset:1792
.LBB259_37:                             ;   in Loop: Header=BB259_21 Depth=1
	s_or_b32 exec_lo, exec_lo, s4
	v_add_co_u32 v45, vcc_lo, v8, s15
	v_add_co_ci_u32_e64 v46, null, s93, v48, vcc_lo
	s_lshl_b64 s[4:5], s[38:39], 3
	v_mul_lo_u32 v66, v45, s21
	v_add_co_u32 v64, vcc_lo, v64, s4
	v_mul_lo_u32 v67, v46, s20
	v_mad_u64_u32 v[45:46], null, v45, s20, s[36:37]
	v_add_co_ci_u32_e64 v65, null, s5, v65, vcc_lo
	v_add3_u32 v46, v67, v46, v66
	s_and_saveexec_b32 s94, s40
	s_cbranch_execnz .LBB259_99
; %bb.38:                               ;   in Loop: Header=BB259_21 Depth=1
	s_or_b32 exec_lo, exec_lo, s94
	s_and_saveexec_b32 s94, s41
	s_cbranch_execnz .LBB259_100
.LBB259_39:                             ;   in Loop: Header=BB259_21 Depth=1
	s_or_b32 exec_lo, exec_lo, s94
	s_and_saveexec_b32 s94, s49
	s_cbranch_execnz .LBB259_101
.LBB259_40:                             ;   in Loop: Header=BB259_21 Depth=1
	s_or_b32 exec_lo, exec_lo, s94
	s_and_saveexec_b32 s94, s50
	s_cbranch_execnz .LBB259_102
.LBB259_41:                             ;   in Loop: Header=BB259_21 Depth=1
	s_or_b32 exec_lo, exec_lo, s94
	s_and_saveexec_b32 s94, s51
	s_cbranch_execnz .LBB259_103
.LBB259_42:                             ;   in Loop: Header=BB259_21 Depth=1
	s_or_b32 exec_lo, exec_lo, s94
	s_and_saveexec_b32 s94, s52
	s_cbranch_execnz .LBB259_104
.LBB259_43:                             ;   in Loop: Header=BB259_21 Depth=1
	s_or_b32 exec_lo, exec_lo, s94
	s_and_saveexec_b32 s94, s53
	s_cbranch_execnz .LBB259_105
.LBB259_44:                             ;   in Loop: Header=BB259_21 Depth=1
	s_or_b32 exec_lo, exec_lo, s94
	s_and_saveexec_b32 s94, s54
	s_cbranch_execz .LBB259_46
.LBB259_45:                             ;   in Loop: Header=BB259_21 Depth=1
	v_add_co_u32 v66, vcc_lo, v64, v63
	v_add_co_ci_u32_e64 v67, null, 0, v65, vcc_lo
	v_add_co_u32 v68, vcc_lo, v61, v27
	v_add_co_ci_u32_e64 v69, null, v62, v28, vcc_lo
	;; [unrolled: 2-line block ×4, first 2 shown]
	v_add_co_u32 v45, vcc_lo, v45, v0
	v_cndmask_b32_e64 v66, v68, v66, s0
	v_cndmask_b32_e64 v67, v69, v67, s0
	v_add_co_ci_u32_e64 v46, null, 0, v46, vcc_lo
	global_load_dwordx2 v[66:67], v[66:67], off
	v_lshlrev_b64 v[45:46], 3, v[45:46]
	v_add_co_u32 v68, vcc_lo, s34, v45
	v_add_co_ci_u32_e64 v69, null, s35, v46, vcc_lo
	v_add_co_u32 v45, vcc_lo, s28, v45
	v_add_co_ci_u32_e64 v46, null, s29, v46, vcc_lo
	global_store_dwordx2 v[68:69], v[43:44], off offset:1792
	s_waitcnt vmcnt(0)
	global_store_dwordx2 v[45:46], v[66:67], off offset:1792
.LBB259_46:                             ;   in Loop: Header=BB259_21 Depth=1
	s_or_b32 exec_lo, exec_lo, s94
	v_add_co_u32 v45, vcc_lo, v49, s15
	v_add_co_ci_u32_e64 v46, null, s93, v50, vcc_lo
	v_add_co_u32 v64, vcc_lo, v64, s4
	v_mul_lo_u32 v66, v45, s21
	v_mul_lo_u32 v67, v46, s20
	v_mad_u64_u32 v[45:46], null, v45, s20, s[36:37]
	v_add_co_ci_u32_e64 v65, null, s5, v65, vcc_lo
	v_add3_u32 v46, v67, v46, v66
	s_and_saveexec_b32 s94, s55
	s_cbranch_execnz .LBB259_106
; %bb.47:                               ;   in Loop: Header=BB259_21 Depth=1
	s_or_b32 exec_lo, exec_lo, s94
	s_and_saveexec_b32 s94, s56
	s_cbranch_execnz .LBB259_107
.LBB259_48:                             ;   in Loop: Header=BB259_21 Depth=1
	s_or_b32 exec_lo, exec_lo, s94
	s_and_saveexec_b32 s94, s57
	s_cbranch_execnz .LBB259_108
.LBB259_49:                             ;   in Loop: Header=BB259_21 Depth=1
	s_or_b32 exec_lo, exec_lo, s94
	s_and_saveexec_b32 s94, s58
	s_cbranch_execnz .LBB259_109
.LBB259_50:                             ;   in Loop: Header=BB259_21 Depth=1
	s_or_b32 exec_lo, exec_lo, s94
	s_and_saveexec_b32 s94, s59
	s_cbranch_execnz .LBB259_110
.LBB259_51:                             ;   in Loop: Header=BB259_21 Depth=1
	s_or_b32 exec_lo, exec_lo, s94
	s_and_saveexec_b32 s94, s60
	s_cbranch_execnz .LBB259_111
.LBB259_52:                             ;   in Loop: Header=BB259_21 Depth=1
	s_or_b32 exec_lo, exec_lo, s94
	s_and_saveexec_b32 s94, s61
	s_cbranch_execnz .LBB259_112
.LBB259_53:                             ;   in Loop: Header=BB259_21 Depth=1
	s_or_b32 exec_lo, exec_lo, s94
	s_and_saveexec_b32 s94, s62
	s_cbranch_execz .LBB259_55
.LBB259_54:                             ;   in Loop: Header=BB259_21 Depth=1
	v_add_co_u32 v66, vcc_lo, v64, v63
	v_add_co_ci_u32_e64 v67, null, 0, v65, vcc_lo
	v_add_co_u32 v68, vcc_lo, v61, v27
	v_add_co_ci_u32_e64 v69, null, v62, v28, vcc_lo
	;; [unrolled: 2-line block ×4, first 2 shown]
	v_add_co_u32 v45, vcc_lo, v45, v0
	v_cndmask_b32_e64 v66, v68, v66, s0
	v_cndmask_b32_e64 v67, v69, v67, s0
	v_add_co_ci_u32_e64 v46, null, 0, v46, vcc_lo
	global_load_dwordx2 v[66:67], v[66:67], off
	v_lshlrev_b64 v[45:46], 3, v[45:46]
	v_add_co_u32 v68, vcc_lo, s34, v45
	v_add_co_ci_u32_e64 v69, null, s35, v46, vcc_lo
	v_add_co_u32 v45, vcc_lo, s28, v45
	v_add_co_ci_u32_e64 v46, null, s29, v46, vcc_lo
	global_store_dwordx2 v[68:69], v[43:44], off offset:1792
	s_waitcnt vmcnt(0)
	global_store_dwordx2 v[45:46], v[66:67], off offset:1792
.LBB259_55:                             ;   in Loop: Header=BB259_21 Depth=1
	s_or_b32 exec_lo, exec_lo, s94
	v_add_co_u32 v45, vcc_lo, v51, s15
	v_add_co_ci_u32_e64 v46, null, s93, v52, vcc_lo
	v_add_co_u32 v64, vcc_lo, v64, s4
	v_mul_lo_u32 v66, v45, s21
	v_mul_lo_u32 v67, v46, s20
	v_mad_u64_u32 v[45:46], null, v45, s20, s[36:37]
	v_add_co_ci_u32_e64 v65, null, s5, v65, vcc_lo
	v_add3_u32 v46, v67, v46, v66
	s_and_saveexec_b32 s94, s63
	s_cbranch_execnz .LBB259_113
; %bb.56:                               ;   in Loop: Header=BB259_21 Depth=1
	s_or_b32 exec_lo, exec_lo, s94
	s_and_saveexec_b32 s94, s64
	s_cbranch_execnz .LBB259_114
.LBB259_57:                             ;   in Loop: Header=BB259_21 Depth=1
	s_or_b32 exec_lo, exec_lo, s94
	s_and_saveexec_b32 s94, s65
	s_cbranch_execnz .LBB259_115
.LBB259_58:                             ;   in Loop: Header=BB259_21 Depth=1
	s_or_b32 exec_lo, exec_lo, s94
	s_and_saveexec_b32 s94, s66
	s_cbranch_execnz .LBB259_116
.LBB259_59:                             ;   in Loop: Header=BB259_21 Depth=1
	s_or_b32 exec_lo, exec_lo, s94
	s_and_saveexec_b32 s94, s67
	s_cbranch_execnz .LBB259_117
.LBB259_60:                             ;   in Loop: Header=BB259_21 Depth=1
	s_or_b32 exec_lo, exec_lo, s94
	s_and_saveexec_b32 s94, s68
	s_cbranch_execnz .LBB259_118
.LBB259_61:                             ;   in Loop: Header=BB259_21 Depth=1
	s_or_b32 exec_lo, exec_lo, s94
	s_and_saveexec_b32 s94, s69
	s_cbranch_execnz .LBB259_119
.LBB259_62:                             ;   in Loop: Header=BB259_21 Depth=1
	s_or_b32 exec_lo, exec_lo, s94
	s_and_saveexec_b32 s94, s6
	s_cbranch_execz .LBB259_64
.LBB259_63:                             ;   in Loop: Header=BB259_21 Depth=1
	v_add_co_u32 v66, vcc_lo, v64, v63
	v_add_co_ci_u32_e64 v67, null, 0, v65, vcc_lo
	v_add_co_u32 v68, vcc_lo, v61, v27
	v_add_co_ci_u32_e64 v69, null, v62, v28, vcc_lo
	;; [unrolled: 2-line block ×4, first 2 shown]
	v_add_co_u32 v45, vcc_lo, v45, v0
	v_cndmask_b32_e64 v66, v68, v66, s0
	v_cndmask_b32_e64 v67, v69, v67, s0
	v_add_co_ci_u32_e64 v46, null, 0, v46, vcc_lo
	global_load_dwordx2 v[66:67], v[66:67], off
	v_lshlrev_b64 v[45:46], 3, v[45:46]
	v_add_co_u32 v68, vcc_lo, s34, v45
	v_add_co_ci_u32_e64 v69, null, s35, v46, vcc_lo
	v_add_co_u32 v45, vcc_lo, s28, v45
	v_add_co_ci_u32_e64 v46, null, s29, v46, vcc_lo
	global_store_dwordx2 v[68:69], v[43:44], off offset:1792
	s_waitcnt vmcnt(0)
	global_store_dwordx2 v[45:46], v[66:67], off offset:1792
.LBB259_64:                             ;   in Loop: Header=BB259_21 Depth=1
	s_or_b32 exec_lo, exec_lo, s94
	v_add_co_u32 v45, vcc_lo, v53, s15
	v_add_co_ci_u32_e64 v46, null, s93, v54, vcc_lo
	v_add_co_u32 v64, vcc_lo, v64, s4
	v_mul_lo_u32 v66, v45, s21
	v_mul_lo_u32 v67, v46, s20
	v_mad_u64_u32 v[45:46], null, v45, s20, s[36:37]
	v_add_co_ci_u32_e64 v65, null, s5, v65, vcc_lo
	v_add3_u32 v46, v67, v46, v66
	s_and_saveexec_b32 s94, s70
	s_cbranch_execnz .LBB259_120
; %bb.65:                               ;   in Loop: Header=BB259_21 Depth=1
	s_or_b32 exec_lo, exec_lo, s94
	s_and_saveexec_b32 s94, s71
	s_cbranch_execnz .LBB259_121
.LBB259_66:                             ;   in Loop: Header=BB259_21 Depth=1
	s_or_b32 exec_lo, exec_lo, s94
	s_and_saveexec_b32 s94, s72
	s_cbranch_execnz .LBB259_122
.LBB259_67:                             ;   in Loop: Header=BB259_21 Depth=1
	s_or_b32 exec_lo, exec_lo, s94
	s_and_saveexec_b32 s94, s73
	s_cbranch_execnz .LBB259_123
.LBB259_68:                             ;   in Loop: Header=BB259_21 Depth=1
	s_or_b32 exec_lo, exec_lo, s94
	s_and_saveexec_b32 s94, s74
	s_cbranch_execnz .LBB259_124
.LBB259_69:                             ;   in Loop: Header=BB259_21 Depth=1
	s_or_b32 exec_lo, exec_lo, s94
	s_and_saveexec_b32 s94, s75
	s_cbranch_execnz .LBB259_125
.LBB259_70:                             ;   in Loop: Header=BB259_21 Depth=1
	s_or_b32 exec_lo, exec_lo, s94
	s_and_saveexec_b32 s94, s76
	s_cbranch_execnz .LBB259_126
.LBB259_71:                             ;   in Loop: Header=BB259_21 Depth=1
	s_or_b32 exec_lo, exec_lo, s94
	s_and_saveexec_b32 s94, s7
	s_cbranch_execz .LBB259_73
.LBB259_72:                             ;   in Loop: Header=BB259_21 Depth=1
	v_add_co_u32 v66, vcc_lo, v64, v63
	v_add_co_ci_u32_e64 v67, null, 0, v65, vcc_lo
	v_add_co_u32 v68, vcc_lo, v61, v27
	v_add_co_ci_u32_e64 v69, null, v62, v28, vcc_lo
	;; [unrolled: 2-line block ×4, first 2 shown]
	v_add_co_u32 v45, vcc_lo, v45, v0
	v_cndmask_b32_e64 v66, v68, v66, s0
	v_cndmask_b32_e64 v67, v69, v67, s0
	v_add_co_ci_u32_e64 v46, null, 0, v46, vcc_lo
	global_load_dwordx2 v[66:67], v[66:67], off
	v_lshlrev_b64 v[45:46], 3, v[45:46]
	v_add_co_u32 v68, vcc_lo, s34, v45
	v_add_co_ci_u32_e64 v69, null, s35, v46, vcc_lo
	v_add_co_u32 v45, vcc_lo, s28, v45
	v_add_co_ci_u32_e64 v46, null, s29, v46, vcc_lo
	global_store_dwordx2 v[68:69], v[43:44], off offset:1792
	s_waitcnt vmcnt(0)
	global_store_dwordx2 v[45:46], v[66:67], off offset:1792
.LBB259_73:                             ;   in Loop: Header=BB259_21 Depth=1
	s_or_b32 exec_lo, exec_lo, s94
	v_add_co_u32 v45, vcc_lo, v55, s15
	v_add_co_ci_u32_e64 v46, null, s93, v56, vcc_lo
	v_add_co_u32 v64, vcc_lo, v64, s4
	v_mul_lo_u32 v66, v45, s21
	v_mul_lo_u32 v67, v46, s20
	v_mad_u64_u32 v[45:46], null, v45, s20, s[36:37]
	v_add_co_ci_u32_e64 v65, null, s5, v65, vcc_lo
	v_add3_u32 v46, v67, v46, v66
	s_and_saveexec_b32 s94, s77
	s_cbranch_execnz .LBB259_127
; %bb.74:                               ;   in Loop: Header=BB259_21 Depth=1
	s_or_b32 exec_lo, exec_lo, s94
	s_and_saveexec_b32 s94, s78
	s_cbranch_execnz .LBB259_128
.LBB259_75:                             ;   in Loop: Header=BB259_21 Depth=1
	s_or_b32 exec_lo, exec_lo, s94
	s_and_saveexec_b32 s94, s79
	s_cbranch_execnz .LBB259_129
.LBB259_76:                             ;   in Loop: Header=BB259_21 Depth=1
	s_or_b32 exec_lo, exec_lo, s94
	s_and_saveexec_b32 s94, s80
	s_cbranch_execnz .LBB259_130
.LBB259_77:                             ;   in Loop: Header=BB259_21 Depth=1
	s_or_b32 exec_lo, exec_lo, s94
	s_and_saveexec_b32 s94, s81
	s_cbranch_execnz .LBB259_131
.LBB259_78:                             ;   in Loop: Header=BB259_21 Depth=1
	s_or_b32 exec_lo, exec_lo, s94
	s_and_saveexec_b32 s94, s82
	s_cbranch_execnz .LBB259_132
.LBB259_79:                             ;   in Loop: Header=BB259_21 Depth=1
	s_or_b32 exec_lo, exec_lo, s94
	s_and_saveexec_b32 s94, s83
	s_cbranch_execnz .LBB259_133
.LBB259_80:                             ;   in Loop: Header=BB259_21 Depth=1
	s_or_b32 exec_lo, exec_lo, s94
	s_and_saveexec_b32 s94, s8
	s_cbranch_execz .LBB259_82
.LBB259_81:                             ;   in Loop: Header=BB259_21 Depth=1
	v_add_co_u32 v66, vcc_lo, v64, v63
	v_add_co_ci_u32_e64 v67, null, 0, v65, vcc_lo
	v_add_co_u32 v68, vcc_lo, v61, v27
	v_add_co_ci_u32_e64 v69, null, v62, v28, vcc_lo
	;; [unrolled: 2-line block ×4, first 2 shown]
	v_add_co_u32 v45, vcc_lo, v45, v0
	v_cndmask_b32_e64 v66, v68, v66, s0
	v_cndmask_b32_e64 v67, v69, v67, s0
	v_add_co_ci_u32_e64 v46, null, 0, v46, vcc_lo
	global_load_dwordx2 v[66:67], v[66:67], off
	v_lshlrev_b64 v[45:46], 3, v[45:46]
	v_add_co_u32 v68, vcc_lo, s34, v45
	v_add_co_ci_u32_e64 v69, null, s35, v46, vcc_lo
	v_add_co_u32 v45, vcc_lo, s28, v45
	v_add_co_ci_u32_e64 v46, null, s29, v46, vcc_lo
	global_store_dwordx2 v[68:69], v[43:44], off offset:1792
	s_waitcnt vmcnt(0)
	global_store_dwordx2 v[45:46], v[66:67], off offset:1792
.LBB259_82:                             ;   in Loop: Header=BB259_21 Depth=1
	s_or_b32 exec_lo, exec_lo, s94
	v_add_co_u32 v45, vcc_lo, v57, s15
	v_add_co_ci_u32_e64 v46, null, s93, v58, vcc_lo
	v_add_co_u32 v64, vcc_lo, v64, s4
	v_mul_lo_u32 v66, v45, s21
	v_mul_lo_u32 v67, v46, s20
	v_mad_u64_u32 v[45:46], null, v45, s20, s[36:37]
	v_add_co_ci_u32_e64 v65, null, s5, v65, vcc_lo
	v_add3_u32 v46, v67, v46, v66
	s_and_saveexec_b32 s94, s84
	s_cbranch_execnz .LBB259_134
; %bb.83:                               ;   in Loop: Header=BB259_21 Depth=1
	s_or_b32 exec_lo, exec_lo, s94
	s_and_saveexec_b32 s94, s85
	s_cbranch_execnz .LBB259_135
.LBB259_84:                             ;   in Loop: Header=BB259_21 Depth=1
	s_or_b32 exec_lo, exec_lo, s94
	s_and_saveexec_b32 s94, s86
	s_cbranch_execnz .LBB259_136
.LBB259_85:                             ;   in Loop: Header=BB259_21 Depth=1
	s_or_b32 exec_lo, exec_lo, s94
	s_and_saveexec_b32 s94, s87
	s_cbranch_execnz .LBB259_137
.LBB259_86:                             ;   in Loop: Header=BB259_21 Depth=1
	s_or_b32 exec_lo, exec_lo, s94
	s_and_saveexec_b32 s94, s88
	s_cbranch_execnz .LBB259_138
.LBB259_87:                             ;   in Loop: Header=BB259_21 Depth=1
	s_or_b32 exec_lo, exec_lo, s94
	s_and_saveexec_b32 s94, s89
	s_cbranch_execnz .LBB259_139
.LBB259_88:                             ;   in Loop: Header=BB259_21 Depth=1
	s_or_b32 exec_lo, exec_lo, s94
	s_and_saveexec_b32 s94, s90
	s_cbranch_execnz .LBB259_140
.LBB259_89:                             ;   in Loop: Header=BB259_21 Depth=1
	s_or_b32 exec_lo, exec_lo, s94
	s_and_saveexec_b32 s94, s10
	s_cbranch_execz .LBB259_91
.LBB259_90:                             ;   in Loop: Header=BB259_21 Depth=1
	v_add_co_u32 v66, vcc_lo, v64, v63
	v_add_co_ci_u32_e64 v67, null, 0, v65, vcc_lo
	v_add_co_u32 v68, vcc_lo, v61, v27
	v_add_co_ci_u32_e64 v69, null, v62, v28, vcc_lo
	;; [unrolled: 2-line block ×4, first 2 shown]
	v_add_co_u32 v45, vcc_lo, v45, v0
	v_cndmask_b32_e64 v66, v68, v66, s0
	v_cndmask_b32_e64 v67, v69, v67, s0
	v_add_co_ci_u32_e64 v46, null, 0, v46, vcc_lo
	global_load_dwordx2 v[66:67], v[66:67], off
	v_lshlrev_b64 v[45:46], 3, v[45:46]
	v_add_co_u32 v68, vcc_lo, s34, v45
	v_add_co_ci_u32_e64 v69, null, s35, v46, vcc_lo
	v_add_co_u32 v45, vcc_lo, s28, v45
	v_add_co_ci_u32_e64 v46, null, s29, v46, vcc_lo
	global_store_dwordx2 v[68:69], v[43:44], off offset:1792
	s_waitcnt vmcnt(0)
	global_store_dwordx2 v[45:46], v[66:67], off offset:1792
.LBB259_91:                             ;   in Loop: Header=BB259_21 Depth=1
	s_or_b32 exec_lo, exec_lo, s94
	v_add_co_u32 v45, vcc_lo, v59, s15
	v_add_co_ci_u32_e64 v46, null, s93, v60, vcc_lo
	v_add_co_u32 v64, vcc_lo, v64, s4
	v_mul_lo_u32 v66, v45, s21
	v_mul_lo_u32 v67, v46, s20
	v_mad_u64_u32 v[45:46], null, v45, s20, s[36:37]
	v_add_co_ci_u32_e64 v65, null, s5, v65, vcc_lo
	v_add3_u32 v46, v67, v46, v66
	s_and_saveexec_b32 s4, s1
	s_cbranch_execnz .LBB259_141
; %bb.92:                               ;   in Loop: Header=BB259_21 Depth=1
	s_or_b32 exec_lo, exec_lo, s4
	s_and_saveexec_b32 s4, s91
	s_cbranch_execnz .LBB259_142
.LBB259_93:                             ;   in Loop: Header=BB259_21 Depth=1
	s_or_b32 exec_lo, exec_lo, s4
	s_and_saveexec_b32 s4, s92
	s_cbranch_execnz .LBB259_143
.LBB259_94:                             ;   in Loop: Header=BB259_21 Depth=1
	s_or_b32 exec_lo, exec_lo, s4
	s_and_saveexec_b32 s4, s11
	s_cbranch_execnz .LBB259_144
.LBB259_95:                             ;   in Loop: Header=BB259_21 Depth=1
	s_or_b32 exec_lo, exec_lo, s4
	s_and_saveexec_b32 s4, s12
	s_cbranch_execnz .LBB259_145
.LBB259_96:                             ;   in Loop: Header=BB259_21 Depth=1
	s_or_b32 exec_lo, exec_lo, s4
	s_and_saveexec_b32 s4, s13
	s_cbranch_execnz .LBB259_146
.LBB259_97:                             ;   in Loop: Header=BB259_21 Depth=1
	s_or_b32 exec_lo, exec_lo, s4
	s_and_saveexec_b32 s4, s14
	s_cbranch_execnz .LBB259_147
.LBB259_98:                             ;   in Loop: Header=BB259_21 Depth=1
	s_or_b32 exec_lo, exec_lo, s4
	s_and_saveexec_b32 s4, s9
	s_cbranch_execz .LBB259_20
	s_branch .LBB259_148
.LBB259_99:                             ;   in Loop: Header=BB259_21 Depth=1
	v_add_co_u32 v66, vcc_lo, v61, v13
	v_add_co_ci_u32_e64 v67, null, v62, v14, vcc_lo
	v_add_co_u32 v68, vcc_lo, v64, v63
	v_add_co_ci_u32_e64 v69, null, 0, v65, vcc_lo
	v_add_co_u32 v66, vcc_lo, 0x100, v66
	v_add_co_ci_u32_e64 v67, null, 0, v67, vcc_lo
	v_cndmask_b32_e64 v66, v66, v68, s0
	v_add_co_u32 v68, vcc_lo, v45, v0
	v_cndmask_b32_e64 v67, v67, v69, s0
	v_add_co_ci_u32_e64 v69, null, 0, v46, vcc_lo
	global_load_dwordx2 v[66:67], v[66:67], off
	v_lshlrev_b64 v[68:69], 3, v[68:69]
	v_add_co_u32 v70, vcc_lo, s34, v68
	v_add_co_ci_u32_e64 v71, null, s35, v69, vcc_lo
	v_add_co_u32 v68, vcc_lo, s28, v68
	v_add_co_ci_u32_e64 v69, null, s29, v69, vcc_lo
	global_store_dwordx2 v[70:71], v[29:30], off
	s_waitcnt vmcnt(0)
	global_store_dwordx2 v[68:69], v[66:67], off
	s_or_b32 exec_lo, exec_lo, s94
	s_and_saveexec_b32 s94, s41
	s_cbranch_execz .LBB259_39
.LBB259_100:                            ;   in Loop: Header=BB259_21 Depth=1
	v_add_co_u32 v66, vcc_lo, v64, v63
	v_add_co_ci_u32_e64 v67, null, 0, v65, vcc_lo
	v_add_co_u32 v68, vcc_lo, v61, v15
	v_add_co_ci_u32_e64 v69, null, v62, v16, vcc_lo
	v_cndmask_b32_e64 v66, v68, v66, s0
	v_add_co_u32 v68, vcc_lo, v45, v0
	v_cndmask_b32_e64 v67, v69, v67, s0
	v_add_co_ci_u32_e64 v69, null, 0, v46, vcc_lo
	global_load_dwordx2 v[66:67], v[66:67], off offset:256
	v_lshlrev_b64 v[68:69], 3, v[68:69]
	v_add_co_u32 v70, vcc_lo, s34, v68
	v_add_co_ci_u32_e64 v71, null, s35, v69, vcc_lo
	v_add_co_u32 v68, vcc_lo, s28, v68
	v_add_co_ci_u32_e64 v69, null, s29, v69, vcc_lo
	global_store_dwordx2 v[70:71], v[31:32], off offset:256
	s_waitcnt vmcnt(0)
	global_store_dwordx2 v[68:69], v[66:67], off offset:256
	s_or_b32 exec_lo, exec_lo, s94
	s_and_saveexec_b32 s94, s49
	s_cbranch_execz .LBB259_40
.LBB259_101:                            ;   in Loop: Header=BB259_21 Depth=1
	v_add_co_u32 v66, vcc_lo, v64, v63
	v_add_co_ci_u32_e64 v67, null, 0, v65, vcc_lo
	v_add_co_u32 v68, vcc_lo, v61, v17
	v_add_co_ci_u32_e64 v69, null, v62, v18, vcc_lo
	;; [unrolled: 2-line block ×4, first 2 shown]
	v_cndmask_b32_e64 v66, v68, v66, s0
	v_add_co_u32 v68, vcc_lo, v45, v0
	v_cndmask_b32_e64 v67, v69, v67, s0
	v_add_co_ci_u32_e64 v69, null, 0, v46, vcc_lo
	global_load_dwordx2 v[66:67], v[66:67], off
	v_lshlrev_b64 v[68:69], 3, v[68:69]
	v_add_co_u32 v70, vcc_lo, s34, v68
	v_add_co_ci_u32_e64 v71, null, s35, v69, vcc_lo
	v_add_co_u32 v68, vcc_lo, s28, v68
	v_add_co_ci_u32_e64 v69, null, s29, v69, vcc_lo
	global_store_dwordx2 v[70:71], v[33:34], off offset:512
	s_waitcnt vmcnt(0)
	global_store_dwordx2 v[68:69], v[66:67], off offset:512
	s_or_b32 exec_lo, exec_lo, s94
	s_and_saveexec_b32 s94, s50
	s_cbranch_execz .LBB259_41
.LBB259_102:                            ;   in Loop: Header=BB259_21 Depth=1
	v_add_co_u32 v66, vcc_lo, v64, v63
	v_add_co_ci_u32_e64 v67, null, 0, v65, vcc_lo
	v_add_co_u32 v68, vcc_lo, v61, v19
	v_add_co_ci_u32_e64 v69, null, v62, v20, vcc_lo
	;; [unrolled: 2-line block ×4, first 2 shown]
	v_cndmask_b32_e64 v66, v68, v66, s0
	v_add_co_u32 v68, vcc_lo, v45, v0
	v_cndmask_b32_e64 v67, v69, v67, s0
	v_add_co_ci_u32_e64 v69, null, 0, v46, vcc_lo
	global_load_dwordx2 v[66:67], v[66:67], off
	v_lshlrev_b64 v[68:69], 3, v[68:69]
	v_add_co_u32 v70, vcc_lo, s34, v68
	v_add_co_ci_u32_e64 v71, null, s35, v69, vcc_lo
	v_add_co_u32 v68, vcc_lo, s28, v68
	v_add_co_ci_u32_e64 v69, null, s29, v69, vcc_lo
	global_store_dwordx2 v[70:71], v[35:36], off offset:768
	s_waitcnt vmcnt(0)
	global_store_dwordx2 v[68:69], v[66:67], off offset:768
	s_or_b32 exec_lo, exec_lo, s94
	s_and_saveexec_b32 s94, s51
	s_cbranch_execz .LBB259_42
.LBB259_103:                            ;   in Loop: Header=BB259_21 Depth=1
	v_add_co_u32 v66, vcc_lo, v64, v63
	v_add_co_ci_u32_e64 v67, null, 0, v65, vcc_lo
	v_add_co_u32 v68, vcc_lo, v61, v21
	v_add_co_ci_u32_e64 v69, null, v62, v22, vcc_lo
	;; [unrolled: 2-line block ×4, first 2 shown]
	v_cndmask_b32_e64 v66, v68, v66, s0
	v_add_co_u32 v68, vcc_lo, v45, v0
	v_cndmask_b32_e64 v67, v69, v67, s0
	v_add_co_ci_u32_e64 v69, null, 0, v46, vcc_lo
	global_load_dwordx2 v[66:67], v[66:67], off
	v_lshlrev_b64 v[68:69], 3, v[68:69]
	v_add_co_u32 v70, vcc_lo, s34, v68
	v_add_co_ci_u32_e64 v71, null, s35, v69, vcc_lo
	v_add_co_u32 v68, vcc_lo, s28, v68
	v_add_co_ci_u32_e64 v69, null, s29, v69, vcc_lo
	global_store_dwordx2 v[70:71], v[37:38], off offset:1024
	s_waitcnt vmcnt(0)
	global_store_dwordx2 v[68:69], v[66:67], off offset:1024
	s_or_b32 exec_lo, exec_lo, s94
	s_and_saveexec_b32 s94, s52
	s_cbranch_execz .LBB259_43
.LBB259_104:                            ;   in Loop: Header=BB259_21 Depth=1
	v_add_co_u32 v66, vcc_lo, v64, v63
	v_add_co_ci_u32_e64 v67, null, 0, v65, vcc_lo
	v_add_co_u32 v68, vcc_lo, v61, v23
	v_add_co_ci_u32_e64 v69, null, v62, v24, vcc_lo
	;; [unrolled: 2-line block ×4, first 2 shown]
	v_cndmask_b32_e64 v66, v68, v66, s0
	v_add_co_u32 v68, vcc_lo, v45, v0
	v_cndmask_b32_e64 v67, v69, v67, s0
	v_add_co_ci_u32_e64 v69, null, 0, v46, vcc_lo
	global_load_dwordx2 v[66:67], v[66:67], off
	v_lshlrev_b64 v[68:69], 3, v[68:69]
	v_add_co_u32 v70, vcc_lo, s34, v68
	v_add_co_ci_u32_e64 v71, null, s35, v69, vcc_lo
	v_add_co_u32 v68, vcc_lo, s28, v68
	v_add_co_ci_u32_e64 v69, null, s29, v69, vcc_lo
	global_store_dwordx2 v[70:71], v[39:40], off offset:1280
	s_waitcnt vmcnt(0)
	global_store_dwordx2 v[68:69], v[66:67], off offset:1280
	s_or_b32 exec_lo, exec_lo, s94
	s_and_saveexec_b32 s94, s53
	s_cbranch_execz .LBB259_44
.LBB259_105:                            ;   in Loop: Header=BB259_21 Depth=1
	v_add_co_u32 v66, vcc_lo, v64, v63
	v_add_co_ci_u32_e64 v67, null, 0, v65, vcc_lo
	v_add_co_u32 v68, vcc_lo, v61, v25
	v_add_co_ci_u32_e64 v69, null, v62, v26, vcc_lo
	;; [unrolled: 2-line block ×4, first 2 shown]
	v_cndmask_b32_e64 v66, v68, v66, s0
	v_add_co_u32 v68, vcc_lo, v45, v0
	v_cndmask_b32_e64 v67, v69, v67, s0
	v_add_co_ci_u32_e64 v69, null, 0, v46, vcc_lo
	global_load_dwordx2 v[66:67], v[66:67], off
	v_lshlrev_b64 v[68:69], 3, v[68:69]
	v_add_co_u32 v70, vcc_lo, s34, v68
	v_add_co_ci_u32_e64 v71, null, s35, v69, vcc_lo
	v_add_co_u32 v68, vcc_lo, s28, v68
	v_add_co_ci_u32_e64 v69, null, s29, v69, vcc_lo
	global_store_dwordx2 v[70:71], v[41:42], off offset:1536
	s_waitcnt vmcnt(0)
	global_store_dwordx2 v[68:69], v[66:67], off offset:1536
	s_or_b32 exec_lo, exec_lo, s94
	s_and_saveexec_b32 s94, s54
	s_cbranch_execnz .LBB259_45
	s_branch .LBB259_46
.LBB259_106:                            ;   in Loop: Header=BB259_21 Depth=1
	v_add_co_u32 v66, vcc_lo, v61, v13
	v_add_co_ci_u32_e64 v67, null, v62, v14, vcc_lo
	v_add_co_u32 v68, vcc_lo, v64, v63
	v_add_co_ci_u32_e64 v69, null, 0, v65, vcc_lo
	;; [unrolled: 2-line block ×3, first 2 shown]
	v_cndmask_b32_e64 v66, v66, v68, s0
	v_add_co_u32 v68, vcc_lo, v45, v0
	v_cndmask_b32_e64 v67, v67, v69, s0
	v_add_co_ci_u32_e64 v69, null, 0, v46, vcc_lo
	global_load_dwordx2 v[66:67], v[66:67], off
	v_lshlrev_b64 v[68:69], 3, v[68:69]
	v_add_co_u32 v70, vcc_lo, s34, v68
	v_add_co_ci_u32_e64 v71, null, s35, v69, vcc_lo
	v_add_co_u32 v68, vcc_lo, s28, v68
	v_add_co_ci_u32_e64 v69, null, s29, v69, vcc_lo
	global_store_dwordx2 v[70:71], v[29:30], off
	s_waitcnt vmcnt(0)
	global_store_dwordx2 v[68:69], v[66:67], off
	s_or_b32 exec_lo, exec_lo, s94
	s_and_saveexec_b32 s94, s56
	s_cbranch_execz .LBB259_48
.LBB259_107:                            ;   in Loop: Header=BB259_21 Depth=1
	v_add_co_u32 v66, vcc_lo, v64, v63
	v_add_co_ci_u32_e64 v67, null, 0, v65, vcc_lo
	v_add_co_u32 v68, vcc_lo, v61, v15
	v_add_co_ci_u32_e64 v69, null, v62, v16, vcc_lo
	v_add_co_u32 v66, vcc_lo, 0x100, v66
	v_add_co_ci_u32_e64 v67, null, 0, v67, vcc_lo
	v_add_co_u32 v68, vcc_lo, 0x200, v68
	v_add_co_ci_u32_e64 v69, null, 0, v69, vcc_lo
	v_cndmask_b32_e64 v66, v68, v66, s0
	v_add_co_u32 v68, vcc_lo, v45, v0
	v_cndmask_b32_e64 v67, v69, v67, s0
	v_add_co_ci_u32_e64 v69, null, 0, v46, vcc_lo
	global_load_dwordx2 v[66:67], v[66:67], off
	v_lshlrev_b64 v[68:69], 3, v[68:69]
	v_add_co_u32 v70, vcc_lo, s34, v68
	v_add_co_ci_u32_e64 v71, null, s35, v69, vcc_lo
	v_add_co_u32 v68, vcc_lo, s28, v68
	v_add_co_ci_u32_e64 v69, null, s29, v69, vcc_lo
	global_store_dwordx2 v[70:71], v[31:32], off offset:256
	s_waitcnt vmcnt(0)
	global_store_dwordx2 v[68:69], v[66:67], off offset:256
	s_or_b32 exec_lo, exec_lo, s94
	s_and_saveexec_b32 s94, s57
	s_cbranch_execz .LBB259_49
.LBB259_108:                            ;   in Loop: Header=BB259_21 Depth=1
	v_add_co_u32 v66, vcc_lo, v64, v63
	v_add_co_ci_u32_e64 v67, null, 0, v65, vcc_lo
	v_add_co_u32 v68, vcc_lo, v61, v17
	v_add_co_ci_u32_e64 v69, null, v62, v18, vcc_lo
	v_cndmask_b32_e64 v66, v68, v66, s0
	v_add_co_u32 v68, vcc_lo, v45, v0
	v_cndmask_b32_e64 v67, v69, v67, s0
	v_add_co_ci_u32_e64 v69, null, 0, v46, vcc_lo
	global_load_dwordx2 v[66:67], v[66:67], off offset:512
	v_lshlrev_b64 v[68:69], 3, v[68:69]
	v_add_co_u32 v70, vcc_lo, s34, v68
	v_add_co_ci_u32_e64 v71, null, s35, v69, vcc_lo
	v_add_co_u32 v68, vcc_lo, s28, v68
	v_add_co_ci_u32_e64 v69, null, s29, v69, vcc_lo
	global_store_dwordx2 v[70:71], v[33:34], off offset:512
	s_waitcnt vmcnt(0)
	global_store_dwordx2 v[68:69], v[66:67], off offset:512
	s_or_b32 exec_lo, exec_lo, s94
	s_and_saveexec_b32 s94, s58
	s_cbranch_execz .LBB259_50
.LBB259_109:                            ;   in Loop: Header=BB259_21 Depth=1
	v_add_co_u32 v66, vcc_lo, v64, v63
	v_add_co_ci_u32_e64 v67, null, 0, v65, vcc_lo
	v_add_co_u32 v68, vcc_lo, v61, v19
	v_add_co_ci_u32_e64 v69, null, v62, v20, vcc_lo
	;; [unrolled: 2-line block ×4, first 2 shown]
	v_cndmask_b32_e64 v66, v68, v66, s0
	v_add_co_u32 v68, vcc_lo, v45, v0
	v_cndmask_b32_e64 v67, v69, v67, s0
	v_add_co_ci_u32_e64 v69, null, 0, v46, vcc_lo
	global_load_dwordx2 v[66:67], v[66:67], off
	v_lshlrev_b64 v[68:69], 3, v[68:69]
	v_add_co_u32 v70, vcc_lo, s34, v68
	v_add_co_ci_u32_e64 v71, null, s35, v69, vcc_lo
	v_add_co_u32 v68, vcc_lo, s28, v68
	v_add_co_ci_u32_e64 v69, null, s29, v69, vcc_lo
	global_store_dwordx2 v[70:71], v[35:36], off offset:768
	s_waitcnt vmcnt(0)
	global_store_dwordx2 v[68:69], v[66:67], off offset:768
	s_or_b32 exec_lo, exec_lo, s94
	s_and_saveexec_b32 s94, s59
	s_cbranch_execz .LBB259_51
.LBB259_110:                            ;   in Loop: Header=BB259_21 Depth=1
	v_add_co_u32 v66, vcc_lo, v64, v63
	v_add_co_ci_u32_e64 v67, null, 0, v65, vcc_lo
	v_add_co_u32 v68, vcc_lo, v61, v21
	v_add_co_ci_u32_e64 v69, null, v62, v22, vcc_lo
	;; [unrolled: 2-line block ×4, first 2 shown]
	v_cndmask_b32_e64 v66, v68, v66, s0
	v_add_co_u32 v68, vcc_lo, v45, v0
	v_cndmask_b32_e64 v67, v69, v67, s0
	v_add_co_ci_u32_e64 v69, null, 0, v46, vcc_lo
	global_load_dwordx2 v[66:67], v[66:67], off
	v_lshlrev_b64 v[68:69], 3, v[68:69]
	v_add_co_u32 v70, vcc_lo, s34, v68
	v_add_co_ci_u32_e64 v71, null, s35, v69, vcc_lo
	v_add_co_u32 v68, vcc_lo, s28, v68
	v_add_co_ci_u32_e64 v69, null, s29, v69, vcc_lo
	global_store_dwordx2 v[70:71], v[37:38], off offset:1024
	s_waitcnt vmcnt(0)
	global_store_dwordx2 v[68:69], v[66:67], off offset:1024
	s_or_b32 exec_lo, exec_lo, s94
	s_and_saveexec_b32 s94, s60
	s_cbranch_execz .LBB259_52
.LBB259_111:                            ;   in Loop: Header=BB259_21 Depth=1
	v_add_co_u32 v66, vcc_lo, v64, v63
	v_add_co_ci_u32_e64 v67, null, 0, v65, vcc_lo
	v_add_co_u32 v68, vcc_lo, v61, v23
	v_add_co_ci_u32_e64 v69, null, v62, v24, vcc_lo
	;; [unrolled: 2-line block ×4, first 2 shown]
	v_cndmask_b32_e64 v66, v68, v66, s0
	v_add_co_u32 v68, vcc_lo, v45, v0
	v_cndmask_b32_e64 v67, v69, v67, s0
	v_add_co_ci_u32_e64 v69, null, 0, v46, vcc_lo
	global_load_dwordx2 v[66:67], v[66:67], off
	v_lshlrev_b64 v[68:69], 3, v[68:69]
	v_add_co_u32 v70, vcc_lo, s34, v68
	v_add_co_ci_u32_e64 v71, null, s35, v69, vcc_lo
	v_add_co_u32 v68, vcc_lo, s28, v68
	v_add_co_ci_u32_e64 v69, null, s29, v69, vcc_lo
	global_store_dwordx2 v[70:71], v[39:40], off offset:1280
	s_waitcnt vmcnt(0)
	global_store_dwordx2 v[68:69], v[66:67], off offset:1280
	s_or_b32 exec_lo, exec_lo, s94
	s_and_saveexec_b32 s94, s61
	s_cbranch_execz .LBB259_53
.LBB259_112:                            ;   in Loop: Header=BB259_21 Depth=1
	v_add_co_u32 v66, vcc_lo, v64, v63
	v_add_co_ci_u32_e64 v67, null, 0, v65, vcc_lo
	v_add_co_u32 v68, vcc_lo, v61, v25
	v_add_co_ci_u32_e64 v69, null, v62, v26, vcc_lo
	;; [unrolled: 2-line block ×4, first 2 shown]
	v_cndmask_b32_e64 v66, v68, v66, s0
	v_add_co_u32 v68, vcc_lo, v45, v0
	v_cndmask_b32_e64 v67, v69, v67, s0
	v_add_co_ci_u32_e64 v69, null, 0, v46, vcc_lo
	global_load_dwordx2 v[66:67], v[66:67], off
	v_lshlrev_b64 v[68:69], 3, v[68:69]
	v_add_co_u32 v70, vcc_lo, s34, v68
	v_add_co_ci_u32_e64 v71, null, s35, v69, vcc_lo
	v_add_co_u32 v68, vcc_lo, s28, v68
	v_add_co_ci_u32_e64 v69, null, s29, v69, vcc_lo
	global_store_dwordx2 v[70:71], v[41:42], off offset:1536
	s_waitcnt vmcnt(0)
	global_store_dwordx2 v[68:69], v[66:67], off offset:1536
	s_or_b32 exec_lo, exec_lo, s94
	s_and_saveexec_b32 s94, s62
	s_cbranch_execnz .LBB259_54
	s_branch .LBB259_55
.LBB259_113:                            ;   in Loop: Header=BB259_21 Depth=1
	v_add_co_u32 v66, vcc_lo, v61, v13
	v_add_co_ci_u32_e64 v67, null, v62, v14, vcc_lo
	v_add_co_u32 v68, vcc_lo, v64, v63
	v_add_co_ci_u32_e64 v69, null, 0, v65, vcc_lo
	v_add_co_u32 v66, vcc_lo, 0x300, v66
	v_add_co_ci_u32_e64 v67, null, 0, v67, vcc_lo
	v_cndmask_b32_e64 v66, v66, v68, s0
	v_add_co_u32 v68, vcc_lo, v45, v0
	v_cndmask_b32_e64 v67, v67, v69, s0
	v_add_co_ci_u32_e64 v69, null, 0, v46, vcc_lo
	global_load_dwordx2 v[66:67], v[66:67], off
	v_lshlrev_b64 v[68:69], 3, v[68:69]
	v_add_co_u32 v70, vcc_lo, s34, v68
	v_add_co_ci_u32_e64 v71, null, s35, v69, vcc_lo
	v_add_co_u32 v68, vcc_lo, s28, v68
	v_add_co_ci_u32_e64 v69, null, s29, v69, vcc_lo
	global_store_dwordx2 v[70:71], v[29:30], off
	s_waitcnt vmcnt(0)
	global_store_dwordx2 v[68:69], v[66:67], off
	s_or_b32 exec_lo, exec_lo, s94
	s_and_saveexec_b32 s94, s64
	s_cbranch_execz .LBB259_57
.LBB259_114:                            ;   in Loop: Header=BB259_21 Depth=1
	v_add_co_u32 v66, vcc_lo, v64, v63
	v_add_co_ci_u32_e64 v67, null, 0, v65, vcc_lo
	v_add_co_u32 v68, vcc_lo, v61, v15
	v_add_co_ci_u32_e64 v69, null, v62, v16, vcc_lo
	;; [unrolled: 2-line block ×4, first 2 shown]
	v_cndmask_b32_e64 v66, v68, v66, s0
	v_add_co_u32 v68, vcc_lo, v45, v0
	v_cndmask_b32_e64 v67, v69, v67, s0
	v_add_co_ci_u32_e64 v69, null, 0, v46, vcc_lo
	global_load_dwordx2 v[66:67], v[66:67], off
	v_lshlrev_b64 v[68:69], 3, v[68:69]
	v_add_co_u32 v70, vcc_lo, s34, v68
	v_add_co_ci_u32_e64 v71, null, s35, v69, vcc_lo
	v_add_co_u32 v68, vcc_lo, s28, v68
	v_add_co_ci_u32_e64 v69, null, s29, v69, vcc_lo
	global_store_dwordx2 v[70:71], v[31:32], off offset:256
	s_waitcnt vmcnt(0)
	global_store_dwordx2 v[68:69], v[66:67], off offset:256
	s_or_b32 exec_lo, exec_lo, s94
	s_and_saveexec_b32 s94, s65
	s_cbranch_execz .LBB259_58
.LBB259_115:                            ;   in Loop: Header=BB259_21 Depth=1
	v_add_co_u32 v66, vcc_lo, v64, v63
	v_add_co_ci_u32_e64 v67, null, 0, v65, vcc_lo
	v_add_co_u32 v68, vcc_lo, v61, v17
	v_add_co_ci_u32_e64 v69, null, v62, v18, vcc_lo
	;; [unrolled: 2-line block ×4, first 2 shown]
	v_cndmask_b32_e64 v66, v68, v66, s0
	v_add_co_u32 v68, vcc_lo, v45, v0
	v_cndmask_b32_e64 v67, v69, v67, s0
	v_add_co_ci_u32_e64 v69, null, 0, v46, vcc_lo
	global_load_dwordx2 v[66:67], v[66:67], off
	v_lshlrev_b64 v[68:69], 3, v[68:69]
	v_add_co_u32 v70, vcc_lo, s34, v68
	v_add_co_ci_u32_e64 v71, null, s35, v69, vcc_lo
	v_add_co_u32 v68, vcc_lo, s28, v68
	v_add_co_ci_u32_e64 v69, null, s29, v69, vcc_lo
	global_store_dwordx2 v[70:71], v[33:34], off offset:512
	s_waitcnt vmcnt(0)
	global_store_dwordx2 v[68:69], v[66:67], off offset:512
	s_or_b32 exec_lo, exec_lo, s94
	s_and_saveexec_b32 s94, s66
	s_cbranch_execz .LBB259_59
.LBB259_116:                            ;   in Loop: Header=BB259_21 Depth=1
	v_add_co_u32 v66, vcc_lo, v64, v63
	v_add_co_ci_u32_e64 v67, null, 0, v65, vcc_lo
	v_add_co_u32 v68, vcc_lo, v61, v19
	v_add_co_ci_u32_e64 v69, null, v62, v20, vcc_lo
	v_cndmask_b32_e64 v66, v68, v66, s0
	v_add_co_u32 v68, vcc_lo, v45, v0
	v_cndmask_b32_e64 v67, v69, v67, s0
	v_add_co_ci_u32_e64 v69, null, 0, v46, vcc_lo
	global_load_dwordx2 v[66:67], v[66:67], off offset:768
	v_lshlrev_b64 v[68:69], 3, v[68:69]
	v_add_co_u32 v70, vcc_lo, s34, v68
	v_add_co_ci_u32_e64 v71, null, s35, v69, vcc_lo
	v_add_co_u32 v68, vcc_lo, s28, v68
	v_add_co_ci_u32_e64 v69, null, s29, v69, vcc_lo
	global_store_dwordx2 v[70:71], v[35:36], off offset:768
	s_waitcnt vmcnt(0)
	global_store_dwordx2 v[68:69], v[66:67], off offset:768
	s_or_b32 exec_lo, exec_lo, s94
	s_and_saveexec_b32 s94, s67
	s_cbranch_execz .LBB259_60
.LBB259_117:                            ;   in Loop: Header=BB259_21 Depth=1
	v_add_co_u32 v66, vcc_lo, v64, v63
	v_add_co_ci_u32_e64 v67, null, 0, v65, vcc_lo
	v_add_co_u32 v68, vcc_lo, v61, v21
	v_add_co_ci_u32_e64 v69, null, v62, v22, vcc_lo
	;; [unrolled: 2-line block ×4, first 2 shown]
	v_cndmask_b32_e64 v66, v68, v66, s0
	v_add_co_u32 v68, vcc_lo, v45, v0
	v_cndmask_b32_e64 v67, v69, v67, s0
	v_add_co_ci_u32_e64 v69, null, 0, v46, vcc_lo
	global_load_dwordx2 v[66:67], v[66:67], off
	v_lshlrev_b64 v[68:69], 3, v[68:69]
	v_add_co_u32 v70, vcc_lo, s34, v68
	v_add_co_ci_u32_e64 v71, null, s35, v69, vcc_lo
	v_add_co_u32 v68, vcc_lo, s28, v68
	v_add_co_ci_u32_e64 v69, null, s29, v69, vcc_lo
	global_store_dwordx2 v[70:71], v[37:38], off offset:1024
	s_waitcnt vmcnt(0)
	global_store_dwordx2 v[68:69], v[66:67], off offset:1024
	s_or_b32 exec_lo, exec_lo, s94
	s_and_saveexec_b32 s94, s68
	s_cbranch_execz .LBB259_61
.LBB259_118:                            ;   in Loop: Header=BB259_21 Depth=1
	v_add_co_u32 v66, vcc_lo, v64, v63
	v_add_co_ci_u32_e64 v67, null, 0, v65, vcc_lo
	v_add_co_u32 v68, vcc_lo, v61, v23
	v_add_co_ci_u32_e64 v69, null, v62, v24, vcc_lo
	;; [unrolled: 2-line block ×4, first 2 shown]
	v_cndmask_b32_e64 v66, v68, v66, s0
	v_add_co_u32 v68, vcc_lo, v45, v0
	v_cndmask_b32_e64 v67, v69, v67, s0
	v_add_co_ci_u32_e64 v69, null, 0, v46, vcc_lo
	global_load_dwordx2 v[66:67], v[66:67], off
	v_lshlrev_b64 v[68:69], 3, v[68:69]
	v_add_co_u32 v70, vcc_lo, s34, v68
	v_add_co_ci_u32_e64 v71, null, s35, v69, vcc_lo
	v_add_co_u32 v68, vcc_lo, s28, v68
	v_add_co_ci_u32_e64 v69, null, s29, v69, vcc_lo
	global_store_dwordx2 v[70:71], v[39:40], off offset:1280
	s_waitcnt vmcnt(0)
	global_store_dwordx2 v[68:69], v[66:67], off offset:1280
	s_or_b32 exec_lo, exec_lo, s94
	s_and_saveexec_b32 s94, s69
	s_cbranch_execz .LBB259_62
.LBB259_119:                            ;   in Loop: Header=BB259_21 Depth=1
	v_add_co_u32 v66, vcc_lo, v64, v63
	v_add_co_ci_u32_e64 v67, null, 0, v65, vcc_lo
	v_add_co_u32 v68, vcc_lo, v61, v25
	v_add_co_ci_u32_e64 v69, null, v62, v26, vcc_lo
	;; [unrolled: 2-line block ×4, first 2 shown]
	v_cndmask_b32_e64 v66, v68, v66, s0
	v_add_co_u32 v68, vcc_lo, v45, v0
	v_cndmask_b32_e64 v67, v69, v67, s0
	v_add_co_ci_u32_e64 v69, null, 0, v46, vcc_lo
	global_load_dwordx2 v[66:67], v[66:67], off
	v_lshlrev_b64 v[68:69], 3, v[68:69]
	v_add_co_u32 v70, vcc_lo, s34, v68
	v_add_co_ci_u32_e64 v71, null, s35, v69, vcc_lo
	v_add_co_u32 v68, vcc_lo, s28, v68
	v_add_co_ci_u32_e64 v69, null, s29, v69, vcc_lo
	global_store_dwordx2 v[70:71], v[41:42], off offset:1536
	s_waitcnt vmcnt(0)
	global_store_dwordx2 v[68:69], v[66:67], off offset:1536
	s_or_b32 exec_lo, exec_lo, s94
	s_and_saveexec_b32 s94, s6
	s_cbranch_execnz .LBB259_63
	s_branch .LBB259_64
.LBB259_120:                            ;   in Loop: Header=BB259_21 Depth=1
	v_add_co_u32 v66, vcc_lo, v61, v13
	v_add_co_ci_u32_e64 v67, null, v62, v14, vcc_lo
	v_add_co_u32 v68, vcc_lo, v64, v63
	v_add_co_ci_u32_e64 v69, null, 0, v65, vcc_lo
	;; [unrolled: 2-line block ×3, first 2 shown]
	v_cndmask_b32_e64 v66, v66, v68, s0
	v_add_co_u32 v68, vcc_lo, v45, v0
	v_cndmask_b32_e64 v67, v67, v69, s0
	v_add_co_ci_u32_e64 v69, null, 0, v46, vcc_lo
	global_load_dwordx2 v[66:67], v[66:67], off
	v_lshlrev_b64 v[68:69], 3, v[68:69]
	v_add_co_u32 v70, vcc_lo, s34, v68
	v_add_co_ci_u32_e64 v71, null, s35, v69, vcc_lo
	v_add_co_u32 v68, vcc_lo, s28, v68
	v_add_co_ci_u32_e64 v69, null, s29, v69, vcc_lo
	global_store_dwordx2 v[70:71], v[29:30], off
	s_waitcnt vmcnt(0)
	global_store_dwordx2 v[68:69], v[66:67], off
	s_or_b32 exec_lo, exec_lo, s94
	s_and_saveexec_b32 s94, s71
	s_cbranch_execz .LBB259_66
.LBB259_121:                            ;   in Loop: Header=BB259_21 Depth=1
	v_add_co_u32 v66, vcc_lo, v64, v63
	v_add_co_ci_u32_e64 v67, null, 0, v65, vcc_lo
	v_add_co_u32 v68, vcc_lo, v61, v15
	v_add_co_ci_u32_e64 v69, null, v62, v16, vcc_lo
	;; [unrolled: 2-line block ×4, first 2 shown]
	v_cndmask_b32_e64 v66, v68, v66, s0
	v_add_co_u32 v68, vcc_lo, v45, v0
	v_cndmask_b32_e64 v67, v69, v67, s0
	v_add_co_ci_u32_e64 v69, null, 0, v46, vcc_lo
	global_load_dwordx2 v[66:67], v[66:67], off
	v_lshlrev_b64 v[68:69], 3, v[68:69]
	v_add_co_u32 v70, vcc_lo, s34, v68
	v_add_co_ci_u32_e64 v71, null, s35, v69, vcc_lo
	v_add_co_u32 v68, vcc_lo, s28, v68
	v_add_co_ci_u32_e64 v69, null, s29, v69, vcc_lo
	global_store_dwordx2 v[70:71], v[31:32], off offset:256
	s_waitcnt vmcnt(0)
	global_store_dwordx2 v[68:69], v[66:67], off offset:256
	s_or_b32 exec_lo, exec_lo, s94
	s_and_saveexec_b32 s94, s72
	s_cbranch_execz .LBB259_67
.LBB259_122:                            ;   in Loop: Header=BB259_21 Depth=1
	v_add_co_u32 v66, vcc_lo, v64, v63
	v_add_co_ci_u32_e64 v67, null, 0, v65, vcc_lo
	v_add_co_u32 v68, vcc_lo, v61, v17
	v_add_co_ci_u32_e64 v69, null, v62, v18, vcc_lo
	;; [unrolled: 2-line block ×4, first 2 shown]
	v_cndmask_b32_e64 v66, v68, v66, s0
	v_add_co_u32 v68, vcc_lo, v45, v0
	v_cndmask_b32_e64 v67, v69, v67, s0
	v_add_co_ci_u32_e64 v69, null, 0, v46, vcc_lo
	global_load_dwordx2 v[66:67], v[66:67], off
	v_lshlrev_b64 v[68:69], 3, v[68:69]
	v_add_co_u32 v70, vcc_lo, s34, v68
	v_add_co_ci_u32_e64 v71, null, s35, v69, vcc_lo
	v_add_co_u32 v68, vcc_lo, s28, v68
	v_add_co_ci_u32_e64 v69, null, s29, v69, vcc_lo
	global_store_dwordx2 v[70:71], v[33:34], off offset:512
	s_waitcnt vmcnt(0)
	global_store_dwordx2 v[68:69], v[66:67], off offset:512
	s_or_b32 exec_lo, exec_lo, s94
	s_and_saveexec_b32 s94, s73
	s_cbranch_execz .LBB259_68
.LBB259_123:                            ;   in Loop: Header=BB259_21 Depth=1
	v_add_co_u32 v66, vcc_lo, v64, v63
	v_add_co_ci_u32_e64 v67, null, 0, v65, vcc_lo
	v_add_co_u32 v68, vcc_lo, v61, v19
	v_add_co_ci_u32_e64 v69, null, v62, v20, vcc_lo
	;; [unrolled: 2-line block ×4, first 2 shown]
	v_cndmask_b32_e64 v66, v68, v66, s0
	v_add_co_u32 v68, vcc_lo, v45, v0
	v_cndmask_b32_e64 v67, v69, v67, s0
	v_add_co_ci_u32_e64 v69, null, 0, v46, vcc_lo
	global_load_dwordx2 v[66:67], v[66:67], off
	v_lshlrev_b64 v[68:69], 3, v[68:69]
	v_add_co_u32 v70, vcc_lo, s34, v68
	v_add_co_ci_u32_e64 v71, null, s35, v69, vcc_lo
	v_add_co_u32 v68, vcc_lo, s28, v68
	v_add_co_ci_u32_e64 v69, null, s29, v69, vcc_lo
	global_store_dwordx2 v[70:71], v[35:36], off offset:768
	s_waitcnt vmcnt(0)
	global_store_dwordx2 v[68:69], v[66:67], off offset:768
	s_or_b32 exec_lo, exec_lo, s94
	s_and_saveexec_b32 s94, s74
	s_cbranch_execz .LBB259_69
.LBB259_124:                            ;   in Loop: Header=BB259_21 Depth=1
	v_add_co_u32 v66, vcc_lo, v64, v63
	v_add_co_ci_u32_e64 v67, null, 0, v65, vcc_lo
	v_add_co_u32 v68, vcc_lo, v61, v21
	v_add_co_ci_u32_e64 v69, null, v62, v22, vcc_lo
	v_cndmask_b32_e64 v66, v68, v66, s0
	v_add_co_u32 v68, vcc_lo, v45, v0
	v_cndmask_b32_e64 v67, v69, v67, s0
	v_add_co_ci_u32_e64 v69, null, 0, v46, vcc_lo
	global_load_dwordx2 v[66:67], v[66:67], off offset:1024
	v_lshlrev_b64 v[68:69], 3, v[68:69]
	v_add_co_u32 v70, vcc_lo, s34, v68
	v_add_co_ci_u32_e64 v71, null, s35, v69, vcc_lo
	v_add_co_u32 v68, vcc_lo, s28, v68
	v_add_co_ci_u32_e64 v69, null, s29, v69, vcc_lo
	global_store_dwordx2 v[70:71], v[37:38], off offset:1024
	s_waitcnt vmcnt(0)
	global_store_dwordx2 v[68:69], v[66:67], off offset:1024
	s_or_b32 exec_lo, exec_lo, s94
	s_and_saveexec_b32 s94, s75
	s_cbranch_execz .LBB259_70
.LBB259_125:                            ;   in Loop: Header=BB259_21 Depth=1
	v_add_co_u32 v66, vcc_lo, v64, v63
	v_add_co_ci_u32_e64 v67, null, 0, v65, vcc_lo
	v_add_co_u32 v68, vcc_lo, v61, v23
	v_add_co_ci_u32_e64 v69, null, v62, v24, vcc_lo
	v_add_co_u32 v66, vcc_lo, 0x500, v66
	v_add_co_ci_u32_e64 v67, null, 0, v67, vcc_lo
	v_add_co_u32 v68, vcc_lo, 0x400, v68
	v_add_co_ci_u32_e64 v69, null, 0, v69, vcc_lo
	v_cndmask_b32_e64 v66, v68, v66, s0
	v_add_co_u32 v68, vcc_lo, v45, v0
	v_cndmask_b32_e64 v67, v69, v67, s0
	v_add_co_ci_u32_e64 v69, null, 0, v46, vcc_lo
	global_load_dwordx2 v[66:67], v[66:67], off
	v_lshlrev_b64 v[68:69], 3, v[68:69]
	v_add_co_u32 v70, vcc_lo, s34, v68
	v_add_co_ci_u32_e64 v71, null, s35, v69, vcc_lo
	v_add_co_u32 v68, vcc_lo, s28, v68
	v_add_co_ci_u32_e64 v69, null, s29, v69, vcc_lo
	global_store_dwordx2 v[70:71], v[39:40], off offset:1280
	s_waitcnt vmcnt(0)
	global_store_dwordx2 v[68:69], v[66:67], off offset:1280
	s_or_b32 exec_lo, exec_lo, s94
	s_and_saveexec_b32 s94, s76
	s_cbranch_execz .LBB259_71
.LBB259_126:                            ;   in Loop: Header=BB259_21 Depth=1
	v_add_co_u32 v66, vcc_lo, v64, v63
	v_add_co_ci_u32_e64 v67, null, 0, v65, vcc_lo
	v_add_co_u32 v68, vcc_lo, v61, v25
	v_add_co_ci_u32_e64 v69, null, v62, v26, vcc_lo
	;; [unrolled: 2-line block ×4, first 2 shown]
	v_cndmask_b32_e64 v66, v68, v66, s0
	v_add_co_u32 v68, vcc_lo, v45, v0
	v_cndmask_b32_e64 v67, v69, v67, s0
	v_add_co_ci_u32_e64 v69, null, 0, v46, vcc_lo
	global_load_dwordx2 v[66:67], v[66:67], off
	v_lshlrev_b64 v[68:69], 3, v[68:69]
	v_add_co_u32 v70, vcc_lo, s34, v68
	v_add_co_ci_u32_e64 v71, null, s35, v69, vcc_lo
	v_add_co_u32 v68, vcc_lo, s28, v68
	v_add_co_ci_u32_e64 v69, null, s29, v69, vcc_lo
	global_store_dwordx2 v[70:71], v[41:42], off offset:1536
	s_waitcnt vmcnt(0)
	global_store_dwordx2 v[68:69], v[66:67], off offset:1536
	s_or_b32 exec_lo, exec_lo, s94
	s_and_saveexec_b32 s94, s7
	s_cbranch_execnz .LBB259_72
	s_branch .LBB259_73
.LBB259_127:                            ;   in Loop: Header=BB259_21 Depth=1
	v_add_co_u32 v66, vcc_lo, v61, v13
	v_add_co_ci_u32_e64 v67, null, v62, v14, vcc_lo
	v_add_co_u32 v68, vcc_lo, v64, v63
	v_add_co_ci_u32_e64 v69, null, 0, v65, vcc_lo
	;; [unrolled: 2-line block ×3, first 2 shown]
	v_cndmask_b32_e64 v66, v66, v68, s0
	v_add_co_u32 v68, vcc_lo, v45, v0
	v_cndmask_b32_e64 v67, v67, v69, s0
	v_add_co_ci_u32_e64 v69, null, 0, v46, vcc_lo
	global_load_dwordx2 v[66:67], v[66:67], off
	v_lshlrev_b64 v[68:69], 3, v[68:69]
	v_add_co_u32 v70, vcc_lo, s34, v68
	v_add_co_ci_u32_e64 v71, null, s35, v69, vcc_lo
	v_add_co_u32 v68, vcc_lo, s28, v68
	v_add_co_ci_u32_e64 v69, null, s29, v69, vcc_lo
	global_store_dwordx2 v[70:71], v[29:30], off
	s_waitcnt vmcnt(0)
	global_store_dwordx2 v[68:69], v[66:67], off
	s_or_b32 exec_lo, exec_lo, s94
	s_and_saveexec_b32 s94, s78
	s_cbranch_execz .LBB259_75
.LBB259_128:                            ;   in Loop: Header=BB259_21 Depth=1
	v_add_co_u32 v66, vcc_lo, v64, v63
	v_add_co_ci_u32_e64 v67, null, 0, v65, vcc_lo
	v_add_co_u32 v68, vcc_lo, v61, v15
	v_add_co_ci_u32_e64 v69, null, v62, v16, vcc_lo
	;; [unrolled: 2-line block ×4, first 2 shown]
	v_cndmask_b32_e64 v66, v68, v66, s0
	v_add_co_u32 v68, vcc_lo, v45, v0
	v_cndmask_b32_e64 v67, v69, v67, s0
	v_add_co_ci_u32_e64 v69, null, 0, v46, vcc_lo
	global_load_dwordx2 v[66:67], v[66:67], off
	v_lshlrev_b64 v[68:69], 3, v[68:69]
	v_add_co_u32 v70, vcc_lo, s34, v68
	v_add_co_ci_u32_e64 v71, null, s35, v69, vcc_lo
	v_add_co_u32 v68, vcc_lo, s28, v68
	v_add_co_ci_u32_e64 v69, null, s29, v69, vcc_lo
	global_store_dwordx2 v[70:71], v[31:32], off offset:256
	s_waitcnt vmcnt(0)
	global_store_dwordx2 v[68:69], v[66:67], off offset:256
	s_or_b32 exec_lo, exec_lo, s94
	s_and_saveexec_b32 s94, s79
	s_cbranch_execz .LBB259_76
.LBB259_129:                            ;   in Loop: Header=BB259_21 Depth=1
	v_add_co_u32 v66, vcc_lo, v64, v63
	v_add_co_ci_u32_e64 v67, null, 0, v65, vcc_lo
	v_add_co_u32 v68, vcc_lo, v61, v17
	v_add_co_ci_u32_e64 v69, null, v62, v18, vcc_lo
	;; [unrolled: 2-line block ×4, first 2 shown]
	v_cndmask_b32_e64 v66, v68, v66, s0
	v_add_co_u32 v68, vcc_lo, v45, v0
	v_cndmask_b32_e64 v67, v69, v67, s0
	v_add_co_ci_u32_e64 v69, null, 0, v46, vcc_lo
	global_load_dwordx2 v[66:67], v[66:67], off
	v_lshlrev_b64 v[68:69], 3, v[68:69]
	v_add_co_u32 v70, vcc_lo, s34, v68
	v_add_co_ci_u32_e64 v71, null, s35, v69, vcc_lo
	v_add_co_u32 v68, vcc_lo, s28, v68
	v_add_co_ci_u32_e64 v69, null, s29, v69, vcc_lo
	global_store_dwordx2 v[70:71], v[33:34], off offset:512
	s_waitcnt vmcnt(0)
	global_store_dwordx2 v[68:69], v[66:67], off offset:512
	s_or_b32 exec_lo, exec_lo, s94
	s_and_saveexec_b32 s94, s80
	s_cbranch_execz .LBB259_77
.LBB259_130:                            ;   in Loop: Header=BB259_21 Depth=1
	v_add_co_u32 v66, vcc_lo, v64, v63
	v_add_co_ci_u32_e64 v67, null, 0, v65, vcc_lo
	v_add_co_u32 v68, vcc_lo, v61, v19
	v_add_co_ci_u32_e64 v69, null, v62, v20, vcc_lo
	;; [unrolled: 2-line block ×4, first 2 shown]
	v_cndmask_b32_e64 v66, v68, v66, s0
	v_add_co_u32 v68, vcc_lo, v45, v0
	v_cndmask_b32_e64 v67, v69, v67, s0
	v_add_co_ci_u32_e64 v69, null, 0, v46, vcc_lo
	global_load_dwordx2 v[66:67], v[66:67], off
	v_lshlrev_b64 v[68:69], 3, v[68:69]
	v_add_co_u32 v70, vcc_lo, s34, v68
	v_add_co_ci_u32_e64 v71, null, s35, v69, vcc_lo
	v_add_co_u32 v68, vcc_lo, s28, v68
	v_add_co_ci_u32_e64 v69, null, s29, v69, vcc_lo
	global_store_dwordx2 v[70:71], v[35:36], off offset:768
	s_waitcnt vmcnt(0)
	global_store_dwordx2 v[68:69], v[66:67], off offset:768
	s_or_b32 exec_lo, exec_lo, s94
	s_and_saveexec_b32 s94, s81
	s_cbranch_execz .LBB259_78
.LBB259_131:                            ;   in Loop: Header=BB259_21 Depth=1
	v_add_co_u32 v66, vcc_lo, v64, v63
	v_add_co_ci_u32_e64 v67, null, 0, v65, vcc_lo
	v_add_co_u32 v68, vcc_lo, v61, v21
	v_add_co_ci_u32_e64 v69, null, v62, v22, vcc_lo
	;; [unrolled: 2-line block ×4, first 2 shown]
	v_cndmask_b32_e64 v66, v68, v66, s0
	v_add_co_u32 v68, vcc_lo, v45, v0
	v_cndmask_b32_e64 v67, v69, v67, s0
	v_add_co_ci_u32_e64 v69, null, 0, v46, vcc_lo
	global_load_dwordx2 v[66:67], v[66:67], off
	v_lshlrev_b64 v[68:69], 3, v[68:69]
	v_add_co_u32 v70, vcc_lo, s34, v68
	v_add_co_ci_u32_e64 v71, null, s35, v69, vcc_lo
	v_add_co_u32 v68, vcc_lo, s28, v68
	v_add_co_ci_u32_e64 v69, null, s29, v69, vcc_lo
	global_store_dwordx2 v[70:71], v[37:38], off offset:1024
	s_waitcnt vmcnt(0)
	global_store_dwordx2 v[68:69], v[66:67], off offset:1024
	s_or_b32 exec_lo, exec_lo, s94
	s_and_saveexec_b32 s94, s82
	s_cbranch_execz .LBB259_79
.LBB259_132:                            ;   in Loop: Header=BB259_21 Depth=1
	v_add_co_u32 v66, vcc_lo, v64, v63
	v_add_co_ci_u32_e64 v67, null, 0, v65, vcc_lo
	v_add_co_u32 v68, vcc_lo, v61, v23
	v_add_co_ci_u32_e64 v69, null, v62, v24, vcc_lo
	v_cndmask_b32_e64 v66, v68, v66, s0
	v_add_co_u32 v68, vcc_lo, v45, v0
	v_cndmask_b32_e64 v67, v69, v67, s0
	v_add_co_ci_u32_e64 v69, null, 0, v46, vcc_lo
	global_load_dwordx2 v[66:67], v[66:67], off offset:1280
	v_lshlrev_b64 v[68:69], 3, v[68:69]
	v_add_co_u32 v70, vcc_lo, s34, v68
	v_add_co_ci_u32_e64 v71, null, s35, v69, vcc_lo
	v_add_co_u32 v68, vcc_lo, s28, v68
	v_add_co_ci_u32_e64 v69, null, s29, v69, vcc_lo
	global_store_dwordx2 v[70:71], v[39:40], off offset:1280
	s_waitcnt vmcnt(0)
	global_store_dwordx2 v[68:69], v[66:67], off offset:1280
	s_or_b32 exec_lo, exec_lo, s94
	s_and_saveexec_b32 s94, s83
	s_cbranch_execz .LBB259_80
.LBB259_133:                            ;   in Loop: Header=BB259_21 Depth=1
	v_add_co_u32 v66, vcc_lo, v64, v63
	v_add_co_ci_u32_e64 v67, null, 0, v65, vcc_lo
	v_add_co_u32 v68, vcc_lo, v61, v25
	v_add_co_ci_u32_e64 v69, null, v62, v26, vcc_lo
	;; [unrolled: 2-line block ×4, first 2 shown]
	v_cndmask_b32_e64 v66, v68, v66, s0
	v_add_co_u32 v68, vcc_lo, v45, v0
	v_cndmask_b32_e64 v67, v69, v67, s0
	v_add_co_ci_u32_e64 v69, null, 0, v46, vcc_lo
	global_load_dwordx2 v[66:67], v[66:67], off
	v_lshlrev_b64 v[68:69], 3, v[68:69]
	v_add_co_u32 v70, vcc_lo, s34, v68
	v_add_co_ci_u32_e64 v71, null, s35, v69, vcc_lo
	v_add_co_u32 v68, vcc_lo, s28, v68
	v_add_co_ci_u32_e64 v69, null, s29, v69, vcc_lo
	global_store_dwordx2 v[70:71], v[41:42], off offset:1536
	s_waitcnt vmcnt(0)
	global_store_dwordx2 v[68:69], v[66:67], off offset:1536
	s_or_b32 exec_lo, exec_lo, s94
	s_and_saveexec_b32 s94, s8
	s_cbranch_execnz .LBB259_81
	s_branch .LBB259_82
.LBB259_134:                            ;   in Loop: Header=BB259_21 Depth=1
	v_add_co_u32 v66, vcc_lo, v61, v13
	v_add_co_ci_u32_e64 v67, null, v62, v14, vcc_lo
	v_add_co_u32 v68, vcc_lo, v64, v63
	v_add_co_ci_u32_e64 v69, null, 0, v65, vcc_lo
	;; [unrolled: 2-line block ×3, first 2 shown]
	v_cndmask_b32_e64 v66, v66, v68, s0
	v_add_co_u32 v68, vcc_lo, v45, v0
	v_cndmask_b32_e64 v67, v67, v69, s0
	v_add_co_ci_u32_e64 v69, null, 0, v46, vcc_lo
	global_load_dwordx2 v[66:67], v[66:67], off
	v_lshlrev_b64 v[68:69], 3, v[68:69]
	v_add_co_u32 v70, vcc_lo, s34, v68
	v_add_co_ci_u32_e64 v71, null, s35, v69, vcc_lo
	v_add_co_u32 v68, vcc_lo, s28, v68
	v_add_co_ci_u32_e64 v69, null, s29, v69, vcc_lo
	global_store_dwordx2 v[70:71], v[29:30], off
	s_waitcnt vmcnt(0)
	global_store_dwordx2 v[68:69], v[66:67], off
	s_or_b32 exec_lo, exec_lo, s94
	s_and_saveexec_b32 s94, s85
	s_cbranch_execz .LBB259_84
.LBB259_135:                            ;   in Loop: Header=BB259_21 Depth=1
	v_add_co_u32 v66, vcc_lo, v64, v63
	v_add_co_ci_u32_e64 v67, null, 0, v65, vcc_lo
	v_add_co_u32 v68, vcc_lo, v61, v15
	v_add_co_ci_u32_e64 v69, null, v62, v16, vcc_lo
	;; [unrolled: 2-line block ×4, first 2 shown]
	v_cndmask_b32_e64 v66, v68, v66, s0
	v_add_co_u32 v68, vcc_lo, v45, v0
	v_cndmask_b32_e64 v67, v69, v67, s0
	v_add_co_ci_u32_e64 v69, null, 0, v46, vcc_lo
	global_load_dwordx2 v[66:67], v[66:67], off
	v_lshlrev_b64 v[68:69], 3, v[68:69]
	v_add_co_u32 v70, vcc_lo, s34, v68
	v_add_co_ci_u32_e64 v71, null, s35, v69, vcc_lo
	v_add_co_u32 v68, vcc_lo, s28, v68
	v_add_co_ci_u32_e64 v69, null, s29, v69, vcc_lo
	global_store_dwordx2 v[70:71], v[31:32], off offset:256
	s_waitcnt vmcnt(0)
	global_store_dwordx2 v[68:69], v[66:67], off offset:256
	s_or_b32 exec_lo, exec_lo, s94
	s_and_saveexec_b32 s94, s86
	s_cbranch_execz .LBB259_85
.LBB259_136:                            ;   in Loop: Header=BB259_21 Depth=1
	v_add_co_u32 v66, vcc_lo, v64, v63
	v_add_co_ci_u32_e64 v67, null, 0, v65, vcc_lo
	v_add_co_u32 v68, vcc_lo, v61, v17
	v_add_co_ci_u32_e64 v69, null, v62, v18, vcc_lo
	;; [unrolled: 2-line block ×4, first 2 shown]
	v_cndmask_b32_e64 v66, v68, v66, s0
	v_add_co_u32 v68, vcc_lo, v45, v0
	v_cndmask_b32_e64 v67, v69, v67, s0
	v_add_co_ci_u32_e64 v69, null, 0, v46, vcc_lo
	global_load_dwordx2 v[66:67], v[66:67], off
	v_lshlrev_b64 v[68:69], 3, v[68:69]
	v_add_co_u32 v70, vcc_lo, s34, v68
	v_add_co_ci_u32_e64 v71, null, s35, v69, vcc_lo
	v_add_co_u32 v68, vcc_lo, s28, v68
	v_add_co_ci_u32_e64 v69, null, s29, v69, vcc_lo
	global_store_dwordx2 v[70:71], v[33:34], off offset:512
	s_waitcnt vmcnt(0)
	global_store_dwordx2 v[68:69], v[66:67], off offset:512
	s_or_b32 exec_lo, exec_lo, s94
	s_and_saveexec_b32 s94, s87
	s_cbranch_execz .LBB259_86
.LBB259_137:                            ;   in Loop: Header=BB259_21 Depth=1
	v_add_co_u32 v66, vcc_lo, v64, v63
	v_add_co_ci_u32_e64 v67, null, 0, v65, vcc_lo
	v_add_co_u32 v68, vcc_lo, v61, v19
	v_add_co_ci_u32_e64 v69, null, v62, v20, vcc_lo
	;; [unrolled: 2-line block ×4, first 2 shown]
	v_cndmask_b32_e64 v66, v68, v66, s0
	v_add_co_u32 v68, vcc_lo, v45, v0
	v_cndmask_b32_e64 v67, v69, v67, s0
	v_add_co_ci_u32_e64 v69, null, 0, v46, vcc_lo
	global_load_dwordx2 v[66:67], v[66:67], off
	v_lshlrev_b64 v[68:69], 3, v[68:69]
	v_add_co_u32 v70, vcc_lo, s34, v68
	v_add_co_ci_u32_e64 v71, null, s35, v69, vcc_lo
	v_add_co_u32 v68, vcc_lo, s28, v68
	v_add_co_ci_u32_e64 v69, null, s29, v69, vcc_lo
	global_store_dwordx2 v[70:71], v[35:36], off offset:768
	s_waitcnt vmcnt(0)
	global_store_dwordx2 v[68:69], v[66:67], off offset:768
	s_or_b32 exec_lo, exec_lo, s94
	s_and_saveexec_b32 s94, s88
	s_cbranch_execz .LBB259_87
.LBB259_138:                            ;   in Loop: Header=BB259_21 Depth=1
	v_add_co_u32 v66, vcc_lo, v64, v63
	v_add_co_ci_u32_e64 v67, null, 0, v65, vcc_lo
	v_add_co_u32 v68, vcc_lo, v61, v21
	v_add_co_ci_u32_e64 v69, null, v62, v22, vcc_lo
	;; [unrolled: 2-line block ×4, first 2 shown]
	v_cndmask_b32_e64 v66, v68, v66, s0
	v_add_co_u32 v68, vcc_lo, v45, v0
	v_cndmask_b32_e64 v67, v69, v67, s0
	v_add_co_ci_u32_e64 v69, null, 0, v46, vcc_lo
	global_load_dwordx2 v[66:67], v[66:67], off
	v_lshlrev_b64 v[68:69], 3, v[68:69]
	v_add_co_u32 v70, vcc_lo, s34, v68
	v_add_co_ci_u32_e64 v71, null, s35, v69, vcc_lo
	v_add_co_u32 v68, vcc_lo, s28, v68
	v_add_co_ci_u32_e64 v69, null, s29, v69, vcc_lo
	global_store_dwordx2 v[70:71], v[37:38], off offset:1024
	s_waitcnt vmcnt(0)
	global_store_dwordx2 v[68:69], v[66:67], off offset:1024
	s_or_b32 exec_lo, exec_lo, s94
	s_and_saveexec_b32 s94, s89
	s_cbranch_execz .LBB259_88
.LBB259_139:                            ;   in Loop: Header=BB259_21 Depth=1
	v_add_co_u32 v66, vcc_lo, v64, v63
	v_add_co_ci_u32_e64 v67, null, 0, v65, vcc_lo
	v_add_co_u32 v68, vcc_lo, v61, v23
	v_add_co_ci_u32_e64 v69, null, v62, v24, vcc_lo
	;; [unrolled: 2-line block ×4, first 2 shown]
	v_cndmask_b32_e64 v66, v68, v66, s0
	v_add_co_u32 v68, vcc_lo, v45, v0
	v_cndmask_b32_e64 v67, v69, v67, s0
	v_add_co_ci_u32_e64 v69, null, 0, v46, vcc_lo
	global_load_dwordx2 v[66:67], v[66:67], off
	v_lshlrev_b64 v[68:69], 3, v[68:69]
	v_add_co_u32 v70, vcc_lo, s34, v68
	v_add_co_ci_u32_e64 v71, null, s35, v69, vcc_lo
	v_add_co_u32 v68, vcc_lo, s28, v68
	v_add_co_ci_u32_e64 v69, null, s29, v69, vcc_lo
	global_store_dwordx2 v[70:71], v[39:40], off offset:1280
	s_waitcnt vmcnt(0)
	global_store_dwordx2 v[68:69], v[66:67], off offset:1280
	s_or_b32 exec_lo, exec_lo, s94
	s_and_saveexec_b32 s94, s90
	s_cbranch_execz .LBB259_89
.LBB259_140:                            ;   in Loop: Header=BB259_21 Depth=1
	v_add_co_u32 v66, vcc_lo, v64, v63
	v_add_co_ci_u32_e64 v67, null, 0, v65, vcc_lo
	v_add_co_u32 v68, vcc_lo, v61, v25
	v_add_co_ci_u32_e64 v69, null, v62, v26, vcc_lo
	v_cndmask_b32_e64 v66, v68, v66, s0
	v_add_co_u32 v68, vcc_lo, v45, v0
	v_cndmask_b32_e64 v67, v69, v67, s0
	v_add_co_ci_u32_e64 v69, null, 0, v46, vcc_lo
	global_load_dwordx2 v[66:67], v[66:67], off offset:1536
	v_lshlrev_b64 v[68:69], 3, v[68:69]
	v_add_co_u32 v70, vcc_lo, s34, v68
	v_add_co_ci_u32_e64 v71, null, s35, v69, vcc_lo
	v_add_co_u32 v68, vcc_lo, s28, v68
	v_add_co_ci_u32_e64 v69, null, s29, v69, vcc_lo
	global_store_dwordx2 v[70:71], v[41:42], off offset:1536
	s_waitcnt vmcnt(0)
	global_store_dwordx2 v[68:69], v[66:67], off offset:1536
	s_or_b32 exec_lo, exec_lo, s94
	s_and_saveexec_b32 s94, s10
	s_cbranch_execnz .LBB259_90
	s_branch .LBB259_91
.LBB259_141:                            ;   in Loop: Header=BB259_21 Depth=1
	v_add_co_u32 v66, vcc_lo, v61, v13
	v_add_co_ci_u32_e64 v67, null, v62, v14, vcc_lo
	v_add_co_u32 v68, vcc_lo, v64, v63
	v_add_co_ci_u32_e64 v69, null, 0, v65, vcc_lo
	;; [unrolled: 2-line block ×3, first 2 shown]
	v_cndmask_b32_e64 v66, v66, v68, s0
	v_add_co_u32 v68, vcc_lo, v45, v0
	v_cndmask_b32_e64 v67, v67, v69, s0
	v_add_co_ci_u32_e64 v69, null, 0, v46, vcc_lo
	global_load_dwordx2 v[66:67], v[66:67], off
	v_lshlrev_b64 v[68:69], 3, v[68:69]
	v_add_co_u32 v70, vcc_lo, s34, v68
	v_add_co_ci_u32_e64 v71, null, s35, v69, vcc_lo
	v_add_co_u32 v68, vcc_lo, s28, v68
	v_add_co_ci_u32_e64 v69, null, s29, v69, vcc_lo
	global_store_dwordx2 v[70:71], v[29:30], off
	s_waitcnt vmcnt(0)
	global_store_dwordx2 v[68:69], v[66:67], off
	s_or_b32 exec_lo, exec_lo, s4
	s_and_saveexec_b32 s4, s91
	s_cbranch_execz .LBB259_93
.LBB259_142:                            ;   in Loop: Header=BB259_21 Depth=1
	v_add_co_u32 v29, vcc_lo, v64, v63
	v_add_co_ci_u32_e64 v30, null, 0, v65, vcc_lo
	v_add_co_u32 v66, vcc_lo, v61, v15
	v_add_co_ci_u32_e64 v67, null, v62, v16, vcc_lo
	;; [unrolled: 2-line block ×4, first 2 shown]
	v_cndmask_b32_e64 v29, v66, v29, s0
	v_add_co_u32 v66, vcc_lo, v45, v0
	v_cndmask_b32_e64 v30, v67, v30, s0
	v_add_co_ci_u32_e64 v67, null, 0, v46, vcc_lo
	global_load_dwordx2 v[29:30], v[29:30], off
	v_lshlrev_b64 v[66:67], 3, v[66:67]
	v_add_co_u32 v68, vcc_lo, s34, v66
	v_add_co_ci_u32_e64 v69, null, s35, v67, vcc_lo
	v_add_co_u32 v66, vcc_lo, s28, v66
	v_add_co_ci_u32_e64 v67, null, s29, v67, vcc_lo
	global_store_dwordx2 v[68:69], v[31:32], off offset:256
	s_waitcnt vmcnt(0)
	global_store_dwordx2 v[66:67], v[29:30], off offset:256
	s_or_b32 exec_lo, exec_lo, s4
	s_and_saveexec_b32 s4, s92
	s_cbranch_execz .LBB259_94
.LBB259_143:                            ;   in Loop: Header=BB259_21 Depth=1
	v_add_co_u32 v29, vcc_lo, v64, v63
	v_add_co_ci_u32_e64 v30, null, 0, v65, vcc_lo
	v_add_co_u32 v31, vcc_lo, v61, v17
	v_add_co_ci_u32_e64 v32, null, v62, v18, vcc_lo
	;; [unrolled: 2-line block ×4, first 2 shown]
	v_cndmask_b32_e64 v29, v31, v29, s0
	v_add_co_u32 v31, vcc_lo, v45, v0
	v_cndmask_b32_e64 v30, v32, v30, s0
	v_add_co_ci_u32_e64 v32, null, 0, v46, vcc_lo
	global_load_dwordx2 v[29:30], v[29:30], off
	v_lshlrev_b64 v[31:32], 3, v[31:32]
	v_add_co_u32 v66, vcc_lo, s34, v31
	v_add_co_ci_u32_e64 v67, null, s35, v32, vcc_lo
	v_add_co_u32 v31, vcc_lo, s28, v31
	v_add_co_ci_u32_e64 v32, null, s29, v32, vcc_lo
	global_store_dwordx2 v[66:67], v[33:34], off offset:512
	s_waitcnt vmcnt(0)
	global_store_dwordx2 v[31:32], v[29:30], off offset:512
	s_or_b32 exec_lo, exec_lo, s4
	s_and_saveexec_b32 s4, s11
	s_cbranch_execz .LBB259_95
.LBB259_144:                            ;   in Loop: Header=BB259_21 Depth=1
	v_add_co_u32 v29, vcc_lo, v64, v63
	v_add_co_ci_u32_e64 v30, null, 0, v65, vcc_lo
	v_add_co_u32 v31, vcc_lo, v61, v19
	v_add_co_ci_u32_e64 v32, null, v62, v20, vcc_lo
	;; [unrolled: 2-line block ×4, first 2 shown]
	v_cndmask_b32_e64 v29, v31, v29, s0
	v_add_co_u32 v31, vcc_lo, v45, v0
	v_cndmask_b32_e64 v30, v32, v30, s0
	v_add_co_ci_u32_e64 v32, null, 0, v46, vcc_lo
	global_load_dwordx2 v[29:30], v[29:30], off
	v_lshlrev_b64 v[31:32], 3, v[31:32]
	v_add_co_u32 v33, vcc_lo, s34, v31
	v_add_co_ci_u32_e64 v34, null, s35, v32, vcc_lo
	v_add_co_u32 v31, vcc_lo, s28, v31
	v_add_co_ci_u32_e64 v32, null, s29, v32, vcc_lo
	global_store_dwordx2 v[33:34], v[35:36], off offset:768
	s_waitcnt vmcnt(0)
	global_store_dwordx2 v[31:32], v[29:30], off offset:768
	s_or_b32 exec_lo, exec_lo, s4
	s_and_saveexec_b32 s4, s12
	s_cbranch_execz .LBB259_96
.LBB259_145:                            ;   in Loop: Header=BB259_21 Depth=1
	v_add_co_u32 v29, vcc_lo, v64, v63
	v_add_co_ci_u32_e64 v30, null, 0, v65, vcc_lo
	v_add_co_u32 v31, vcc_lo, v61, v21
	v_add_co_ci_u32_e64 v32, null, v62, v22, vcc_lo
	;; [unrolled: 2-line block ×4, first 2 shown]
	v_cndmask_b32_e64 v29, v31, v29, s0
	v_add_co_u32 v31, vcc_lo, v45, v0
	v_cndmask_b32_e64 v30, v32, v30, s0
	v_add_co_ci_u32_e64 v32, null, 0, v46, vcc_lo
	global_load_dwordx2 v[29:30], v[29:30], off
	v_lshlrev_b64 v[31:32], 3, v[31:32]
	v_add_co_u32 v33, vcc_lo, s34, v31
	v_add_co_ci_u32_e64 v34, null, s35, v32, vcc_lo
	v_add_co_u32 v31, vcc_lo, s28, v31
	v_add_co_ci_u32_e64 v32, null, s29, v32, vcc_lo
	global_store_dwordx2 v[33:34], v[37:38], off offset:1024
	s_waitcnt vmcnt(0)
	global_store_dwordx2 v[31:32], v[29:30], off offset:1024
	s_or_b32 exec_lo, exec_lo, s4
	s_and_saveexec_b32 s4, s13
	s_cbranch_execz .LBB259_97
.LBB259_146:                            ;   in Loop: Header=BB259_21 Depth=1
	v_add_co_u32 v29, vcc_lo, v64, v63
	v_add_co_ci_u32_e64 v30, null, 0, v65, vcc_lo
	v_add_co_u32 v31, vcc_lo, v61, v23
	v_add_co_ci_u32_e64 v32, null, v62, v24, vcc_lo
	;; [unrolled: 2-line block ×4, first 2 shown]
	v_cndmask_b32_e64 v29, v31, v29, s0
	v_add_co_u32 v31, vcc_lo, v45, v0
	v_cndmask_b32_e64 v30, v32, v30, s0
	v_add_co_ci_u32_e64 v32, null, 0, v46, vcc_lo
	global_load_dwordx2 v[29:30], v[29:30], off
	v_lshlrev_b64 v[31:32], 3, v[31:32]
	v_add_co_u32 v33, vcc_lo, s34, v31
	v_add_co_ci_u32_e64 v34, null, s35, v32, vcc_lo
	v_add_co_u32 v31, vcc_lo, s28, v31
	v_add_co_ci_u32_e64 v32, null, s29, v32, vcc_lo
	global_store_dwordx2 v[33:34], v[39:40], off offset:1280
	s_waitcnt vmcnt(0)
	global_store_dwordx2 v[31:32], v[29:30], off offset:1280
	s_or_b32 exec_lo, exec_lo, s4
	s_and_saveexec_b32 s4, s14
	s_cbranch_execz .LBB259_98
.LBB259_147:                            ;   in Loop: Header=BB259_21 Depth=1
	v_add_co_u32 v29, vcc_lo, v64, v63
	v_add_co_ci_u32_e64 v30, null, 0, v65, vcc_lo
	v_add_co_u32 v31, vcc_lo, v61, v25
	v_add_co_ci_u32_e64 v32, null, v62, v26, vcc_lo
	;; [unrolled: 2-line block ×4, first 2 shown]
	v_cndmask_b32_e64 v29, v31, v29, s0
	v_add_co_u32 v31, vcc_lo, v45, v0
	v_cndmask_b32_e64 v30, v32, v30, s0
	v_add_co_ci_u32_e64 v32, null, 0, v46, vcc_lo
	global_load_dwordx2 v[29:30], v[29:30], off
	v_lshlrev_b64 v[31:32], 3, v[31:32]
	v_add_co_u32 v33, vcc_lo, s34, v31
	v_add_co_ci_u32_e64 v34, null, s35, v32, vcc_lo
	v_add_co_u32 v31, vcc_lo, s28, v31
	v_add_co_ci_u32_e64 v32, null, s29, v32, vcc_lo
	global_store_dwordx2 v[33:34], v[41:42], off offset:1536
	s_waitcnt vmcnt(0)
	global_store_dwordx2 v[31:32], v[29:30], off offset:1536
	s_or_b32 exec_lo, exec_lo, s4
	s_and_saveexec_b32 s4, s9
	s_cbranch_execz .LBB259_20
.LBB259_148:                            ;   in Loop: Header=BB259_21 Depth=1
	v_add_co_u32 v29, vcc_lo, v64, v63
	v_add_co_ci_u32_e64 v30, null, 0, v65, vcc_lo
	v_add_co_u32 v31, vcc_lo, v61, v27
	v_add_co_ci_u32_e64 v32, null, v62, v28, vcc_lo
	v_cndmask_b32_e64 v29, v31, v29, s0
	v_add_co_u32 v31, vcc_lo, v45, v0
	v_cndmask_b32_e64 v30, v32, v30, s0
	v_add_co_ci_u32_e64 v32, null, 0, v46, vcc_lo
	global_load_dwordx2 v[29:30], v[29:30], off offset:1792
	v_lshlrev_b64 v[31:32], 3, v[31:32]
	v_add_co_u32 v33, vcc_lo, s34, v31
	v_add_co_ci_u32_e64 v34, null, s35, v32, vcc_lo
	v_add_co_u32 v31, vcc_lo, s28, v31
	v_add_co_ci_u32_e64 v32, null, s29, v32, vcc_lo
	global_store_dwordx2 v[33:34], v[43:44], off offset:1792
	s_waitcnt vmcnt(0)
	global_store_dwordx2 v[31:32], v[29:30], off offset:1792
	s_branch .LBB259_20
.LBB259_149:
	s_endpgm
	.section	.rodata,"a",@progbits
	.p2align	6, 0x0
	.amdhsa_kernel _ZN9rocsparseL35bsr2csr_block_per_row_33_256_kernelILj1024ELj256ELj32EdllEEv20rocsparse_direction_T4_S2_21rocsparse_index_base_PKT2_PKT3_PKS2_S2_S3_PS4_PS7_PS2_
		.amdhsa_group_segment_fixed_size 0
		.amdhsa_private_segment_fixed_size 0
		.amdhsa_kernarg_size 96
		.amdhsa_user_sgpr_count 6
		.amdhsa_user_sgpr_private_segment_buffer 1
		.amdhsa_user_sgpr_dispatch_ptr 0
		.amdhsa_user_sgpr_queue_ptr 0
		.amdhsa_user_sgpr_kernarg_segment_ptr 1
		.amdhsa_user_sgpr_dispatch_id 0
		.amdhsa_user_sgpr_flat_scratch_init 0
		.amdhsa_user_sgpr_private_segment_size 0
		.amdhsa_wavefront_size32 1
		.amdhsa_uses_dynamic_stack 0
		.amdhsa_system_sgpr_private_segment_wavefront_offset 0
		.amdhsa_system_sgpr_workgroup_id_x 1
		.amdhsa_system_sgpr_workgroup_id_y 0
		.amdhsa_system_sgpr_workgroup_id_z 0
		.amdhsa_system_sgpr_workgroup_info 0
		.amdhsa_system_vgpr_workitem_id 0
		.amdhsa_next_free_vgpr 72
		.amdhsa_next_free_sgpr 100
		.amdhsa_reserve_vcc 1
		.amdhsa_reserve_flat_scratch 0
		.amdhsa_float_round_mode_32 0
		.amdhsa_float_round_mode_16_64 0
		.amdhsa_float_denorm_mode_32 3
		.amdhsa_float_denorm_mode_16_64 3
		.amdhsa_dx10_clamp 1
		.amdhsa_ieee_mode 1
		.amdhsa_fp16_overflow 0
		.amdhsa_workgroup_processor_mode 1
		.amdhsa_memory_ordered 1
		.amdhsa_forward_progress 1
		.amdhsa_shared_vgpr_count 0
		.amdhsa_exception_fp_ieee_invalid_op 0
		.amdhsa_exception_fp_denorm_src 0
		.amdhsa_exception_fp_ieee_div_zero 0
		.amdhsa_exception_fp_ieee_overflow 0
		.amdhsa_exception_fp_ieee_underflow 0
		.amdhsa_exception_fp_ieee_inexact 0
		.amdhsa_exception_int_div_zero 0
	.end_amdhsa_kernel
	.section	.text._ZN9rocsparseL35bsr2csr_block_per_row_33_256_kernelILj1024ELj256ELj32EdllEEv20rocsparse_direction_T4_S2_21rocsparse_index_base_PKT2_PKT3_PKS2_S2_S3_PS4_PS7_PS2_,"axG",@progbits,_ZN9rocsparseL35bsr2csr_block_per_row_33_256_kernelILj1024ELj256ELj32EdllEEv20rocsparse_direction_T4_S2_21rocsparse_index_base_PKT2_PKT3_PKS2_S2_S3_PS4_PS7_PS2_,comdat
.Lfunc_end259:
	.size	_ZN9rocsparseL35bsr2csr_block_per_row_33_256_kernelILj1024ELj256ELj32EdllEEv20rocsparse_direction_T4_S2_21rocsparse_index_base_PKT2_PKT3_PKS2_S2_S3_PS4_PS7_PS2_, .Lfunc_end259-_ZN9rocsparseL35bsr2csr_block_per_row_33_256_kernelILj1024ELj256ELj32EdllEEv20rocsparse_direction_T4_S2_21rocsparse_index_base_PKT2_PKT3_PKS2_S2_S3_PS4_PS7_PS2_
                                        ; -- End function
	.set _ZN9rocsparseL35bsr2csr_block_per_row_33_256_kernelILj1024ELj256ELj32EdllEEv20rocsparse_direction_T4_S2_21rocsparse_index_base_PKT2_PKT3_PKS2_S2_S3_PS4_PS7_PS2_.num_vgpr, 72
	.set _ZN9rocsparseL35bsr2csr_block_per_row_33_256_kernelILj1024ELj256ELj32EdllEEv20rocsparse_direction_T4_S2_21rocsparse_index_base_PKT2_PKT3_PKS2_S2_S3_PS4_PS7_PS2_.num_agpr, 0
	.set _ZN9rocsparseL35bsr2csr_block_per_row_33_256_kernelILj1024ELj256ELj32EdllEEv20rocsparse_direction_T4_S2_21rocsparse_index_base_PKT2_PKT3_PKS2_S2_S3_PS4_PS7_PS2_.numbered_sgpr, 100
	.set _ZN9rocsparseL35bsr2csr_block_per_row_33_256_kernelILj1024ELj256ELj32EdllEEv20rocsparse_direction_T4_S2_21rocsparse_index_base_PKT2_PKT3_PKS2_S2_S3_PS4_PS7_PS2_.num_named_barrier, 0
	.set _ZN9rocsparseL35bsr2csr_block_per_row_33_256_kernelILj1024ELj256ELj32EdllEEv20rocsparse_direction_T4_S2_21rocsparse_index_base_PKT2_PKT3_PKS2_S2_S3_PS4_PS7_PS2_.private_seg_size, 0
	.set _ZN9rocsparseL35bsr2csr_block_per_row_33_256_kernelILj1024ELj256ELj32EdllEEv20rocsparse_direction_T4_S2_21rocsparse_index_base_PKT2_PKT3_PKS2_S2_S3_PS4_PS7_PS2_.uses_vcc, 1
	.set _ZN9rocsparseL35bsr2csr_block_per_row_33_256_kernelILj1024ELj256ELj32EdllEEv20rocsparse_direction_T4_S2_21rocsparse_index_base_PKT2_PKT3_PKS2_S2_S3_PS4_PS7_PS2_.uses_flat_scratch, 0
	.set _ZN9rocsparseL35bsr2csr_block_per_row_33_256_kernelILj1024ELj256ELj32EdllEEv20rocsparse_direction_T4_S2_21rocsparse_index_base_PKT2_PKT3_PKS2_S2_S3_PS4_PS7_PS2_.has_dyn_sized_stack, 0
	.set _ZN9rocsparseL35bsr2csr_block_per_row_33_256_kernelILj1024ELj256ELj32EdllEEv20rocsparse_direction_T4_S2_21rocsparse_index_base_PKT2_PKT3_PKS2_S2_S3_PS4_PS7_PS2_.has_recursion, 0
	.set _ZN9rocsparseL35bsr2csr_block_per_row_33_256_kernelILj1024ELj256ELj32EdllEEv20rocsparse_direction_T4_S2_21rocsparse_index_base_PKT2_PKT3_PKS2_S2_S3_PS4_PS7_PS2_.has_indirect_call, 0
	.section	.AMDGPU.csdata,"",@progbits
; Kernel info:
; codeLenInByte = 14200
; TotalNumSgprs: 102
; NumVgprs: 72
; ScratchSize: 0
; MemoryBound: 0
; FloatMode: 240
; IeeeMode: 1
; LDSByteSize: 0 bytes/workgroup (compile time only)
; SGPRBlocks: 0
; VGPRBlocks: 8
; NumSGPRsForWavesPerEU: 102
; NumVGPRsForWavesPerEU: 72
; Occupancy: 12
; WaveLimiterHint : 1
; COMPUTE_PGM_RSRC2:SCRATCH_EN: 0
; COMPUTE_PGM_RSRC2:USER_SGPR: 6
; COMPUTE_PGM_RSRC2:TRAP_HANDLER: 0
; COMPUTE_PGM_RSRC2:TGID_X_EN: 1
; COMPUTE_PGM_RSRC2:TGID_Y_EN: 0
; COMPUTE_PGM_RSRC2:TGID_Z_EN: 0
; COMPUTE_PGM_RSRC2:TIDIG_COMP_CNT: 0
	.section	.text._ZN9rocsparseL35bsr2csr_block_dim_equals_one_kernelILj1024E21rocsparse_complex_numIdEiiEEvT2_S3_21rocsparse_index_base_PKT0_PKT1_PKS3_S4_PS5_PS8_PS3_,"axG",@progbits,_ZN9rocsparseL35bsr2csr_block_dim_equals_one_kernelILj1024E21rocsparse_complex_numIdEiiEEvT2_S3_21rocsparse_index_base_PKT0_PKT1_PKS3_S4_PS5_PS8_PS3_,comdat
	.globl	_ZN9rocsparseL35bsr2csr_block_dim_equals_one_kernelILj1024E21rocsparse_complex_numIdEiiEEvT2_S3_21rocsparse_index_base_PKT0_PKT1_PKS3_S4_PS5_PS8_PS3_ ; -- Begin function _ZN9rocsparseL35bsr2csr_block_dim_equals_one_kernelILj1024E21rocsparse_complex_numIdEiiEEvT2_S3_21rocsparse_index_base_PKT0_PKT1_PKS3_S4_PS5_PS8_PS3_
	.p2align	8
	.type	_ZN9rocsparseL35bsr2csr_block_dim_equals_one_kernelILj1024E21rocsparse_complex_numIdEiiEEvT2_S3_21rocsparse_index_base_PKT0_PKT1_PKS3_S4_PS5_PS8_PS3_,@function
_ZN9rocsparseL35bsr2csr_block_dim_equals_one_kernelILj1024E21rocsparse_complex_numIdEiiEEvT2_S3_21rocsparse_index_base_PKT0_PKT1_PKS3_S4_PS5_PS8_PS3_: ; @_ZN9rocsparseL35bsr2csr_block_dim_equals_one_kernelILj1024E21rocsparse_complex_numIdEiiEEvT2_S3_21rocsparse_index_base_PKT0_PKT1_PKS3_S4_PS5_PS8_PS3_
; %bb.0:
	s_clause 0x6
	s_load_dword s0, s[4:5], 0x0
	s_load_dword s16, s[4:5], 0x8
	s_load_dwordx4 s[8:11], s[4:5], 0x10
	s_load_dwordx2 s[2:3], s[4:5], 0x20
	s_load_dwordx2 s[12:13], s[4:5], 0x40
	s_load_dword s17, s[4:5], 0x28
	s_load_dwordx2 s[14:15], s[4:5], 0x30
	v_lshl_or_b32 v0, s6, 10, v0
	s_mov_b32 s1, exec_lo
	s_waitcnt lgkmcnt(0)
	v_cmpx_gt_i32_e64 s0, v0
	s_cbranch_execz .LBB260_6
; %bb.1:
	s_load_dwordx2 s[6:7], s[4:5], 0x38
	s_mov_b32 s18, exec_lo
                                        ; implicit-def: $sgpr19
	v_cmpx_ne_u32_e32 0, v0
	s_xor_b32 s18, exec_lo, s18
; %bb.2:
	s_sub_i32 s19, s17, s16
; %bb.3:
	s_or_saveexec_b32 s18, s18
	v_mov_b32_e32 v2, s19
	s_xor_b32 exec_lo, exec_lo, s18
	s_cbranch_execz .LBB260_5
; %bb.4:
	s_load_dword s19, s[10:11], 0x0
	s_sub_i32 s20, s17, s16
	v_mov_b32_e32 v1, 0
	v_mov_b32_e32 v2, s20
	s_waitcnt lgkmcnt(0)
	s_add_i32 s19, s20, s19
	v_mov_b32_e32 v3, s19
	global_store_dword v1, v3, s[6:7]
.LBB260_5:
	s_or_b32 exec_lo, exec_lo, s18
	v_ashrrev_i32_e32 v1, 31, v0
	v_lshlrev_b64 v[3:4], 2, v[0:1]
	v_add_co_u32 v5, vcc_lo, s10, v3
	v_add_co_ci_u32_e64 v6, null, s11, v4, vcc_lo
	global_load_dword v1, v[5:6], off offset:4
	s_waitcnt vmcnt(0)
	v_add_nc_u32_e32 v5, v2, v1
	s_waitcnt lgkmcnt(0)
	v_add_co_u32 v1, vcc_lo, s6, v3
	v_add_co_ci_u32_e64 v2, null, s7, v4, vcc_lo
	global_store_dword v[1:2], v5, off offset:4
.LBB260_6:
	s_or_b32 exec_lo, exec_lo, s1
	s_ashr_i32 s1, s0, 31
	s_lshl_b64 s[0:1], s[0:1], 2
	s_add_u32 s0, s10, s0
	s_addc_u32 s1, s11, s1
	s_clause 0x1
	s_load_dword s0, s[0:1], 0x0
	s_load_dword s1, s[10:11], 0x0
	s_waitcnt lgkmcnt(0)
	s_sub_i32 s1, s0, s1
	s_mov_b32 s0, exec_lo
	v_cmpx_gt_i32_e64 s1, v0
	s_cbranch_execz .LBB260_9
; %bb.7:
	s_load_dword s0, s[4:5], 0x48
	s_sub_i32 s4, s17, s16
	s_mov_b32 s6, 0
	s_waitcnt lgkmcnt(0)
	s_lshl_b32 s5, s0, 10
	s_inst_prefetch 0x1
	.p2align	6
.LBB260_8:                              ; =>This Inner Loop Header: Depth=1
	v_ashrrev_i32_e32 v1, 31, v0
	v_lshlrev_b64 v[5:6], 2, v[0:1]
	v_lshlrev_b64 v[7:8], 4, v[0:1]
	v_add_nc_u32_e32 v0, s5, v0
	v_add_co_u32 v2, vcc_lo, s2, v5
	v_add_co_ci_u32_e64 v3, null, s3, v6, vcc_lo
	v_add_co_u32 v1, vcc_lo, s8, v7
	v_add_co_u32 v5, s0, s12, v5
	global_load_dword v9, v[2:3], off
	v_add_co_ci_u32_e64 v2, null, s9, v8, vcc_lo
	v_cmp_le_i32_e32 vcc_lo, s1, v0
	v_add_co_ci_u32_e64 v6, null, s13, v6, s0
	global_load_dwordx4 v[1:4], v[1:2], off
	v_add_co_u32 v7, s0, s14, v7
	v_add_co_ci_u32_e64 v8, null, s15, v8, s0
	s_or_b32 s6, vcc_lo, s6
	s_waitcnt vmcnt(1)
	v_add_nc_u32_e32 v9, s4, v9
	global_store_dword v[5:6], v9, off
	s_waitcnt vmcnt(0)
	global_store_dwordx4 v[7:8], v[1:4], off
	s_andn2_b32 exec_lo, exec_lo, s6
	s_cbranch_execnz .LBB260_8
.LBB260_9:
	s_inst_prefetch 0x2
	s_endpgm
	.section	.rodata,"a",@progbits
	.p2align	6, 0x0
	.amdhsa_kernel _ZN9rocsparseL35bsr2csr_block_dim_equals_one_kernelILj1024E21rocsparse_complex_numIdEiiEEvT2_S3_21rocsparse_index_base_PKT0_PKT1_PKS3_S4_PS5_PS8_PS3_
		.amdhsa_group_segment_fixed_size 0
		.amdhsa_private_segment_fixed_size 0
		.amdhsa_kernarg_size 328
		.amdhsa_user_sgpr_count 6
		.amdhsa_user_sgpr_private_segment_buffer 1
		.amdhsa_user_sgpr_dispatch_ptr 0
		.amdhsa_user_sgpr_queue_ptr 0
		.amdhsa_user_sgpr_kernarg_segment_ptr 1
		.amdhsa_user_sgpr_dispatch_id 0
		.amdhsa_user_sgpr_flat_scratch_init 0
		.amdhsa_user_sgpr_private_segment_size 0
		.amdhsa_wavefront_size32 1
		.amdhsa_uses_dynamic_stack 0
		.amdhsa_system_sgpr_private_segment_wavefront_offset 0
		.amdhsa_system_sgpr_workgroup_id_x 1
		.amdhsa_system_sgpr_workgroup_id_y 0
		.amdhsa_system_sgpr_workgroup_id_z 0
		.amdhsa_system_sgpr_workgroup_info 0
		.amdhsa_system_vgpr_workitem_id 0
		.amdhsa_next_free_vgpr 10
		.amdhsa_next_free_sgpr 21
		.amdhsa_reserve_vcc 1
		.amdhsa_reserve_flat_scratch 0
		.amdhsa_float_round_mode_32 0
		.amdhsa_float_round_mode_16_64 0
		.amdhsa_float_denorm_mode_32 3
		.amdhsa_float_denorm_mode_16_64 3
		.amdhsa_dx10_clamp 1
		.amdhsa_ieee_mode 1
		.amdhsa_fp16_overflow 0
		.amdhsa_workgroup_processor_mode 1
		.amdhsa_memory_ordered 1
		.amdhsa_forward_progress 1
		.amdhsa_shared_vgpr_count 0
		.amdhsa_exception_fp_ieee_invalid_op 0
		.amdhsa_exception_fp_denorm_src 0
		.amdhsa_exception_fp_ieee_div_zero 0
		.amdhsa_exception_fp_ieee_overflow 0
		.amdhsa_exception_fp_ieee_underflow 0
		.amdhsa_exception_fp_ieee_inexact 0
		.amdhsa_exception_int_div_zero 0
	.end_amdhsa_kernel
	.section	.text._ZN9rocsparseL35bsr2csr_block_dim_equals_one_kernelILj1024E21rocsparse_complex_numIdEiiEEvT2_S3_21rocsparse_index_base_PKT0_PKT1_PKS3_S4_PS5_PS8_PS3_,"axG",@progbits,_ZN9rocsparseL35bsr2csr_block_dim_equals_one_kernelILj1024E21rocsparse_complex_numIdEiiEEvT2_S3_21rocsparse_index_base_PKT0_PKT1_PKS3_S4_PS5_PS8_PS3_,comdat
.Lfunc_end260:
	.size	_ZN9rocsparseL35bsr2csr_block_dim_equals_one_kernelILj1024E21rocsparse_complex_numIdEiiEEvT2_S3_21rocsparse_index_base_PKT0_PKT1_PKS3_S4_PS5_PS8_PS3_, .Lfunc_end260-_ZN9rocsparseL35bsr2csr_block_dim_equals_one_kernelILj1024E21rocsparse_complex_numIdEiiEEvT2_S3_21rocsparse_index_base_PKT0_PKT1_PKS3_S4_PS5_PS8_PS3_
                                        ; -- End function
	.set _ZN9rocsparseL35bsr2csr_block_dim_equals_one_kernelILj1024E21rocsparse_complex_numIdEiiEEvT2_S3_21rocsparse_index_base_PKT0_PKT1_PKS3_S4_PS5_PS8_PS3_.num_vgpr, 10
	.set _ZN9rocsparseL35bsr2csr_block_dim_equals_one_kernelILj1024E21rocsparse_complex_numIdEiiEEvT2_S3_21rocsparse_index_base_PKT0_PKT1_PKS3_S4_PS5_PS8_PS3_.num_agpr, 0
	.set _ZN9rocsparseL35bsr2csr_block_dim_equals_one_kernelILj1024E21rocsparse_complex_numIdEiiEEvT2_S3_21rocsparse_index_base_PKT0_PKT1_PKS3_S4_PS5_PS8_PS3_.numbered_sgpr, 21
	.set _ZN9rocsparseL35bsr2csr_block_dim_equals_one_kernelILj1024E21rocsparse_complex_numIdEiiEEvT2_S3_21rocsparse_index_base_PKT0_PKT1_PKS3_S4_PS5_PS8_PS3_.num_named_barrier, 0
	.set _ZN9rocsparseL35bsr2csr_block_dim_equals_one_kernelILj1024E21rocsparse_complex_numIdEiiEEvT2_S3_21rocsparse_index_base_PKT0_PKT1_PKS3_S4_PS5_PS8_PS3_.private_seg_size, 0
	.set _ZN9rocsparseL35bsr2csr_block_dim_equals_one_kernelILj1024E21rocsparse_complex_numIdEiiEEvT2_S3_21rocsparse_index_base_PKT0_PKT1_PKS3_S4_PS5_PS8_PS3_.uses_vcc, 1
	.set _ZN9rocsparseL35bsr2csr_block_dim_equals_one_kernelILj1024E21rocsparse_complex_numIdEiiEEvT2_S3_21rocsparse_index_base_PKT0_PKT1_PKS3_S4_PS5_PS8_PS3_.uses_flat_scratch, 0
	.set _ZN9rocsparseL35bsr2csr_block_dim_equals_one_kernelILj1024E21rocsparse_complex_numIdEiiEEvT2_S3_21rocsparse_index_base_PKT0_PKT1_PKS3_S4_PS5_PS8_PS3_.has_dyn_sized_stack, 0
	.set _ZN9rocsparseL35bsr2csr_block_dim_equals_one_kernelILj1024E21rocsparse_complex_numIdEiiEEvT2_S3_21rocsparse_index_base_PKT0_PKT1_PKS3_S4_PS5_PS8_PS3_.has_recursion, 0
	.set _ZN9rocsparseL35bsr2csr_block_dim_equals_one_kernelILj1024E21rocsparse_complex_numIdEiiEEvT2_S3_21rocsparse_index_base_PKT0_PKT1_PKS3_S4_PS5_PS8_PS3_.has_indirect_call, 0
	.section	.AMDGPU.csdata,"",@progbits
; Kernel info:
; codeLenInByte = 540
; TotalNumSgprs: 23
; NumVgprs: 10
; ScratchSize: 0
; MemoryBound: 0
; FloatMode: 240
; IeeeMode: 1
; LDSByteSize: 0 bytes/workgroup (compile time only)
; SGPRBlocks: 0
; VGPRBlocks: 1
; NumSGPRsForWavesPerEU: 23
; NumVGPRsForWavesPerEU: 10
; Occupancy: 16
; WaveLimiterHint : 0
; COMPUTE_PGM_RSRC2:SCRATCH_EN: 0
; COMPUTE_PGM_RSRC2:USER_SGPR: 6
; COMPUTE_PGM_RSRC2:TRAP_HANDLER: 0
; COMPUTE_PGM_RSRC2:TGID_X_EN: 1
; COMPUTE_PGM_RSRC2:TGID_Y_EN: 0
; COMPUTE_PGM_RSRC2:TGID_Z_EN: 0
; COMPUTE_PGM_RSRC2:TIDIG_COMP_CNT: 0
	.section	.text._ZN9rocsparseL32bsr2csr_block_per_row_2_7_kernelILj256ELj2E21rocsparse_complex_numIdEiiEEv20rocsparse_direction_T3_S4_21rocsparse_index_base_PKT1_PKT2_PKS4_S4_S5_PS6_PS9_PS4_,"axG",@progbits,_ZN9rocsparseL32bsr2csr_block_per_row_2_7_kernelILj256ELj2E21rocsparse_complex_numIdEiiEEv20rocsparse_direction_T3_S4_21rocsparse_index_base_PKT1_PKT2_PKS4_S4_S5_PS6_PS9_PS4_,comdat
	.globl	_ZN9rocsparseL32bsr2csr_block_per_row_2_7_kernelILj256ELj2E21rocsparse_complex_numIdEiiEEv20rocsparse_direction_T3_S4_21rocsparse_index_base_PKT1_PKT2_PKS4_S4_S5_PS6_PS9_PS4_ ; -- Begin function _ZN9rocsparseL32bsr2csr_block_per_row_2_7_kernelILj256ELj2E21rocsparse_complex_numIdEiiEEv20rocsparse_direction_T3_S4_21rocsparse_index_base_PKT1_PKT2_PKS4_S4_S5_PS6_PS9_PS4_
	.p2align	8
	.type	_ZN9rocsparseL32bsr2csr_block_per_row_2_7_kernelILj256ELj2E21rocsparse_complex_numIdEiiEEv20rocsparse_direction_T3_S4_21rocsparse_index_base_PKT1_PKT2_PKS4_S4_S5_PS6_PS9_PS4_,@function
_ZN9rocsparseL32bsr2csr_block_per_row_2_7_kernelILj256ELj2E21rocsparse_complex_numIdEiiEEv20rocsparse_direction_T3_S4_21rocsparse_index_base_PKT1_PKT2_PKS4_S4_S5_PS6_PS9_PS4_: ; @_ZN9rocsparseL32bsr2csr_block_per_row_2_7_kernelILj256ELj2E21rocsparse_complex_numIdEiiEEv20rocsparse_direction_T3_S4_21rocsparse_index_base_PKT1_PKT2_PKS4_S4_S5_PS6_PS9_PS4_
; %bb.0:
	s_load_dwordx2 s[0:1], s[4:5], 0x18
	s_ashr_i32 s7, s6, 31
	s_clause 0x1
	s_load_dword s10, s[4:5], 0x2c
	s_load_dwordx2 s[2:3], s[4:5], 0x38
	s_lshl_b64 s[8:9], s[6:7], 2
	v_or_b32_e32 v1, s6, v0
	s_mov_b32 s7, exec_lo
	s_waitcnt lgkmcnt(0)
	s_add_u32 s0, s0, s8
	s_addc_u32 s1, s1, s9
	s_load_dwordx2 s[0:1], s[0:1], 0x0
	v_cmpx_eq_u32_e32 0, v1
	s_cbranch_execz .LBB261_2
; %bb.1:
	v_mov_b32_e32 v1, 0
	v_mov_b32_e32 v2, s10
	global_store_dword v1, v2, s[2:3]
.LBB261_2:
	s_or_b32 exec_lo, exec_lo, s7
	s_load_dword s11, s[4:5], 0xc
	v_and_b32_e32 v4, 1, v0
	v_mov_b32_e32 v2, 0
	v_lshrrev_b32_e32 v0, 1, v0
	v_lshl_or_b32 v1, s6, 1, v4
	v_add_nc_u32_e32 v1, 1, v1
	v_lshlrev_b64 v[6:7], 2, v[1:2]
	s_waitcnt lgkmcnt(0)
	s_sub_i32 s6, s0, s11
	s_sub_i32 s12, s1, s11
	s_lshl_b32 s7, s6, 2
	s_sub_i32 s1, s12, s6
	v_add_co_u32 v6, vcc_lo, s2, v6
	s_lshl_b32 s1, s1, 1
	v_add_nc_u32_e32 v3, s6, v0
	v_mul_lo_u32 v5, s1, v4
	s_add_i32 s1, s1, s10
	v_add_co_ci_u32_e64 v7, null, s3, v7, vcc_lo
	v_add3_u32 v1, s1, s7, v5
	s_mov_b32 s1, exec_lo
	global_store_dword v[6:7], v1, off
	v_cmpx_gt_i32_e64 s12, v3
	s_cbranch_execz .LBB261_5
; %bb.3:
	s_clause 0x4
	s_load_dwordx2 s[2:3], s[4:5], 0x20
	s_load_dwordx2 s[6:7], s[4:5], 0x30
	s_load_dword s1, s[4:5], 0x0
	s_load_dwordx2 s[8:9], s[4:5], 0x10
	s_load_dwordx2 s[4:5], s[4:5], 0x40
	v_lshlrev_b32_e32 v0, 1, v0
	v_lshlrev_b32_e32 v1, 2, v3
	s_mov_b32 s13, 0
	v_or_b32_e32 v6, v1, v4
	s_waitcnt lgkmcnt(0)
	s_cmp_eq_u32 s1, 0
	s_cselect_b32 vcc_lo, -1, 0
	s_lshl_b32 s0, s0, 2
	v_add3_u32 v0, v5, s0, v0
	s_lshl_b32 s0, s11, 2
	v_lshl_or_b32 v5, v4, 1, v1
	v_subrev_nc_u32_e32 v0, s0, v0
.LBB261_4:                              ; =>This Inner Loop Header: Depth=1
	v_ashrrev_i32_e32 v4, 31, v3
	v_cndmask_b32_e32 v1, v6, v5, vcc_lo
	v_add_nc_u32_e32 v11, 1, v5
	v_add_nc_u32_e32 v5, 0x200, v5
	v_lshlrev_b64 v[7:8], 2, v[3:4]
	v_add_nc_u32_e32 v4, 2, v6
	v_lshlrev_b64 v[9:10], 4, v[1:2]
	v_add_nc_u32_e32 v3, 0x80, v3
	v_add_nc_u32_e32 v6, 0x200, v6
	v_cndmask_b32_e32 v1, v4, v11, vcc_lo
	v_add_co_u32 v7, s0, s2, v7
	v_add_co_ci_u32_e64 v8, null, s3, v8, s0
	v_add_co_u32 v9, s0, s8, v9
	v_add_co_ci_u32_e64 v10, null, s9, v10, s0
	global_load_dword v4, v[7:8], off
	v_lshlrev_b64 v[7:8], 4, v[1:2]
	v_ashrrev_i32_e32 v1, 31, v0
	v_lshlrev_b64 v[15:16], 4, v[0:1]
	v_add_co_u32 v11, s0, s8, v7
	v_add_co_ci_u32_e64 v12, null, s9, v8, s0
	s_clause 0x1
	global_load_dwordx4 v[7:10], v[9:10], off
	global_load_dwordx4 v[11:14], v[11:12], off
	v_lshlrev_b64 v[17:18], 2, v[0:1]
	v_cmp_le_i32_e64 s0, s12, v3
	v_add_co_u32 v15, s1, s6, v15
	v_add_co_ci_u32_e64 v16, null, s7, v16, s1
	v_add_co_u32 v17, s1, s4, v17
	v_add_nc_u32_e32 v0, 0x100, v0
	v_add_co_ci_u32_e64 v18, null, s5, v18, s1
	s_or_b32 s13, s0, s13
	s_waitcnt vmcnt(2)
	v_subrev_nc_u32_e32 v1, s11, v4
	v_lshl_add_u32 v19, v1, 1, s10
	v_add_nc_u32_e32 v20, 1, v19
	s_waitcnt vmcnt(1)
	global_store_dwordx4 v[15:16], v[7:10], off
	s_waitcnt vmcnt(0)
	global_store_dwordx4 v[15:16], v[11:14], off offset:16
	global_store_dwordx2 v[17:18], v[19:20], off
	s_andn2_b32 exec_lo, exec_lo, s13
	s_cbranch_execnz .LBB261_4
.LBB261_5:
	s_endpgm
	.section	.rodata,"a",@progbits
	.p2align	6, 0x0
	.amdhsa_kernel _ZN9rocsparseL32bsr2csr_block_per_row_2_7_kernelILj256ELj2E21rocsparse_complex_numIdEiiEEv20rocsparse_direction_T3_S4_21rocsparse_index_base_PKT1_PKT2_PKS4_S4_S5_PS6_PS9_PS4_
		.amdhsa_group_segment_fixed_size 0
		.amdhsa_private_segment_fixed_size 0
		.amdhsa_kernarg_size 72
		.amdhsa_user_sgpr_count 6
		.amdhsa_user_sgpr_private_segment_buffer 1
		.amdhsa_user_sgpr_dispatch_ptr 0
		.amdhsa_user_sgpr_queue_ptr 0
		.amdhsa_user_sgpr_kernarg_segment_ptr 1
		.amdhsa_user_sgpr_dispatch_id 0
		.amdhsa_user_sgpr_flat_scratch_init 0
		.amdhsa_user_sgpr_private_segment_size 0
		.amdhsa_wavefront_size32 1
		.amdhsa_uses_dynamic_stack 0
		.amdhsa_system_sgpr_private_segment_wavefront_offset 0
		.amdhsa_system_sgpr_workgroup_id_x 1
		.amdhsa_system_sgpr_workgroup_id_y 0
		.amdhsa_system_sgpr_workgroup_id_z 0
		.amdhsa_system_sgpr_workgroup_info 0
		.amdhsa_system_vgpr_workitem_id 0
		.amdhsa_next_free_vgpr 21
		.amdhsa_next_free_sgpr 14
		.amdhsa_reserve_vcc 1
		.amdhsa_reserve_flat_scratch 0
		.amdhsa_float_round_mode_32 0
		.amdhsa_float_round_mode_16_64 0
		.amdhsa_float_denorm_mode_32 3
		.amdhsa_float_denorm_mode_16_64 3
		.amdhsa_dx10_clamp 1
		.amdhsa_ieee_mode 1
		.amdhsa_fp16_overflow 0
		.amdhsa_workgroup_processor_mode 1
		.amdhsa_memory_ordered 1
		.amdhsa_forward_progress 1
		.amdhsa_shared_vgpr_count 0
		.amdhsa_exception_fp_ieee_invalid_op 0
		.amdhsa_exception_fp_denorm_src 0
		.amdhsa_exception_fp_ieee_div_zero 0
		.amdhsa_exception_fp_ieee_overflow 0
		.amdhsa_exception_fp_ieee_underflow 0
		.amdhsa_exception_fp_ieee_inexact 0
		.amdhsa_exception_int_div_zero 0
	.end_amdhsa_kernel
	.section	.text._ZN9rocsparseL32bsr2csr_block_per_row_2_7_kernelILj256ELj2E21rocsparse_complex_numIdEiiEEv20rocsparse_direction_T3_S4_21rocsparse_index_base_PKT1_PKT2_PKS4_S4_S5_PS6_PS9_PS4_,"axG",@progbits,_ZN9rocsparseL32bsr2csr_block_per_row_2_7_kernelILj256ELj2E21rocsparse_complex_numIdEiiEEv20rocsparse_direction_T3_S4_21rocsparse_index_base_PKT1_PKT2_PKS4_S4_S5_PS6_PS9_PS4_,comdat
.Lfunc_end261:
	.size	_ZN9rocsparseL32bsr2csr_block_per_row_2_7_kernelILj256ELj2E21rocsparse_complex_numIdEiiEEv20rocsparse_direction_T3_S4_21rocsparse_index_base_PKT1_PKT2_PKS4_S4_S5_PS6_PS9_PS4_, .Lfunc_end261-_ZN9rocsparseL32bsr2csr_block_per_row_2_7_kernelILj256ELj2E21rocsparse_complex_numIdEiiEEv20rocsparse_direction_T3_S4_21rocsparse_index_base_PKT1_PKT2_PKS4_S4_S5_PS6_PS9_PS4_
                                        ; -- End function
	.set _ZN9rocsparseL32bsr2csr_block_per_row_2_7_kernelILj256ELj2E21rocsparse_complex_numIdEiiEEv20rocsparse_direction_T3_S4_21rocsparse_index_base_PKT1_PKT2_PKS4_S4_S5_PS6_PS9_PS4_.num_vgpr, 21
	.set _ZN9rocsparseL32bsr2csr_block_per_row_2_7_kernelILj256ELj2E21rocsparse_complex_numIdEiiEEv20rocsparse_direction_T3_S4_21rocsparse_index_base_PKT1_PKT2_PKS4_S4_S5_PS6_PS9_PS4_.num_agpr, 0
	.set _ZN9rocsparseL32bsr2csr_block_per_row_2_7_kernelILj256ELj2E21rocsparse_complex_numIdEiiEEv20rocsparse_direction_T3_S4_21rocsparse_index_base_PKT1_PKT2_PKS4_S4_S5_PS6_PS9_PS4_.numbered_sgpr, 14
	.set _ZN9rocsparseL32bsr2csr_block_per_row_2_7_kernelILj256ELj2E21rocsparse_complex_numIdEiiEEv20rocsparse_direction_T3_S4_21rocsparse_index_base_PKT1_PKT2_PKS4_S4_S5_PS6_PS9_PS4_.num_named_barrier, 0
	.set _ZN9rocsparseL32bsr2csr_block_per_row_2_7_kernelILj256ELj2E21rocsparse_complex_numIdEiiEEv20rocsparse_direction_T3_S4_21rocsparse_index_base_PKT1_PKT2_PKS4_S4_S5_PS6_PS9_PS4_.private_seg_size, 0
	.set _ZN9rocsparseL32bsr2csr_block_per_row_2_7_kernelILj256ELj2E21rocsparse_complex_numIdEiiEEv20rocsparse_direction_T3_S4_21rocsparse_index_base_PKT1_PKT2_PKS4_S4_S5_PS6_PS9_PS4_.uses_vcc, 1
	.set _ZN9rocsparseL32bsr2csr_block_per_row_2_7_kernelILj256ELj2E21rocsparse_complex_numIdEiiEEv20rocsparse_direction_T3_S4_21rocsparse_index_base_PKT1_PKT2_PKS4_S4_S5_PS6_PS9_PS4_.uses_flat_scratch, 0
	.set _ZN9rocsparseL32bsr2csr_block_per_row_2_7_kernelILj256ELj2E21rocsparse_complex_numIdEiiEEv20rocsparse_direction_T3_S4_21rocsparse_index_base_PKT1_PKT2_PKS4_S4_S5_PS6_PS9_PS4_.has_dyn_sized_stack, 0
	.set _ZN9rocsparseL32bsr2csr_block_per_row_2_7_kernelILj256ELj2E21rocsparse_complex_numIdEiiEEv20rocsparse_direction_T3_S4_21rocsparse_index_base_PKT1_PKT2_PKS4_S4_S5_PS6_PS9_PS4_.has_recursion, 0
	.set _ZN9rocsparseL32bsr2csr_block_per_row_2_7_kernelILj256ELj2E21rocsparse_complex_numIdEiiEEv20rocsparse_direction_T3_S4_21rocsparse_index_base_PKT1_PKT2_PKS4_S4_S5_PS6_PS9_PS4_.has_indirect_call, 0
	.section	.AMDGPU.csdata,"",@progbits
; Kernel info:
; codeLenInByte = 600
; TotalNumSgprs: 16
; NumVgprs: 21
; ScratchSize: 0
; MemoryBound: 0
; FloatMode: 240
; IeeeMode: 1
; LDSByteSize: 0 bytes/workgroup (compile time only)
; SGPRBlocks: 0
; VGPRBlocks: 2
; NumSGPRsForWavesPerEU: 16
; NumVGPRsForWavesPerEU: 21
; Occupancy: 16
; WaveLimiterHint : 0
; COMPUTE_PGM_RSRC2:SCRATCH_EN: 0
; COMPUTE_PGM_RSRC2:USER_SGPR: 6
; COMPUTE_PGM_RSRC2:TRAP_HANDLER: 0
; COMPUTE_PGM_RSRC2:TGID_X_EN: 1
; COMPUTE_PGM_RSRC2:TGID_Y_EN: 0
; COMPUTE_PGM_RSRC2:TGID_Z_EN: 0
; COMPUTE_PGM_RSRC2:TIDIG_COMP_CNT: 0
	.section	.text._ZN9rocsparseL32bsr2csr_block_per_row_2_7_kernelILj256ELj3E21rocsparse_complex_numIdEiiEEv20rocsparse_direction_T3_S4_21rocsparse_index_base_PKT1_PKT2_PKS4_S4_S5_PS6_PS9_PS4_,"axG",@progbits,_ZN9rocsparseL32bsr2csr_block_per_row_2_7_kernelILj256ELj3E21rocsparse_complex_numIdEiiEEv20rocsparse_direction_T3_S4_21rocsparse_index_base_PKT1_PKT2_PKS4_S4_S5_PS6_PS9_PS4_,comdat
	.globl	_ZN9rocsparseL32bsr2csr_block_per_row_2_7_kernelILj256ELj3E21rocsparse_complex_numIdEiiEEv20rocsparse_direction_T3_S4_21rocsparse_index_base_PKT1_PKT2_PKS4_S4_S5_PS6_PS9_PS4_ ; -- Begin function _ZN9rocsparseL32bsr2csr_block_per_row_2_7_kernelILj256ELj3E21rocsparse_complex_numIdEiiEEv20rocsparse_direction_T3_S4_21rocsparse_index_base_PKT1_PKT2_PKS4_S4_S5_PS6_PS9_PS4_
	.p2align	8
	.type	_ZN9rocsparseL32bsr2csr_block_per_row_2_7_kernelILj256ELj3E21rocsparse_complex_numIdEiiEEv20rocsparse_direction_T3_S4_21rocsparse_index_base_PKT1_PKT2_PKS4_S4_S5_PS6_PS9_PS4_,@function
_ZN9rocsparseL32bsr2csr_block_per_row_2_7_kernelILj256ELj3E21rocsparse_complex_numIdEiiEEv20rocsparse_direction_T3_S4_21rocsparse_index_base_PKT1_PKT2_PKS4_S4_S5_PS6_PS9_PS4_: ; @_ZN9rocsparseL32bsr2csr_block_per_row_2_7_kernelILj256ELj3E21rocsparse_complex_numIdEiiEEv20rocsparse_direction_T3_S4_21rocsparse_index_base_PKT1_PKT2_PKS4_S4_S5_PS6_PS9_PS4_
; %bb.0:
	s_clause 0x2
	s_load_dwordx2 s[8:9], s[4:5], 0x18
	s_load_dword s2, s[4:5], 0x2c
	s_load_dwordx2 s[0:1], s[4:5], 0x38
	s_ashr_i32 s7, s6, 31
	v_or_b32_e32 v1, s6, v0
	s_lshl_b64 s[10:11], s[6:7], 2
	s_mov_b32 s3, exec_lo
	s_waitcnt lgkmcnt(0)
	s_add_u32 s8, s8, s10
	s_addc_u32 s9, s9, s11
	v_cmpx_eq_u32_e32 0, v1
	s_cbranch_execz .LBB262_2
; %bb.1:
	v_mov_b32_e32 v1, 0
	v_mov_b32_e32 v2, s2
	global_store_dword v1, v2, s[0:1]
.LBB262_2:
	s_or_b32 exec_lo, exec_lo, s3
	v_and_b32_e32 v3, 3, v0
	s_mov_b32 s3, exec_lo
	v_cmpx_ne_u32_e32 3, v3
	s_cbranch_execz .LBB262_6
; %bb.3:
	s_load_dwordx2 s[12:13], s[8:9], 0x0
	s_load_dword s3, s[4:5], 0xc
	s_mul_i32 s6, s6, 3
	v_mov_b32_e32 v2, 0
	v_add3_u32 v1, v3, s6, 1
	v_lshrrev_b32_e32 v5, 2, v0
	v_lshlrev_b64 v[6:7], 2, v[1:2]
	v_add_co_u32 v6, vcc_lo, s0, v6
	v_add_co_ci_u32_e64 v7, null, s1, v7, vcc_lo
	s_waitcnt lgkmcnt(0)
	s_sub_i32 s7, s12, s3
	s_sub_i32 s13, s13, s3
	v_add_nc_u32_e32 v0, s7, v5
	s_sub_i32 s8, s13, s7
	s_mul_i32 s6, s7, 9
	s_mul_i32 s8, s8, 3
	v_mul_lo_u32 v4, s8, v3
	s_add_i32 s8, s8, s2
	v_cmp_gt_i32_e32 vcc_lo, s13, v0
	v_add3_u32 v1, s8, s6, v4
	global_store_dword v[6:7], v1, off
	s_and_b32 exec_lo, exec_lo, vcc_lo
	s_cbranch_execz .LBB262_6
; %bb.4:
	s_clause 0x3
	s_load_dwordx2 s[6:7], s[4:5], 0x20
	s_load_dwordx2 s[8:9], s[4:5], 0x30
	s_load_dword s0, s[4:5], 0x0
	s_load_dwordx2 s[10:11], s[4:5], 0x10
	v_add_nc_u32_e32 v1, s12, v5
	s_load_dwordx2 s[4:5], s[4:5], 0x40
	v_mul_u32_u24_e32 v5, 3, v5
	s_mul_i32 s1, s12, 9
	s_mov_b32 s12, 0
	v_lshl_add_u32 v1, v1, 3, v1
	s_mov_b32 s14, 0
	v_add3_u32 v5, v4, s1, v5
	s_mul_i32 s1, s3, 9
	v_mad_u32_u24 v1, v3, 3, v1
	v_mad_u64_u32 v[3:4], null, v0, 9, v[3:4]
	v_subrev_nc_u32_e32 v4, s1, v5
	v_subrev_nc_u32_e32 v6, s1, v1
	s_waitcnt lgkmcnt(0)
	s_cmp_eq_u32 s0, 0
	s_cselect_b32 vcc_lo, -1, 0
.LBB262_5:                              ; =>This Inner Loop Header: Depth=1
	v_ashrrev_i32_e32 v1, 31, v0
	v_add_nc_u32_e32 v5, s14, v3
	v_add_nc_u32_e32 v9, s14, v6
	s_addk_i32 s14, 0x240
	v_lshlrev_b64 v[7:8], 2, v[0:1]
	v_add_nc_u32_e32 v12, 3, v5
	v_cndmask_b32_e32 v1, v5, v9, vcc_lo
	v_add_nc_u32_e32 v11, 1, v9
	v_add_nc_u32_e32 v13, 2, v9
	;; [unrolled: 1-line block ×3, first 2 shown]
	v_add_co_u32 v7, s0, s6, v7
	v_lshlrev_b64 v[9:10], 4, v[1:2]
	v_cndmask_b32_e32 v1, v12, v11, vcc_lo
	v_add_co_ci_u32_e64 v8, null, s7, v8, s0
	v_add_nc_u32_e32 v0, 64, v0
	v_lshlrev_b64 v[11:12], 4, v[1:2]
	v_cndmask_b32_e32 v1, v5, v13, vcc_lo
	global_load_dword v19, v[7:8], off
	v_add_co_u32 v7, s0, s10, v9
	v_add_co_ci_u32_e64 v8, null, s11, v10, s0
	v_lshlrev_b64 v[9:10], 4, v[1:2]
	v_add_co_u32 v11, s0, s10, v11
	v_add_co_ci_u32_e64 v12, null, s11, v12, s0
	v_ashrrev_i32_e32 v5, 31, v4
	v_add_co_u32 v15, s0, s10, v9
	v_add_co_ci_u32_e64 v16, null, s11, v10, s0
	s_clause 0x2
	global_load_dwordx4 v[7:10], v[7:8], off
	global_load_dwordx4 v[11:14], v[11:12], off
	;; [unrolled: 1-line block ×3, first 2 shown]
	v_lshlrev_b64 v[23:24], 4, v[4:5]
	v_lshlrev_b64 v[21:22], 2, v[4:5]
	v_cmp_le_i32_e64 s0, s13, v0
	v_add_nc_u32_e32 v4, 0xc0, v4
	v_add_co_u32 v23, s1, s8, v23
	v_add_co_ci_u32_e64 v24, null, s9, v24, s1
	v_add_co_u32 v25, s1, s4, v21
	v_add_co_ci_u32_e64 v26, null, s5, v22, s1
	s_or_b32 s12, s0, s12
	s_waitcnt vmcnt(3)
	v_subrev_nc_u32_e32 v1, s3, v19
	v_mad_u64_u32 v[19:20], null, v1, 3, s[2:3]
	v_add_nc_u32_e32 v20, 1, v19
	v_add_nc_u32_e32 v21, 2, v19
	s_waitcnt vmcnt(2)
	global_store_dwordx4 v[23:24], v[7:10], off
	s_waitcnt vmcnt(1)
	global_store_dwordx4 v[23:24], v[11:14], off offset:16
	s_waitcnt vmcnt(0)
	global_store_dwordx4 v[23:24], v[15:18], off offset:32
	global_store_dwordx3 v[25:26], v[19:21], off
	s_andn2_b32 exec_lo, exec_lo, s12
	s_cbranch_execnz .LBB262_5
.LBB262_6:
	s_endpgm
	.section	.rodata,"a",@progbits
	.p2align	6, 0x0
	.amdhsa_kernel _ZN9rocsparseL32bsr2csr_block_per_row_2_7_kernelILj256ELj3E21rocsparse_complex_numIdEiiEEv20rocsparse_direction_T3_S4_21rocsparse_index_base_PKT1_PKT2_PKS4_S4_S5_PS6_PS9_PS4_
		.amdhsa_group_segment_fixed_size 0
		.amdhsa_private_segment_fixed_size 0
		.amdhsa_kernarg_size 72
		.amdhsa_user_sgpr_count 6
		.amdhsa_user_sgpr_private_segment_buffer 1
		.amdhsa_user_sgpr_dispatch_ptr 0
		.amdhsa_user_sgpr_queue_ptr 0
		.amdhsa_user_sgpr_kernarg_segment_ptr 1
		.amdhsa_user_sgpr_dispatch_id 0
		.amdhsa_user_sgpr_flat_scratch_init 0
		.amdhsa_user_sgpr_private_segment_size 0
		.amdhsa_wavefront_size32 1
		.amdhsa_uses_dynamic_stack 0
		.amdhsa_system_sgpr_private_segment_wavefront_offset 0
		.amdhsa_system_sgpr_workgroup_id_x 1
		.amdhsa_system_sgpr_workgroup_id_y 0
		.amdhsa_system_sgpr_workgroup_id_z 0
		.amdhsa_system_sgpr_workgroup_info 0
		.amdhsa_system_vgpr_workitem_id 0
		.amdhsa_next_free_vgpr 27
		.amdhsa_next_free_sgpr 15
		.amdhsa_reserve_vcc 1
		.amdhsa_reserve_flat_scratch 0
		.amdhsa_float_round_mode_32 0
		.amdhsa_float_round_mode_16_64 0
		.amdhsa_float_denorm_mode_32 3
		.amdhsa_float_denorm_mode_16_64 3
		.amdhsa_dx10_clamp 1
		.amdhsa_ieee_mode 1
		.amdhsa_fp16_overflow 0
		.amdhsa_workgroup_processor_mode 1
		.amdhsa_memory_ordered 1
		.amdhsa_forward_progress 1
		.amdhsa_shared_vgpr_count 0
		.amdhsa_exception_fp_ieee_invalid_op 0
		.amdhsa_exception_fp_denorm_src 0
		.amdhsa_exception_fp_ieee_div_zero 0
		.amdhsa_exception_fp_ieee_overflow 0
		.amdhsa_exception_fp_ieee_underflow 0
		.amdhsa_exception_fp_ieee_inexact 0
		.amdhsa_exception_int_div_zero 0
	.end_amdhsa_kernel
	.section	.text._ZN9rocsparseL32bsr2csr_block_per_row_2_7_kernelILj256ELj3E21rocsparse_complex_numIdEiiEEv20rocsparse_direction_T3_S4_21rocsparse_index_base_PKT1_PKT2_PKS4_S4_S5_PS6_PS9_PS4_,"axG",@progbits,_ZN9rocsparseL32bsr2csr_block_per_row_2_7_kernelILj256ELj3E21rocsparse_complex_numIdEiiEEv20rocsparse_direction_T3_S4_21rocsparse_index_base_PKT1_PKT2_PKS4_S4_S5_PS6_PS9_PS4_,comdat
.Lfunc_end262:
	.size	_ZN9rocsparseL32bsr2csr_block_per_row_2_7_kernelILj256ELj3E21rocsparse_complex_numIdEiiEEv20rocsparse_direction_T3_S4_21rocsparse_index_base_PKT1_PKT2_PKS4_S4_S5_PS6_PS9_PS4_, .Lfunc_end262-_ZN9rocsparseL32bsr2csr_block_per_row_2_7_kernelILj256ELj3E21rocsparse_complex_numIdEiiEEv20rocsparse_direction_T3_S4_21rocsparse_index_base_PKT1_PKT2_PKS4_S4_S5_PS6_PS9_PS4_
                                        ; -- End function
	.set _ZN9rocsparseL32bsr2csr_block_per_row_2_7_kernelILj256ELj3E21rocsparse_complex_numIdEiiEEv20rocsparse_direction_T3_S4_21rocsparse_index_base_PKT1_PKT2_PKS4_S4_S5_PS6_PS9_PS4_.num_vgpr, 27
	.set _ZN9rocsparseL32bsr2csr_block_per_row_2_7_kernelILj256ELj3E21rocsparse_complex_numIdEiiEEv20rocsparse_direction_T3_S4_21rocsparse_index_base_PKT1_PKT2_PKS4_S4_S5_PS6_PS9_PS4_.num_agpr, 0
	.set _ZN9rocsparseL32bsr2csr_block_per_row_2_7_kernelILj256ELj3E21rocsparse_complex_numIdEiiEEv20rocsparse_direction_T3_S4_21rocsparse_index_base_PKT1_PKT2_PKS4_S4_S5_PS6_PS9_PS4_.numbered_sgpr, 15
	.set _ZN9rocsparseL32bsr2csr_block_per_row_2_7_kernelILj256ELj3E21rocsparse_complex_numIdEiiEEv20rocsparse_direction_T3_S4_21rocsparse_index_base_PKT1_PKT2_PKS4_S4_S5_PS6_PS9_PS4_.num_named_barrier, 0
	.set _ZN9rocsparseL32bsr2csr_block_per_row_2_7_kernelILj256ELj3E21rocsparse_complex_numIdEiiEEv20rocsparse_direction_T3_S4_21rocsparse_index_base_PKT1_PKT2_PKS4_S4_S5_PS6_PS9_PS4_.private_seg_size, 0
	.set _ZN9rocsparseL32bsr2csr_block_per_row_2_7_kernelILj256ELj3E21rocsparse_complex_numIdEiiEEv20rocsparse_direction_T3_S4_21rocsparse_index_base_PKT1_PKT2_PKS4_S4_S5_PS6_PS9_PS4_.uses_vcc, 1
	.set _ZN9rocsparseL32bsr2csr_block_per_row_2_7_kernelILj256ELj3E21rocsparse_complex_numIdEiiEEv20rocsparse_direction_T3_S4_21rocsparse_index_base_PKT1_PKT2_PKS4_S4_S5_PS6_PS9_PS4_.uses_flat_scratch, 0
	.set _ZN9rocsparseL32bsr2csr_block_per_row_2_7_kernelILj256ELj3E21rocsparse_complex_numIdEiiEEv20rocsparse_direction_T3_S4_21rocsparse_index_base_PKT1_PKT2_PKS4_S4_S5_PS6_PS9_PS4_.has_dyn_sized_stack, 0
	.set _ZN9rocsparseL32bsr2csr_block_per_row_2_7_kernelILj256ELj3E21rocsparse_complex_numIdEiiEEv20rocsparse_direction_T3_S4_21rocsparse_index_base_PKT1_PKT2_PKS4_S4_S5_PS6_PS9_PS4_.has_recursion, 0
	.set _ZN9rocsparseL32bsr2csr_block_per_row_2_7_kernelILj256ELj3E21rocsparse_complex_numIdEiiEEv20rocsparse_direction_T3_S4_21rocsparse_index_base_PKT1_PKT2_PKS4_S4_S5_PS6_PS9_PS4_.has_indirect_call, 0
	.section	.AMDGPU.csdata,"",@progbits
; Kernel info:
; codeLenInByte = 680
; TotalNumSgprs: 17
; NumVgprs: 27
; ScratchSize: 0
; MemoryBound: 0
; FloatMode: 240
; IeeeMode: 1
; LDSByteSize: 0 bytes/workgroup (compile time only)
; SGPRBlocks: 0
; VGPRBlocks: 3
; NumSGPRsForWavesPerEU: 17
; NumVGPRsForWavesPerEU: 27
; Occupancy: 16
; WaveLimiterHint : 0
; COMPUTE_PGM_RSRC2:SCRATCH_EN: 0
; COMPUTE_PGM_RSRC2:USER_SGPR: 6
; COMPUTE_PGM_RSRC2:TRAP_HANDLER: 0
; COMPUTE_PGM_RSRC2:TGID_X_EN: 1
; COMPUTE_PGM_RSRC2:TGID_Y_EN: 0
; COMPUTE_PGM_RSRC2:TGID_Z_EN: 0
; COMPUTE_PGM_RSRC2:TIDIG_COMP_CNT: 0
	.section	.text._ZN9rocsparseL32bsr2csr_block_per_row_2_7_kernelILj256ELj4E21rocsparse_complex_numIdEiiEEv20rocsparse_direction_T3_S4_21rocsparse_index_base_PKT1_PKT2_PKS4_S4_S5_PS6_PS9_PS4_,"axG",@progbits,_ZN9rocsparseL32bsr2csr_block_per_row_2_7_kernelILj256ELj4E21rocsparse_complex_numIdEiiEEv20rocsparse_direction_T3_S4_21rocsparse_index_base_PKT1_PKT2_PKS4_S4_S5_PS6_PS9_PS4_,comdat
	.globl	_ZN9rocsparseL32bsr2csr_block_per_row_2_7_kernelILj256ELj4E21rocsparse_complex_numIdEiiEEv20rocsparse_direction_T3_S4_21rocsparse_index_base_PKT1_PKT2_PKS4_S4_S5_PS6_PS9_PS4_ ; -- Begin function _ZN9rocsparseL32bsr2csr_block_per_row_2_7_kernelILj256ELj4E21rocsparse_complex_numIdEiiEEv20rocsparse_direction_T3_S4_21rocsparse_index_base_PKT1_PKT2_PKS4_S4_S5_PS6_PS9_PS4_
	.p2align	8
	.type	_ZN9rocsparseL32bsr2csr_block_per_row_2_7_kernelILj256ELj4E21rocsparse_complex_numIdEiiEEv20rocsparse_direction_T3_S4_21rocsparse_index_base_PKT1_PKT2_PKS4_S4_S5_PS6_PS9_PS4_,@function
_ZN9rocsparseL32bsr2csr_block_per_row_2_7_kernelILj256ELj4E21rocsparse_complex_numIdEiiEEv20rocsparse_direction_T3_S4_21rocsparse_index_base_PKT1_PKT2_PKS4_S4_S5_PS6_PS9_PS4_: ; @_ZN9rocsparseL32bsr2csr_block_per_row_2_7_kernelILj256ELj4E21rocsparse_complex_numIdEiiEEv20rocsparse_direction_T3_S4_21rocsparse_index_base_PKT1_PKT2_PKS4_S4_S5_PS6_PS9_PS4_
; %bb.0:
	s_load_dwordx2 s[0:1], s[4:5], 0x18
	s_ashr_i32 s7, s6, 31
	s_clause 0x1
	s_load_dword s10, s[4:5], 0x2c
	s_load_dwordx2 s[2:3], s[4:5], 0x38
	s_lshl_b64 s[8:9], s[6:7], 2
	v_or_b32_e32 v1, s6, v0
	s_mov_b32 s7, exec_lo
	s_waitcnt lgkmcnt(0)
	s_add_u32 s0, s0, s8
	s_addc_u32 s1, s1, s9
	s_load_dwordx2 s[0:1], s[0:1], 0x0
	v_cmpx_eq_u32_e32 0, v1
	s_cbranch_execz .LBB263_2
; %bb.1:
	v_mov_b32_e32 v1, 0
	v_mov_b32_e32 v2, s10
	global_store_dword v1, v2, s[2:3]
.LBB263_2:
	s_or_b32 exec_lo, exec_lo, s7
	s_load_dword s11, s[4:5], 0xc
	v_and_b32_e32 v5, 3, v0
	v_mov_b32_e32 v2, 0
	v_lshrrev_b32_e32 v4, 2, v0
	v_lshl_or_b32 v1, s6, 2, v5
	v_add_nc_u32_e32 v1, 1, v1
	v_lshlrev_b64 v[6:7], 2, v[1:2]
	s_waitcnt lgkmcnt(0)
	s_sub_i32 s6, s0, s11
	s_sub_i32 s12, s1, s11
	s_lshl_b32 s7, s6, 4
	s_sub_i32 s1, s12, s6
	v_add_co_u32 v6, vcc_lo, s2, v6
	s_lshl_b32 s1, s1, 2
	v_add_nc_u32_e32 v0, s6, v4
	v_mul_lo_u32 v3, s1, v5
	s_add_i32 s1, s1, s10
	v_add_co_ci_u32_e64 v7, null, s3, v7, vcc_lo
	v_add3_u32 v1, s1, s7, v3
	s_mov_b32 s1, exec_lo
	global_store_dword v[6:7], v1, off
	v_cmpx_gt_i32_e64 s12, v0
	s_cbranch_execz .LBB263_5
; %bb.3:
	s_clause 0x4
	s_load_dwordx2 s[2:3], s[4:5], 0x20
	s_load_dwordx2 s[6:7], s[4:5], 0x30
	s_load_dword s1, s[4:5], 0x0
	s_load_dwordx2 s[8:9], s[4:5], 0x10
	s_load_dwordx2 s[4:5], s[4:5], 0x40
	v_lshlrev_b32_e32 v1, 2, v4
	v_lshlrev_b32_e32 v6, 2, v5
	;; [unrolled: 1-line block ×3, first 2 shown]
	s_mov_b32 s13, 0
	s_waitcnt lgkmcnt(0)
	s_cmp_eq_u32 s1, 0
	s_cselect_b32 vcc_lo, -1, 0
	s_lshl_b32 s0, s0, 4
	v_add3_u32 v1, v3, s0, v1
	s_lshl_b32 s0, s11, 4
	v_subrev_nc_u32_e32 v3, s0, v1
.LBB263_4:                              ; =>This Inner Loop Header: Depth=1
	v_ashrrev_i32_e32 v1, 31, v0
	v_add_nc_u32_e32 v4, v5, v7
	v_add_nc_u32_e32 v10, v6, v7
	;; [unrolled: 1-line block ×3, first 2 shown]
	v_lshlrev_b64 v[8:9], 2, v[0:1]
	v_add_nc_u32_e32 v13, 4, v4
	v_cndmask_b32_e32 v1, v4, v10, vcc_lo
	v_add_nc_u32_e32 v12, 1, v10
	v_add_nc_u32_e32 v14, 2, v10
	v_add_nc_u32_e32 v15, 8, v4
	v_add_nc_u32_e32 v16, 3, v10
	v_lshlrev_b64 v[10:11], 4, v[1:2]
	v_cndmask_b32_e32 v1, v13, v12, vcc_lo
	v_add_co_u32 v8, s0, s2, v8
	v_add_co_ci_u32_e64 v9, null, s3, v9, s0
	v_add_nc_u32_e32 v4, 12, v4
	v_lshlrev_b64 v[12:13], 4, v[1:2]
	v_cndmask_b32_e32 v1, v15, v14, vcc_lo
	global_load_dword v31, v[8:9], off
	v_add_co_u32 v8, s0, s8, v10
	v_add_co_ci_u32_e64 v9, null, s9, v11, s0
	v_lshlrev_b64 v[10:11], 4, v[1:2]
	v_cndmask_b32_e32 v1, v4, v16, vcc_lo
	v_add_co_u32 v12, s0, s8, v12
	v_add_co_ci_u32_e64 v13, null, s9, v13, s0
	v_lshlrev_b64 v[14:15], 4, v[1:2]
	v_add_co_u32 v16, s0, s8, v10
	v_add_co_ci_u32_e64 v17, null, s9, v11, s0
	v_ashrrev_i32_e32 v4, 31, v3
	v_add_co_u32 v20, s0, s8, v14
	v_add_co_ci_u32_e64 v21, null, s9, v15, s0
	s_clause 0x3
	global_load_dwordx4 v[8:11], v[8:9], off
	global_load_dwordx4 v[12:15], v[12:13], off
	;; [unrolled: 1-line block ×4, first 2 shown]
	v_lshlrev_b64 v[24:25], 2, v[3:4]
	v_lshlrev_b64 v[26:27], 4, v[3:4]
	v_add_nc_u32_e32 v0, 64, v0
	v_add_nc_u32_e32 v3, 0x100, v3
	v_add_co_u32 v28, s1, s4, v24
	v_cmp_le_i32_e64 s0, s12, v0
	v_add_co_ci_u32_e64 v29, null, s5, v25, s1
	v_add_co_u32 v30, s1, s6, v26
	s_or_b32 s13, s0, s13
	s_waitcnt vmcnt(4)
	v_subrev_nc_u32_e32 v1, s11, v31
	v_add_co_ci_u32_e64 v31, null, s7, v27, s1
	v_lshl_add_u32 v24, v1, 2, s10
	v_add_nc_u32_e32 v25, 1, v24
	v_add_nc_u32_e32 v26, 2, v24
	;; [unrolled: 1-line block ×3, first 2 shown]
	s_waitcnt vmcnt(3)
	global_store_dwordx4 v[30:31], v[8:11], off
	s_waitcnt vmcnt(2)
	global_store_dwordx4 v[30:31], v[12:15], off offset:16
	s_waitcnt vmcnt(1)
	global_store_dwordx4 v[30:31], v[16:19], off offset:32
	global_store_dwordx4 v[28:29], v[24:27], off
	s_waitcnt vmcnt(0)
	global_store_dwordx4 v[30:31], v[20:23], off offset:48
	s_andn2_b32 exec_lo, exec_lo, s13
	s_cbranch_execnz .LBB263_4
.LBB263_5:
	s_endpgm
	.section	.rodata,"a",@progbits
	.p2align	6, 0x0
	.amdhsa_kernel _ZN9rocsparseL32bsr2csr_block_per_row_2_7_kernelILj256ELj4E21rocsparse_complex_numIdEiiEEv20rocsparse_direction_T3_S4_21rocsparse_index_base_PKT1_PKT2_PKS4_S4_S5_PS6_PS9_PS4_
		.amdhsa_group_segment_fixed_size 0
		.amdhsa_private_segment_fixed_size 0
		.amdhsa_kernarg_size 72
		.amdhsa_user_sgpr_count 6
		.amdhsa_user_sgpr_private_segment_buffer 1
		.amdhsa_user_sgpr_dispatch_ptr 0
		.amdhsa_user_sgpr_queue_ptr 0
		.amdhsa_user_sgpr_kernarg_segment_ptr 1
		.amdhsa_user_sgpr_dispatch_id 0
		.amdhsa_user_sgpr_flat_scratch_init 0
		.amdhsa_user_sgpr_private_segment_size 0
		.amdhsa_wavefront_size32 1
		.amdhsa_uses_dynamic_stack 0
		.amdhsa_system_sgpr_private_segment_wavefront_offset 0
		.amdhsa_system_sgpr_workgroup_id_x 1
		.amdhsa_system_sgpr_workgroup_id_y 0
		.amdhsa_system_sgpr_workgroup_id_z 0
		.amdhsa_system_sgpr_workgroup_info 0
		.amdhsa_system_vgpr_workitem_id 0
		.amdhsa_next_free_vgpr 32
		.amdhsa_next_free_sgpr 14
		.amdhsa_reserve_vcc 1
		.amdhsa_reserve_flat_scratch 0
		.amdhsa_float_round_mode_32 0
		.amdhsa_float_round_mode_16_64 0
		.amdhsa_float_denorm_mode_32 3
		.amdhsa_float_denorm_mode_16_64 3
		.amdhsa_dx10_clamp 1
		.amdhsa_ieee_mode 1
		.amdhsa_fp16_overflow 0
		.amdhsa_workgroup_processor_mode 1
		.amdhsa_memory_ordered 1
		.amdhsa_forward_progress 1
		.amdhsa_shared_vgpr_count 0
		.amdhsa_exception_fp_ieee_invalid_op 0
		.amdhsa_exception_fp_denorm_src 0
		.amdhsa_exception_fp_ieee_div_zero 0
		.amdhsa_exception_fp_ieee_overflow 0
		.amdhsa_exception_fp_ieee_underflow 0
		.amdhsa_exception_fp_ieee_inexact 0
		.amdhsa_exception_int_div_zero 0
	.end_amdhsa_kernel
	.section	.text._ZN9rocsparseL32bsr2csr_block_per_row_2_7_kernelILj256ELj4E21rocsparse_complex_numIdEiiEEv20rocsparse_direction_T3_S4_21rocsparse_index_base_PKT1_PKT2_PKS4_S4_S5_PS6_PS9_PS4_,"axG",@progbits,_ZN9rocsparseL32bsr2csr_block_per_row_2_7_kernelILj256ELj4E21rocsparse_complex_numIdEiiEEv20rocsparse_direction_T3_S4_21rocsparse_index_base_PKT1_PKT2_PKS4_S4_S5_PS6_PS9_PS4_,comdat
.Lfunc_end263:
	.size	_ZN9rocsparseL32bsr2csr_block_per_row_2_7_kernelILj256ELj4E21rocsparse_complex_numIdEiiEEv20rocsparse_direction_T3_S4_21rocsparse_index_base_PKT1_PKT2_PKS4_S4_S5_PS6_PS9_PS4_, .Lfunc_end263-_ZN9rocsparseL32bsr2csr_block_per_row_2_7_kernelILj256ELj4E21rocsparse_complex_numIdEiiEEv20rocsparse_direction_T3_S4_21rocsparse_index_base_PKT1_PKT2_PKS4_S4_S5_PS6_PS9_PS4_
                                        ; -- End function
	.set _ZN9rocsparseL32bsr2csr_block_per_row_2_7_kernelILj256ELj4E21rocsparse_complex_numIdEiiEEv20rocsparse_direction_T3_S4_21rocsparse_index_base_PKT1_PKT2_PKS4_S4_S5_PS6_PS9_PS4_.num_vgpr, 32
	.set _ZN9rocsparseL32bsr2csr_block_per_row_2_7_kernelILj256ELj4E21rocsparse_complex_numIdEiiEEv20rocsparse_direction_T3_S4_21rocsparse_index_base_PKT1_PKT2_PKS4_S4_S5_PS6_PS9_PS4_.num_agpr, 0
	.set _ZN9rocsparseL32bsr2csr_block_per_row_2_7_kernelILj256ELj4E21rocsparse_complex_numIdEiiEEv20rocsparse_direction_T3_S4_21rocsparse_index_base_PKT1_PKT2_PKS4_S4_S5_PS6_PS9_PS4_.numbered_sgpr, 14
	.set _ZN9rocsparseL32bsr2csr_block_per_row_2_7_kernelILj256ELj4E21rocsparse_complex_numIdEiiEEv20rocsparse_direction_T3_S4_21rocsparse_index_base_PKT1_PKT2_PKS4_S4_S5_PS6_PS9_PS4_.num_named_barrier, 0
	.set _ZN9rocsparseL32bsr2csr_block_per_row_2_7_kernelILj256ELj4E21rocsparse_complex_numIdEiiEEv20rocsparse_direction_T3_S4_21rocsparse_index_base_PKT1_PKT2_PKS4_S4_S5_PS6_PS9_PS4_.private_seg_size, 0
	.set _ZN9rocsparseL32bsr2csr_block_per_row_2_7_kernelILj256ELj4E21rocsparse_complex_numIdEiiEEv20rocsparse_direction_T3_S4_21rocsparse_index_base_PKT1_PKT2_PKS4_S4_S5_PS6_PS9_PS4_.uses_vcc, 1
	.set _ZN9rocsparseL32bsr2csr_block_per_row_2_7_kernelILj256ELj4E21rocsparse_complex_numIdEiiEEv20rocsparse_direction_T3_S4_21rocsparse_index_base_PKT1_PKT2_PKS4_S4_S5_PS6_PS9_PS4_.uses_flat_scratch, 0
	.set _ZN9rocsparseL32bsr2csr_block_per_row_2_7_kernelILj256ELj4E21rocsparse_complex_numIdEiiEEv20rocsparse_direction_T3_S4_21rocsparse_index_base_PKT1_PKT2_PKS4_S4_S5_PS6_PS9_PS4_.has_dyn_sized_stack, 0
	.set _ZN9rocsparseL32bsr2csr_block_per_row_2_7_kernelILj256ELj4E21rocsparse_complex_numIdEiiEEv20rocsparse_direction_T3_S4_21rocsparse_index_base_PKT1_PKT2_PKS4_S4_S5_PS6_PS9_PS4_.has_recursion, 0
	.set _ZN9rocsparseL32bsr2csr_block_per_row_2_7_kernelILj256ELj4E21rocsparse_complex_numIdEiiEEv20rocsparse_direction_T3_S4_21rocsparse_index_base_PKT1_PKT2_PKS4_S4_S5_PS6_PS9_PS4_.has_indirect_call, 0
	.section	.AMDGPU.csdata,"",@progbits
; Kernel info:
; codeLenInByte = 708
; TotalNumSgprs: 16
; NumVgprs: 32
; ScratchSize: 0
; MemoryBound: 0
; FloatMode: 240
; IeeeMode: 1
; LDSByteSize: 0 bytes/workgroup (compile time only)
; SGPRBlocks: 0
; VGPRBlocks: 3
; NumSGPRsForWavesPerEU: 16
; NumVGPRsForWavesPerEU: 32
; Occupancy: 16
; WaveLimiterHint : 0
; COMPUTE_PGM_RSRC2:SCRATCH_EN: 0
; COMPUTE_PGM_RSRC2:USER_SGPR: 6
; COMPUTE_PGM_RSRC2:TRAP_HANDLER: 0
; COMPUTE_PGM_RSRC2:TGID_X_EN: 1
; COMPUTE_PGM_RSRC2:TGID_Y_EN: 0
; COMPUTE_PGM_RSRC2:TGID_Z_EN: 0
; COMPUTE_PGM_RSRC2:TIDIG_COMP_CNT: 0
	.section	.text._ZN9rocsparseL32bsr2csr_block_per_row_2_7_kernelILj256ELj5E21rocsparse_complex_numIdEiiEEv20rocsparse_direction_T3_S4_21rocsparse_index_base_PKT1_PKT2_PKS4_S4_S5_PS6_PS9_PS4_,"axG",@progbits,_ZN9rocsparseL32bsr2csr_block_per_row_2_7_kernelILj256ELj5E21rocsparse_complex_numIdEiiEEv20rocsparse_direction_T3_S4_21rocsparse_index_base_PKT1_PKT2_PKS4_S4_S5_PS6_PS9_PS4_,comdat
	.globl	_ZN9rocsparseL32bsr2csr_block_per_row_2_7_kernelILj256ELj5E21rocsparse_complex_numIdEiiEEv20rocsparse_direction_T3_S4_21rocsparse_index_base_PKT1_PKT2_PKS4_S4_S5_PS6_PS9_PS4_ ; -- Begin function _ZN9rocsparseL32bsr2csr_block_per_row_2_7_kernelILj256ELj5E21rocsparse_complex_numIdEiiEEv20rocsparse_direction_T3_S4_21rocsparse_index_base_PKT1_PKT2_PKS4_S4_S5_PS6_PS9_PS4_
	.p2align	8
	.type	_ZN9rocsparseL32bsr2csr_block_per_row_2_7_kernelILj256ELj5E21rocsparse_complex_numIdEiiEEv20rocsparse_direction_T3_S4_21rocsparse_index_base_PKT1_PKT2_PKS4_S4_S5_PS6_PS9_PS4_,@function
_ZN9rocsparseL32bsr2csr_block_per_row_2_7_kernelILj256ELj5E21rocsparse_complex_numIdEiiEEv20rocsparse_direction_T3_S4_21rocsparse_index_base_PKT1_PKT2_PKS4_S4_S5_PS6_PS9_PS4_: ; @_ZN9rocsparseL32bsr2csr_block_per_row_2_7_kernelILj256ELj5E21rocsparse_complex_numIdEiiEEv20rocsparse_direction_T3_S4_21rocsparse_index_base_PKT1_PKT2_PKS4_S4_S5_PS6_PS9_PS4_
; %bb.0:
	s_clause 0x2
	s_load_dwordx2 s[8:9], s[4:5], 0x18
	s_load_dword s2, s[4:5], 0x2c
	s_load_dwordx2 s[0:1], s[4:5], 0x38
	s_ashr_i32 s7, s6, 31
	v_or_b32_e32 v1, s6, v0
	s_lshl_b64 s[10:11], s[6:7], 2
	s_mov_b32 s3, exec_lo
	s_waitcnt lgkmcnt(0)
	s_add_u32 s8, s8, s10
	s_addc_u32 s9, s9, s11
	v_cmpx_eq_u32_e32 0, v1
	s_cbranch_execz .LBB264_2
; %bb.1:
	v_mov_b32_e32 v1, 0
	v_mov_b32_e32 v2, s2
	global_store_dword v1, v2, s[0:1]
.LBB264_2:
	s_or_b32 exec_lo, exec_lo, s3
	v_and_b32_e32 v3, 7, v0
	s_mov_b32 s3, exec_lo
	v_cmpx_gt_u32_e32 5, v3
	s_cbranch_execz .LBB264_6
; %bb.3:
	s_load_dwordx2 s[12:13], s[8:9], 0x0
	s_load_dword s3, s[4:5], 0xc
	s_mul_i32 s6, s6, 5
	v_mov_b32_e32 v2, 0
	v_add3_u32 v1, v3, s6, 1
	v_lshrrev_b32_e32 v5, 3, v0
	v_lshlrev_b64 v[6:7], 2, v[1:2]
	v_add_co_u32 v6, vcc_lo, s0, v6
	v_add_co_ci_u32_e64 v7, null, s1, v7, vcc_lo
	s_waitcnt lgkmcnt(0)
	s_sub_i32 s7, s12, s3
	s_sub_i32 s13, s13, s3
	v_add_nc_u32_e32 v0, s7, v5
	s_sub_i32 s8, s13, s7
	s_mul_i32 s6, s7, 25
	s_mul_i32 s8, s8, 5
	v_mul_lo_u32 v4, s8, v3
	s_add_i32 s8, s8, s2
	v_cmp_gt_i32_e32 vcc_lo, s13, v0
	v_add3_u32 v1, s8, s6, v4
	global_store_dword v[6:7], v1, off
	s_and_b32 exec_lo, exec_lo, vcc_lo
	s_cbranch_execz .LBB264_6
; %bb.4:
	s_clause 0x2
	s_load_dwordx2 s[6:7], s[4:5], 0x20
	s_load_dwordx2 s[8:9], s[4:5], 0x30
	s_load_dword s0, s[4:5], 0x0
	v_add_nc_u32_e32 v1, s12, v5
	s_clause 0x1
	s_load_dwordx2 s[10:11], s[4:5], 0x10
	s_load_dwordx2 s[4:5], s[4:5], 0x40
	v_mul_u32_u24_e32 v5, 5, v5
	s_mul_i32 s1, s12, 25
	s_mov_b32 s12, 0
	v_mul_lo_u32 v1, v1, 25
	s_mov_b32 s14, 0
	v_add3_u32 v5, v4, s1, v5
	s_mul_i32 s1, s3, 25
	v_mad_u32_u24 v1, v3, 5, v1
	v_mad_u64_u32 v[3:4], null, v0, 25, v[3:4]
	v_subrev_nc_u32_e32 v4, s1, v5
	v_subrev_nc_u32_e32 v6, s1, v1
	s_waitcnt lgkmcnt(0)
	s_cmp_eq_u32 s0, 0
	s_cselect_b32 vcc_lo, -1, 0
.LBB264_5:                              ; =>This Inner Loop Header: Depth=1
	v_ashrrev_i32_e32 v1, 31, v0
	v_add_nc_u32_e32 v5, s14, v3
	v_add_nc_u32_e32 v9, s14, v6
	s_addk_i32 s14, 0x320
	v_lshlrev_b64 v[7:8], 2, v[0:1]
	v_add_nc_u32_e32 v12, 5, v5
	v_cndmask_b32_e32 v1, v5, v9, vcc_lo
	v_add_nc_u32_e32 v11, 1, v9
	v_add_nc_u32_e32 v13, 2, v9
	;; [unrolled: 1-line block ×5, first 2 shown]
	v_lshlrev_b64 v[9:10], 4, v[1:2]
	v_cndmask_b32_e32 v1, v12, v11, vcc_lo
	v_add_nc_u32_e32 v18, 15, v5
	v_add_co_u32 v7, s0, s6, v7
	v_add_co_ci_u32_e64 v8, null, s7, v8, s0
	v_lshlrev_b64 v[11:12], 4, v[1:2]
	v_cndmask_b32_e32 v1, v14, v13, vcc_lo
	v_add_nc_u32_e32 v5, 20, v5
	global_load_dword v35, v[7:8], off
	v_add_co_u32 v7, s0, s10, v9
	v_lshlrev_b64 v[15:16], 4, v[1:2]
	v_cndmask_b32_e32 v1, v18, v17, vcc_lo
	v_add_co_ci_u32_e64 v8, null, s11, v10, s0
	v_add_co_u32 v11, s0, s10, v11
	v_lshlrev_b64 v[17:18], 4, v[1:2]
	v_cndmask_b32_e32 v1, v5, v19, vcc_lo
	v_add_co_ci_u32_e64 v12, null, s11, v12, s0
	v_add_co_u32 v15, s0, s10, v15
	v_lshlrev_b64 v[19:20], 4, v[1:2]
	v_add_co_ci_u32_e64 v16, null, s11, v16, s0
	v_add_co_u32 v21, s0, s10, v17
	v_add_co_ci_u32_e64 v22, null, s11, v18, s0
	v_add_co_u32 v23, s0, s10, v19
	v_add_co_ci_u32_e64 v24, null, s11, v20, s0
	s_clause 0x4
	global_load_dwordx4 v[7:10], v[7:8], off
	global_load_dwordx4 v[11:14], v[11:12], off
	;; [unrolled: 1-line block ×5, first 2 shown]
	v_ashrrev_i32_e32 v5, 31, v4
	v_add_nc_u32_e32 v0, 32, v0
	v_lshlrev_b64 v[27:28], 2, v[4:5]
	v_lshlrev_b64 v[29:30], 4, v[4:5]
	v_cmp_le_i32_e64 s0, s13, v0
	v_add_nc_u32_e32 v4, 0xa0, v4
	v_add_co_u32 v31, s1, s4, v27
	v_add_co_ci_u32_e64 v32, null, s5, v28, s1
	v_add_co_u32 v33, s1, s8, v29
	v_add_co_ci_u32_e64 v34, null, s9, v30, s1
	s_or_b32 s12, s0, s12
	s_waitcnt vmcnt(4)
	global_store_dwordx4 v[33:34], v[7:10], off
	s_waitcnt vmcnt(3)
	global_store_dwordx4 v[33:34], v[11:14], off offset:16
	v_subrev_nc_u32_e32 v1, s3, v35
	v_mad_u64_u32 v[27:28], null, v1, 5, s[2:3]
	v_add_nc_u32_e32 v28, 1, v27
	v_add_nc_u32_e32 v29, 2, v27
	;; [unrolled: 1-line block ×4, first 2 shown]
	s_waitcnt vmcnt(2)
	global_store_dwordx4 v[33:34], v[15:18], off offset:32
	global_store_dwordx4 v[31:32], v[27:30], off
	global_store_dword v[31:32], v1, off offset:16
	s_waitcnt vmcnt(1)
	global_store_dwordx4 v[33:34], v[19:22], off offset:48
	s_waitcnt vmcnt(0)
	global_store_dwordx4 v[33:34], v[23:26], off offset:64
	s_andn2_b32 exec_lo, exec_lo, s12
	s_cbranch_execnz .LBB264_5
.LBB264_6:
	s_endpgm
	.section	.rodata,"a",@progbits
	.p2align	6, 0x0
	.amdhsa_kernel _ZN9rocsparseL32bsr2csr_block_per_row_2_7_kernelILj256ELj5E21rocsparse_complex_numIdEiiEEv20rocsparse_direction_T3_S4_21rocsparse_index_base_PKT1_PKT2_PKS4_S4_S5_PS6_PS9_PS4_
		.amdhsa_group_segment_fixed_size 0
		.amdhsa_private_segment_fixed_size 0
		.amdhsa_kernarg_size 72
		.amdhsa_user_sgpr_count 6
		.amdhsa_user_sgpr_private_segment_buffer 1
		.amdhsa_user_sgpr_dispatch_ptr 0
		.amdhsa_user_sgpr_queue_ptr 0
		.amdhsa_user_sgpr_kernarg_segment_ptr 1
		.amdhsa_user_sgpr_dispatch_id 0
		.amdhsa_user_sgpr_flat_scratch_init 0
		.amdhsa_user_sgpr_private_segment_size 0
		.amdhsa_wavefront_size32 1
		.amdhsa_uses_dynamic_stack 0
		.amdhsa_system_sgpr_private_segment_wavefront_offset 0
		.amdhsa_system_sgpr_workgroup_id_x 1
		.amdhsa_system_sgpr_workgroup_id_y 0
		.amdhsa_system_sgpr_workgroup_id_z 0
		.amdhsa_system_sgpr_workgroup_info 0
		.amdhsa_system_vgpr_workitem_id 0
		.amdhsa_next_free_vgpr 36
		.amdhsa_next_free_sgpr 15
		.amdhsa_reserve_vcc 1
		.amdhsa_reserve_flat_scratch 0
		.amdhsa_float_round_mode_32 0
		.amdhsa_float_round_mode_16_64 0
		.amdhsa_float_denorm_mode_32 3
		.amdhsa_float_denorm_mode_16_64 3
		.amdhsa_dx10_clamp 1
		.amdhsa_ieee_mode 1
		.amdhsa_fp16_overflow 0
		.amdhsa_workgroup_processor_mode 1
		.amdhsa_memory_ordered 1
		.amdhsa_forward_progress 1
		.amdhsa_shared_vgpr_count 0
		.amdhsa_exception_fp_ieee_invalid_op 0
		.amdhsa_exception_fp_denorm_src 0
		.amdhsa_exception_fp_ieee_div_zero 0
		.amdhsa_exception_fp_ieee_overflow 0
		.amdhsa_exception_fp_ieee_underflow 0
		.amdhsa_exception_fp_ieee_inexact 0
		.amdhsa_exception_int_div_zero 0
	.end_amdhsa_kernel
	.section	.text._ZN9rocsparseL32bsr2csr_block_per_row_2_7_kernelILj256ELj5E21rocsparse_complex_numIdEiiEEv20rocsparse_direction_T3_S4_21rocsparse_index_base_PKT1_PKT2_PKS4_S4_S5_PS6_PS9_PS4_,"axG",@progbits,_ZN9rocsparseL32bsr2csr_block_per_row_2_7_kernelILj256ELj5E21rocsparse_complex_numIdEiiEEv20rocsparse_direction_T3_S4_21rocsparse_index_base_PKT1_PKT2_PKS4_S4_S5_PS6_PS9_PS4_,comdat
.Lfunc_end264:
	.size	_ZN9rocsparseL32bsr2csr_block_per_row_2_7_kernelILj256ELj5E21rocsparse_complex_numIdEiiEEv20rocsparse_direction_T3_S4_21rocsparse_index_base_PKT1_PKT2_PKS4_S4_S5_PS6_PS9_PS4_, .Lfunc_end264-_ZN9rocsparseL32bsr2csr_block_per_row_2_7_kernelILj256ELj5E21rocsparse_complex_numIdEiiEEv20rocsparse_direction_T3_S4_21rocsparse_index_base_PKT1_PKT2_PKS4_S4_S5_PS6_PS9_PS4_
                                        ; -- End function
	.set _ZN9rocsparseL32bsr2csr_block_per_row_2_7_kernelILj256ELj5E21rocsparse_complex_numIdEiiEEv20rocsparse_direction_T3_S4_21rocsparse_index_base_PKT1_PKT2_PKS4_S4_S5_PS6_PS9_PS4_.num_vgpr, 36
	.set _ZN9rocsparseL32bsr2csr_block_per_row_2_7_kernelILj256ELj5E21rocsparse_complex_numIdEiiEEv20rocsparse_direction_T3_S4_21rocsparse_index_base_PKT1_PKT2_PKS4_S4_S5_PS6_PS9_PS4_.num_agpr, 0
	.set _ZN9rocsparseL32bsr2csr_block_per_row_2_7_kernelILj256ELj5E21rocsparse_complex_numIdEiiEEv20rocsparse_direction_T3_S4_21rocsparse_index_base_PKT1_PKT2_PKS4_S4_S5_PS6_PS9_PS4_.numbered_sgpr, 15
	.set _ZN9rocsparseL32bsr2csr_block_per_row_2_7_kernelILj256ELj5E21rocsparse_complex_numIdEiiEEv20rocsparse_direction_T3_S4_21rocsparse_index_base_PKT1_PKT2_PKS4_S4_S5_PS6_PS9_PS4_.num_named_barrier, 0
	.set _ZN9rocsparseL32bsr2csr_block_per_row_2_7_kernelILj256ELj5E21rocsparse_complex_numIdEiiEEv20rocsparse_direction_T3_S4_21rocsparse_index_base_PKT1_PKT2_PKS4_S4_S5_PS6_PS9_PS4_.private_seg_size, 0
	.set _ZN9rocsparseL32bsr2csr_block_per_row_2_7_kernelILj256ELj5E21rocsparse_complex_numIdEiiEEv20rocsparse_direction_T3_S4_21rocsparse_index_base_PKT1_PKT2_PKS4_S4_S5_PS6_PS9_PS4_.uses_vcc, 1
	.set _ZN9rocsparseL32bsr2csr_block_per_row_2_7_kernelILj256ELj5E21rocsparse_complex_numIdEiiEEv20rocsparse_direction_T3_S4_21rocsparse_index_base_PKT1_PKT2_PKS4_S4_S5_PS6_PS9_PS4_.uses_flat_scratch, 0
	.set _ZN9rocsparseL32bsr2csr_block_per_row_2_7_kernelILj256ELj5E21rocsparse_complex_numIdEiiEEv20rocsparse_direction_T3_S4_21rocsparse_index_base_PKT1_PKT2_PKS4_S4_S5_PS6_PS9_PS4_.has_dyn_sized_stack, 0
	.set _ZN9rocsparseL32bsr2csr_block_per_row_2_7_kernelILj256ELj5E21rocsparse_complex_numIdEiiEEv20rocsparse_direction_T3_S4_21rocsparse_index_base_PKT1_PKT2_PKS4_S4_S5_PS6_PS9_PS4_.has_recursion, 0
	.set _ZN9rocsparseL32bsr2csr_block_per_row_2_7_kernelILj256ELj5E21rocsparse_complex_numIdEiiEEv20rocsparse_direction_T3_S4_21rocsparse_index_base_PKT1_PKT2_PKS4_S4_S5_PS6_PS9_PS4_.has_indirect_call, 0
	.section	.AMDGPU.csdata,"",@progbits
; Kernel info:
; codeLenInByte = 808
; TotalNumSgprs: 17
; NumVgprs: 36
; ScratchSize: 0
; MemoryBound: 0
; FloatMode: 240
; IeeeMode: 1
; LDSByteSize: 0 bytes/workgroup (compile time only)
; SGPRBlocks: 0
; VGPRBlocks: 4
; NumSGPRsForWavesPerEU: 17
; NumVGPRsForWavesPerEU: 36
; Occupancy: 16
; WaveLimiterHint : 0
; COMPUTE_PGM_RSRC2:SCRATCH_EN: 0
; COMPUTE_PGM_RSRC2:USER_SGPR: 6
; COMPUTE_PGM_RSRC2:TRAP_HANDLER: 0
; COMPUTE_PGM_RSRC2:TGID_X_EN: 1
; COMPUTE_PGM_RSRC2:TGID_Y_EN: 0
; COMPUTE_PGM_RSRC2:TGID_Z_EN: 0
; COMPUTE_PGM_RSRC2:TIDIG_COMP_CNT: 0
	.section	.text._ZN9rocsparseL32bsr2csr_block_per_row_2_7_kernelILj256ELj6E21rocsparse_complex_numIdEiiEEv20rocsparse_direction_T3_S4_21rocsparse_index_base_PKT1_PKT2_PKS4_S4_S5_PS6_PS9_PS4_,"axG",@progbits,_ZN9rocsparseL32bsr2csr_block_per_row_2_7_kernelILj256ELj6E21rocsparse_complex_numIdEiiEEv20rocsparse_direction_T3_S4_21rocsparse_index_base_PKT1_PKT2_PKS4_S4_S5_PS6_PS9_PS4_,comdat
	.globl	_ZN9rocsparseL32bsr2csr_block_per_row_2_7_kernelILj256ELj6E21rocsparse_complex_numIdEiiEEv20rocsparse_direction_T3_S4_21rocsparse_index_base_PKT1_PKT2_PKS4_S4_S5_PS6_PS9_PS4_ ; -- Begin function _ZN9rocsparseL32bsr2csr_block_per_row_2_7_kernelILj256ELj6E21rocsparse_complex_numIdEiiEEv20rocsparse_direction_T3_S4_21rocsparse_index_base_PKT1_PKT2_PKS4_S4_S5_PS6_PS9_PS4_
	.p2align	8
	.type	_ZN9rocsparseL32bsr2csr_block_per_row_2_7_kernelILj256ELj6E21rocsparse_complex_numIdEiiEEv20rocsparse_direction_T3_S4_21rocsparse_index_base_PKT1_PKT2_PKS4_S4_S5_PS6_PS9_PS4_,@function
_ZN9rocsparseL32bsr2csr_block_per_row_2_7_kernelILj256ELj6E21rocsparse_complex_numIdEiiEEv20rocsparse_direction_T3_S4_21rocsparse_index_base_PKT1_PKT2_PKS4_S4_S5_PS6_PS9_PS4_: ; @_ZN9rocsparseL32bsr2csr_block_per_row_2_7_kernelILj256ELj6E21rocsparse_complex_numIdEiiEEv20rocsparse_direction_T3_S4_21rocsparse_index_base_PKT1_PKT2_PKS4_S4_S5_PS6_PS9_PS4_
; %bb.0:
	s_clause 0x2
	s_load_dwordx2 s[8:9], s[4:5], 0x18
	s_load_dword s2, s[4:5], 0x2c
	s_load_dwordx2 s[0:1], s[4:5], 0x38
	s_ashr_i32 s7, s6, 31
	v_or_b32_e32 v1, s6, v0
	s_lshl_b64 s[10:11], s[6:7], 2
	s_mov_b32 s3, exec_lo
	s_waitcnt lgkmcnt(0)
	s_add_u32 s8, s8, s10
	s_addc_u32 s9, s9, s11
	v_cmpx_eq_u32_e32 0, v1
	s_cbranch_execz .LBB265_2
; %bb.1:
	v_mov_b32_e32 v1, 0
	v_mov_b32_e32 v2, s2
	global_store_dword v1, v2, s[0:1]
.LBB265_2:
	s_or_b32 exec_lo, exec_lo, s3
	v_and_b32_e32 v5, 7, v0
	s_mov_b32 s3, exec_lo
	v_cmpx_gt_u32_e32 6, v5
	s_cbranch_execz .LBB265_6
; %bb.3:
	s_load_dwordx2 s[12:13], s[8:9], 0x0
	s_load_dword s3, s[4:5], 0xc
	s_mul_i32 s6, s6, 6
	v_mov_b32_e32 v2, 0
	v_add3_u32 v1, v5, s6, 1
	v_lshrrev_b32_e32 v4, 3, v0
	v_lshlrev_b64 v[6:7], 2, v[1:2]
	v_add_co_u32 v6, vcc_lo, s0, v6
	v_add_co_ci_u32_e64 v7, null, s1, v7, vcc_lo
	s_waitcnt lgkmcnt(0)
	s_sub_i32 s7, s12, s3
	s_sub_i32 s13, s13, s3
	v_add_nc_u32_e32 v0, s7, v4
	s_sub_i32 s8, s13, s7
	s_mul_i32 s6, s7, 36
	s_mul_i32 s8, s8, 6
	v_mul_lo_u32 v3, s8, v5
	s_add_i32 s8, s8, s2
	v_cmp_gt_i32_e32 vcc_lo, s13, v0
	v_add3_u32 v1, s8, s6, v3
	global_store_dword v[6:7], v1, off
	s_and_b32 exec_lo, exec_lo, vcc_lo
	s_cbranch_execz .LBB265_6
; %bb.4:
	s_clause 0x4
	s_load_dwordx2 s[6:7], s[4:5], 0x20
	s_load_dwordx2 s[8:9], s[4:5], 0x30
	s_load_dword s0, s[4:5], 0x0
	s_load_dwordx2 s[10:11], s[4:5], 0x10
	s_load_dwordx2 s[4:5], s[4:5], 0x40
	v_mul_u32_u24_e32 v1, 6, v4
	s_mul_i32 s1, s12, 36
	s_mov_b32 s12, 0
	v_add3_u32 v1, v3, s1, v1
	v_mad_u64_u32 v[3:4], null, v0, 36, v[5:6]
	s_mul_i32 s1, s3, 36
	v_mul_u32_u24_e32 v6, 5, v5
	v_subrev_nc_u32_e32 v4, s1, v1
	s_waitcnt lgkmcnt(0)
	s_cmp_eq_u32 s0, 0
	s_cselect_b32 vcc_lo, -1, 0
.LBB265_5:                              ; =>This Inner Loop Header: Depth=1
	v_ashrrev_i32_e32 v1, 31, v0
	v_add_nc_u32_e32 v5, v6, v3
	v_add_nc_u32_e32 v11, 6, v3
	v_add_nc_u32_e32 v13, 12, v3
	v_add_nc_u32_e32 v14, 18, v3
	v_lshlrev_b64 v[7:8], 2, v[0:1]
	v_cndmask_b32_e32 v1, v3, v5, vcc_lo
	v_add_nc_u32_e32 v12, 1, v5
	v_add_nc_u32_e32 v15, 2, v5
	;; [unrolled: 1-line block ×4, first 2 shown]
	v_lshlrev_b64 v[9:10], 4, v[1:2]
	v_cndmask_b32_e32 v1, v11, v12, vcc_lo
	v_add_nc_u32_e32 v20, 4, v5
	v_add_co_u32 v7, s0, s6, v7
	v_add_co_ci_u32_e64 v8, null, s7, v8, s0
	v_lshlrev_b64 v[11:12], 4, v[1:2]
	v_cndmask_b32_e32 v1, v13, v15, vcc_lo
	v_add_nc_u32_e32 v21, 30, v3
	v_add_nc_u32_e32 v5, 5, v5
	global_load_dword v39, v[7:8], off
	v_add_co_u32 v7, s0, s10, v9
	v_lshlrev_b64 v[15:16], 4, v[1:2]
	v_cndmask_b32_e32 v1, v14, v17, vcc_lo
	v_add_co_ci_u32_e64 v8, null, s11, v10, s0
	v_add_co_u32 v11, s0, s10, v11
	v_lshlrev_b64 v[17:18], 4, v[1:2]
	v_cndmask_b32_e32 v1, v19, v20, vcc_lo
	v_add_co_ci_u32_e64 v12, null, s11, v12, s0
	;; [unrolled: 4-line block ×3, first 2 shown]
	v_add_co_u32 v21, s0, s10, v17
	v_add_co_ci_u32_e64 v22, null, s11, v18, s0
	v_lshlrev_b64 v[17:18], 4, v[1:2]
	v_add_co_u32 v23, s0, s10, v19
	v_add_co_ci_u32_e64 v24, null, s11, v20, s0
	s_clause 0x1
	global_load_dwordx4 v[7:10], v[7:8], off
	global_load_dwordx4 v[11:14], v[11:12], off
	v_add_co_u32 v27, s0, s10, v17
	v_add_co_ci_u32_e64 v28, null, s11, v18, s0
	s_clause 0x3
	global_load_dwordx4 v[15:18], v[15:16], off
	global_load_dwordx4 v[19:22], v[21:22], off
	;; [unrolled: 1-line block ×4, first 2 shown]
	v_ashrrev_i32_e32 v5, 31, v4
	v_add_nc_u32_e32 v0, 32, v0
	v_add_nc_u32_e32 v3, 0x480, v3
	v_lshlrev_b64 v[31:32], 2, v[4:5]
	v_lshlrev_b64 v[33:34], 4, v[4:5]
	v_cmp_le_i32_e64 s0, s13, v0
	v_add_nc_u32_e32 v4, 0xc0, v4
	v_add_co_u32 v35, s1, s4, v31
	v_add_co_ci_u32_e64 v36, null, s5, v32, s1
	v_add_co_u32 v37, s1, s8, v33
	v_add_co_ci_u32_e64 v38, null, s9, v34, s1
	s_or_b32 s12, s0, s12
	s_waitcnt vmcnt(5)
	global_store_dwordx4 v[37:38], v[7:10], off
	s_waitcnt vmcnt(4)
	global_store_dwordx4 v[37:38], v[11:14], off offset:16
	v_subrev_nc_u32_e32 v1, s3, v39
	v_mad_u64_u32 v[31:32], null, v1, 6, s[2:3]
	v_add_nc_u32_e32 v32, 1, v31
	v_add_nc_u32_e32 v33, 2, v31
	;; [unrolled: 1-line block ×5, first 2 shown]
	s_waitcnt vmcnt(3)
	global_store_dwordx4 v[37:38], v[15:18], off offset:32
	global_store_dwordx4 v[35:36], v[31:34], off
	global_store_dwordx2 v[35:36], v[7:8], off offset:16
	s_waitcnt vmcnt(2)
	global_store_dwordx4 v[37:38], v[19:22], off offset:48
	s_waitcnt vmcnt(1)
	global_store_dwordx4 v[37:38], v[23:26], off offset:64
	;; [unrolled: 2-line block ×3, first 2 shown]
	s_andn2_b32 exec_lo, exec_lo, s12
	s_cbranch_execnz .LBB265_5
.LBB265_6:
	s_endpgm
	.section	.rodata,"a",@progbits
	.p2align	6, 0x0
	.amdhsa_kernel _ZN9rocsparseL32bsr2csr_block_per_row_2_7_kernelILj256ELj6E21rocsparse_complex_numIdEiiEEv20rocsparse_direction_T3_S4_21rocsparse_index_base_PKT1_PKT2_PKS4_S4_S5_PS6_PS9_PS4_
		.amdhsa_group_segment_fixed_size 0
		.amdhsa_private_segment_fixed_size 0
		.amdhsa_kernarg_size 72
		.amdhsa_user_sgpr_count 6
		.amdhsa_user_sgpr_private_segment_buffer 1
		.amdhsa_user_sgpr_dispatch_ptr 0
		.amdhsa_user_sgpr_queue_ptr 0
		.amdhsa_user_sgpr_kernarg_segment_ptr 1
		.amdhsa_user_sgpr_dispatch_id 0
		.amdhsa_user_sgpr_flat_scratch_init 0
		.amdhsa_user_sgpr_private_segment_size 0
		.amdhsa_wavefront_size32 1
		.amdhsa_uses_dynamic_stack 0
		.amdhsa_system_sgpr_private_segment_wavefront_offset 0
		.amdhsa_system_sgpr_workgroup_id_x 1
		.amdhsa_system_sgpr_workgroup_id_y 0
		.amdhsa_system_sgpr_workgroup_id_z 0
		.amdhsa_system_sgpr_workgroup_info 0
		.amdhsa_system_vgpr_workitem_id 0
		.amdhsa_next_free_vgpr 40
		.amdhsa_next_free_sgpr 14
		.amdhsa_reserve_vcc 1
		.amdhsa_reserve_flat_scratch 0
		.amdhsa_float_round_mode_32 0
		.amdhsa_float_round_mode_16_64 0
		.amdhsa_float_denorm_mode_32 3
		.amdhsa_float_denorm_mode_16_64 3
		.amdhsa_dx10_clamp 1
		.amdhsa_ieee_mode 1
		.amdhsa_fp16_overflow 0
		.amdhsa_workgroup_processor_mode 1
		.amdhsa_memory_ordered 1
		.amdhsa_forward_progress 1
		.amdhsa_shared_vgpr_count 0
		.amdhsa_exception_fp_ieee_invalid_op 0
		.amdhsa_exception_fp_denorm_src 0
		.amdhsa_exception_fp_ieee_div_zero 0
		.amdhsa_exception_fp_ieee_overflow 0
		.amdhsa_exception_fp_ieee_underflow 0
		.amdhsa_exception_fp_ieee_inexact 0
		.amdhsa_exception_int_div_zero 0
	.end_amdhsa_kernel
	.section	.text._ZN9rocsparseL32bsr2csr_block_per_row_2_7_kernelILj256ELj6E21rocsparse_complex_numIdEiiEEv20rocsparse_direction_T3_S4_21rocsparse_index_base_PKT1_PKT2_PKS4_S4_S5_PS6_PS9_PS4_,"axG",@progbits,_ZN9rocsparseL32bsr2csr_block_per_row_2_7_kernelILj256ELj6E21rocsparse_complex_numIdEiiEEv20rocsparse_direction_T3_S4_21rocsparse_index_base_PKT1_PKT2_PKS4_S4_S5_PS6_PS9_PS4_,comdat
.Lfunc_end265:
	.size	_ZN9rocsparseL32bsr2csr_block_per_row_2_7_kernelILj256ELj6E21rocsparse_complex_numIdEiiEEv20rocsparse_direction_T3_S4_21rocsparse_index_base_PKT1_PKT2_PKS4_S4_S5_PS6_PS9_PS4_, .Lfunc_end265-_ZN9rocsparseL32bsr2csr_block_per_row_2_7_kernelILj256ELj6E21rocsparse_complex_numIdEiiEEv20rocsparse_direction_T3_S4_21rocsparse_index_base_PKT1_PKT2_PKS4_S4_S5_PS6_PS9_PS4_
                                        ; -- End function
	.set _ZN9rocsparseL32bsr2csr_block_per_row_2_7_kernelILj256ELj6E21rocsparse_complex_numIdEiiEEv20rocsparse_direction_T3_S4_21rocsparse_index_base_PKT1_PKT2_PKS4_S4_S5_PS6_PS9_PS4_.num_vgpr, 40
	.set _ZN9rocsparseL32bsr2csr_block_per_row_2_7_kernelILj256ELj6E21rocsparse_complex_numIdEiiEEv20rocsparse_direction_T3_S4_21rocsparse_index_base_PKT1_PKT2_PKS4_S4_S5_PS6_PS9_PS4_.num_agpr, 0
	.set _ZN9rocsparseL32bsr2csr_block_per_row_2_7_kernelILj256ELj6E21rocsparse_complex_numIdEiiEEv20rocsparse_direction_T3_S4_21rocsparse_index_base_PKT1_PKT2_PKS4_S4_S5_PS6_PS9_PS4_.numbered_sgpr, 14
	.set _ZN9rocsparseL32bsr2csr_block_per_row_2_7_kernelILj256ELj6E21rocsparse_complex_numIdEiiEEv20rocsparse_direction_T3_S4_21rocsparse_index_base_PKT1_PKT2_PKS4_S4_S5_PS6_PS9_PS4_.num_named_barrier, 0
	.set _ZN9rocsparseL32bsr2csr_block_per_row_2_7_kernelILj256ELj6E21rocsparse_complex_numIdEiiEEv20rocsparse_direction_T3_S4_21rocsparse_index_base_PKT1_PKT2_PKS4_S4_S5_PS6_PS9_PS4_.private_seg_size, 0
	.set _ZN9rocsparseL32bsr2csr_block_per_row_2_7_kernelILj256ELj6E21rocsparse_complex_numIdEiiEEv20rocsparse_direction_T3_S4_21rocsparse_index_base_PKT1_PKT2_PKS4_S4_S5_PS6_PS9_PS4_.uses_vcc, 1
	.set _ZN9rocsparseL32bsr2csr_block_per_row_2_7_kernelILj256ELj6E21rocsparse_complex_numIdEiiEEv20rocsparse_direction_T3_S4_21rocsparse_index_base_PKT1_PKT2_PKS4_S4_S5_PS6_PS9_PS4_.uses_flat_scratch, 0
	.set _ZN9rocsparseL32bsr2csr_block_per_row_2_7_kernelILj256ELj6E21rocsparse_complex_numIdEiiEEv20rocsparse_direction_T3_S4_21rocsparse_index_base_PKT1_PKT2_PKS4_S4_S5_PS6_PS9_PS4_.has_dyn_sized_stack, 0
	.set _ZN9rocsparseL32bsr2csr_block_per_row_2_7_kernelILj256ELj6E21rocsparse_complex_numIdEiiEEv20rocsparse_direction_T3_S4_21rocsparse_index_base_PKT1_PKT2_PKS4_S4_S5_PS6_PS9_PS4_.has_recursion, 0
	.set _ZN9rocsparseL32bsr2csr_block_per_row_2_7_kernelILj256ELj6E21rocsparse_complex_numIdEiiEEv20rocsparse_direction_T3_S4_21rocsparse_index_base_PKT1_PKT2_PKS4_S4_S5_PS6_PS9_PS4_.has_indirect_call, 0
	.section	.AMDGPU.csdata,"",@progbits
; Kernel info:
; codeLenInByte = 844
; TotalNumSgprs: 16
; NumVgprs: 40
; ScratchSize: 0
; MemoryBound: 0
; FloatMode: 240
; IeeeMode: 1
; LDSByteSize: 0 bytes/workgroup (compile time only)
; SGPRBlocks: 0
; VGPRBlocks: 4
; NumSGPRsForWavesPerEU: 16
; NumVGPRsForWavesPerEU: 40
; Occupancy: 16
; WaveLimiterHint : 0
; COMPUTE_PGM_RSRC2:SCRATCH_EN: 0
; COMPUTE_PGM_RSRC2:USER_SGPR: 6
; COMPUTE_PGM_RSRC2:TRAP_HANDLER: 0
; COMPUTE_PGM_RSRC2:TGID_X_EN: 1
; COMPUTE_PGM_RSRC2:TGID_Y_EN: 0
; COMPUTE_PGM_RSRC2:TGID_Z_EN: 0
; COMPUTE_PGM_RSRC2:TIDIG_COMP_CNT: 0
	.section	.text._ZN9rocsparseL32bsr2csr_block_per_row_2_7_kernelILj256ELj7E21rocsparse_complex_numIdEiiEEv20rocsparse_direction_T3_S4_21rocsparse_index_base_PKT1_PKT2_PKS4_S4_S5_PS6_PS9_PS4_,"axG",@progbits,_ZN9rocsparseL32bsr2csr_block_per_row_2_7_kernelILj256ELj7E21rocsparse_complex_numIdEiiEEv20rocsparse_direction_T3_S4_21rocsparse_index_base_PKT1_PKT2_PKS4_S4_S5_PS6_PS9_PS4_,comdat
	.globl	_ZN9rocsparseL32bsr2csr_block_per_row_2_7_kernelILj256ELj7E21rocsparse_complex_numIdEiiEEv20rocsparse_direction_T3_S4_21rocsparse_index_base_PKT1_PKT2_PKS4_S4_S5_PS6_PS9_PS4_ ; -- Begin function _ZN9rocsparseL32bsr2csr_block_per_row_2_7_kernelILj256ELj7E21rocsparse_complex_numIdEiiEEv20rocsparse_direction_T3_S4_21rocsparse_index_base_PKT1_PKT2_PKS4_S4_S5_PS6_PS9_PS4_
	.p2align	8
	.type	_ZN9rocsparseL32bsr2csr_block_per_row_2_7_kernelILj256ELj7E21rocsparse_complex_numIdEiiEEv20rocsparse_direction_T3_S4_21rocsparse_index_base_PKT1_PKT2_PKS4_S4_S5_PS6_PS9_PS4_,@function
_ZN9rocsparseL32bsr2csr_block_per_row_2_7_kernelILj256ELj7E21rocsparse_complex_numIdEiiEEv20rocsparse_direction_T3_S4_21rocsparse_index_base_PKT1_PKT2_PKS4_S4_S5_PS6_PS9_PS4_: ; @_ZN9rocsparseL32bsr2csr_block_per_row_2_7_kernelILj256ELj7E21rocsparse_complex_numIdEiiEEv20rocsparse_direction_T3_S4_21rocsparse_index_base_PKT1_PKT2_PKS4_S4_S5_PS6_PS9_PS4_
; %bb.0:
	s_clause 0x2
	s_load_dwordx2 s[8:9], s[4:5], 0x18
	s_load_dword s2, s[4:5], 0x2c
	s_load_dwordx2 s[0:1], s[4:5], 0x38
	s_ashr_i32 s7, s6, 31
	v_or_b32_e32 v1, s6, v0
	s_lshl_b64 s[10:11], s[6:7], 2
	s_mov_b32 s3, exec_lo
	s_waitcnt lgkmcnt(0)
	s_add_u32 s8, s8, s10
	s_addc_u32 s9, s9, s11
	v_cmpx_eq_u32_e32 0, v1
	s_cbranch_execz .LBB266_2
; %bb.1:
	v_mov_b32_e32 v1, 0
	v_mov_b32_e32 v2, s2
	global_store_dword v1, v2, s[0:1]
.LBB266_2:
	s_or_b32 exec_lo, exec_lo, s3
	v_and_b32_e32 v5, 7, v0
	s_mov_b32 s3, exec_lo
	v_cmpx_ne_u32_e32 7, v5
	s_cbranch_execz .LBB266_6
; %bb.3:
	s_load_dwordx2 s[12:13], s[8:9], 0x0
	s_load_dword s3, s[4:5], 0xc
	s_mul_i32 s6, s6, 7
	v_mov_b32_e32 v2, 0
	v_add3_u32 v1, v5, s6, 1
	v_lshrrev_b32_e32 v4, 3, v0
	v_lshlrev_b64 v[6:7], 2, v[1:2]
	v_add_co_u32 v6, vcc_lo, s0, v6
	v_add_co_ci_u32_e64 v7, null, s1, v7, vcc_lo
	s_waitcnt lgkmcnt(0)
	s_sub_i32 s7, s12, s3
	s_sub_i32 s13, s13, s3
	v_add_nc_u32_e32 v0, s7, v4
	s_sub_i32 s8, s13, s7
	s_mul_i32 s6, s7, 49
	s_mul_i32 s8, s8, 7
	v_mul_lo_u32 v3, s8, v5
	s_add_i32 s8, s8, s2
	v_cmp_gt_i32_e32 vcc_lo, s13, v0
	v_add3_u32 v1, s8, s6, v3
	global_store_dword v[6:7], v1, off
	s_and_b32 exec_lo, exec_lo, vcc_lo
	s_cbranch_execz .LBB266_6
; %bb.4:
	s_clause 0x4
	s_load_dwordx2 s[6:7], s[4:5], 0x20
	s_load_dwordx2 s[8:9], s[4:5], 0x30
	s_load_dword s0, s[4:5], 0x0
	s_load_dwordx2 s[10:11], s[4:5], 0x10
	s_load_dwordx2 s[4:5], s[4:5], 0x40
	v_mul_u32_u24_e32 v1, 7, v4
	s_mul_i32 s1, s12, 49
	s_mov_b32 s12, 0
	v_add3_u32 v1, v3, s1, v1
	v_mad_u64_u32 v[3:4], null, v0, 49, v[5:6]
	s_mul_i32 s1, s3, 49
	v_mul_u32_u24_e32 v6, 6, v5
	v_subrev_nc_u32_e32 v4, s1, v1
	s_waitcnt lgkmcnt(0)
	s_cmp_eq_u32 s0, 0
	s_cselect_b32 vcc_lo, -1, 0
.LBB266_5:                              ; =>This Inner Loop Header: Depth=1
	v_ashrrev_i32_e32 v1, 31, v0
	v_add_nc_u32_e32 v5, v6, v3
	v_add_nc_u32_e32 v11, 7, v3
	;; [unrolled: 1-line block ×4, first 2 shown]
	v_lshlrev_b64 v[7:8], 2, v[0:1]
	v_cndmask_b32_e32 v1, v3, v5, vcc_lo
	v_add_nc_u32_e32 v12, 1, v5
	v_add_nc_u32_e32 v15, 2, v5
	;; [unrolled: 1-line block ×4, first 2 shown]
	v_lshlrev_b64 v[9:10], 4, v[1:2]
	v_cndmask_b32_e32 v1, v11, v12, vcc_lo
	v_add_nc_u32_e32 v20, 4, v5
	v_add_co_u32 v7, s0, s6, v7
	v_add_co_ci_u32_e64 v8, null, s7, v8, s0
	v_lshlrev_b64 v[11:12], 4, v[1:2]
	v_cndmask_b32_e32 v1, v13, v15, vcc_lo
	v_add_nc_u32_e32 v21, 35, v3
	v_add_nc_u32_e32 v22, 5, v5
	global_load_dword v43, v[7:8], off
	v_add_co_u32 v7, s0, s10, v9
	v_lshlrev_b64 v[15:16], 4, v[1:2]
	v_cndmask_b32_e32 v1, v14, v17, vcc_lo
	v_add_co_ci_u32_e64 v8, null, s11, v10, s0
	v_add_co_u32 v11, s0, s10, v11
	v_lshlrev_b64 v[17:18], 4, v[1:2]
	v_cndmask_b32_e32 v1, v19, v20, vcc_lo
	v_add_nc_u32_e32 v23, 42, v3
	v_add_nc_u32_e32 v5, 6, v5
	v_add_co_ci_u32_e64 v12, null, s11, v12, s0
	v_lshlrev_b64 v[19:20], 4, v[1:2]
	v_cndmask_b32_e32 v1, v21, v22, vcc_lo
	v_add_co_u32 v15, s0, s10, v15
	v_add_co_ci_u32_e64 v16, null, s11, v16, s0
	v_add_co_u32 v21, s0, s10, v17
	v_add_co_ci_u32_e64 v22, null, s11, v18, s0
	v_lshlrev_b64 v[17:18], 4, v[1:2]
	v_cndmask_b32_e32 v1, v23, v5, vcc_lo
	v_add_co_u32 v23, s0, s10, v19
	v_add_co_ci_u32_e64 v24, null, s11, v20, s0
	v_lshlrev_b64 v[19:20], 4, v[1:2]
	v_add_co_u32 v27, s0, s10, v17
	s_clause 0x1
	global_load_dwordx4 v[7:10], v[7:8], off
	global_load_dwordx4 v[11:14], v[11:12], off
	v_add_co_ci_u32_e64 v28, null, s11, v18, s0
	v_add_co_u32 v31, s0, s10, v19
	v_add_co_ci_u32_e64 v32, null, s11, v20, s0
	s_clause 0x4
	global_load_dwordx4 v[15:18], v[15:16], off
	global_load_dwordx4 v[19:22], v[21:22], off
	;; [unrolled: 1-line block ×5, first 2 shown]
	v_ashrrev_i32_e32 v5, 31, v4
	v_add_nc_u32_e32 v0, 32, v0
	v_add_nc_u32_e32 v3, 0x620, v3
	v_lshlrev_b64 v[35:36], 2, v[4:5]
	v_lshlrev_b64 v[37:38], 4, v[4:5]
	v_cmp_le_i32_e64 s0, s13, v0
	v_add_nc_u32_e32 v4, 0xe0, v4
	v_add_co_u32 v39, s1, s4, v35
	v_add_co_ci_u32_e64 v40, null, s5, v36, s1
	v_add_co_u32 v41, s1, s8, v37
	v_add_co_ci_u32_e64 v42, null, s9, v38, s1
	s_or_b32 s12, s0, s12
	s_waitcnt vmcnt(6)
	global_store_dwordx4 v[41:42], v[7:10], off
	s_waitcnt vmcnt(5)
	global_store_dwordx4 v[41:42], v[11:14], off offset:16
	v_subrev_nc_u32_e32 v1, s3, v43
	v_mad_u64_u32 v[35:36], null, v1, 7, s[2:3]
	v_add_nc_u32_e32 v36, 1, v35
	v_add_nc_u32_e32 v37, 2, v35
	;; [unrolled: 1-line block ×6, first 2 shown]
	s_waitcnt vmcnt(4)
	global_store_dwordx4 v[41:42], v[15:18], off offset:32
	global_store_dwordx4 v[39:40], v[35:38], off
	global_store_dwordx3 v[39:40], v[7:9], off offset:16
	s_waitcnt vmcnt(3)
	global_store_dwordx4 v[41:42], v[19:22], off offset:48
	s_waitcnt vmcnt(2)
	global_store_dwordx4 v[41:42], v[23:26], off offset:64
	;; [unrolled: 2-line block ×4, first 2 shown]
	s_andn2_b32 exec_lo, exec_lo, s12
	s_cbranch_execnz .LBB266_5
.LBB266_6:
	s_endpgm
	.section	.rodata,"a",@progbits
	.p2align	6, 0x0
	.amdhsa_kernel _ZN9rocsparseL32bsr2csr_block_per_row_2_7_kernelILj256ELj7E21rocsparse_complex_numIdEiiEEv20rocsparse_direction_T3_S4_21rocsparse_index_base_PKT1_PKT2_PKS4_S4_S5_PS6_PS9_PS4_
		.amdhsa_group_segment_fixed_size 0
		.amdhsa_private_segment_fixed_size 0
		.amdhsa_kernarg_size 72
		.amdhsa_user_sgpr_count 6
		.amdhsa_user_sgpr_private_segment_buffer 1
		.amdhsa_user_sgpr_dispatch_ptr 0
		.amdhsa_user_sgpr_queue_ptr 0
		.amdhsa_user_sgpr_kernarg_segment_ptr 1
		.amdhsa_user_sgpr_dispatch_id 0
		.amdhsa_user_sgpr_flat_scratch_init 0
		.amdhsa_user_sgpr_private_segment_size 0
		.amdhsa_wavefront_size32 1
		.amdhsa_uses_dynamic_stack 0
		.amdhsa_system_sgpr_private_segment_wavefront_offset 0
		.amdhsa_system_sgpr_workgroup_id_x 1
		.amdhsa_system_sgpr_workgroup_id_y 0
		.amdhsa_system_sgpr_workgroup_id_z 0
		.amdhsa_system_sgpr_workgroup_info 0
		.amdhsa_system_vgpr_workitem_id 0
		.amdhsa_next_free_vgpr 44
		.amdhsa_next_free_sgpr 14
		.amdhsa_reserve_vcc 1
		.amdhsa_reserve_flat_scratch 0
		.amdhsa_float_round_mode_32 0
		.amdhsa_float_round_mode_16_64 0
		.amdhsa_float_denorm_mode_32 3
		.amdhsa_float_denorm_mode_16_64 3
		.amdhsa_dx10_clamp 1
		.amdhsa_ieee_mode 1
		.amdhsa_fp16_overflow 0
		.amdhsa_workgroup_processor_mode 1
		.amdhsa_memory_ordered 1
		.amdhsa_forward_progress 1
		.amdhsa_shared_vgpr_count 0
		.amdhsa_exception_fp_ieee_invalid_op 0
		.amdhsa_exception_fp_denorm_src 0
		.amdhsa_exception_fp_ieee_div_zero 0
		.amdhsa_exception_fp_ieee_overflow 0
		.amdhsa_exception_fp_ieee_underflow 0
		.amdhsa_exception_fp_ieee_inexact 0
		.amdhsa_exception_int_div_zero 0
	.end_amdhsa_kernel
	.section	.text._ZN9rocsparseL32bsr2csr_block_per_row_2_7_kernelILj256ELj7E21rocsparse_complex_numIdEiiEEv20rocsparse_direction_T3_S4_21rocsparse_index_base_PKT1_PKT2_PKS4_S4_S5_PS6_PS9_PS4_,"axG",@progbits,_ZN9rocsparseL32bsr2csr_block_per_row_2_7_kernelILj256ELj7E21rocsparse_complex_numIdEiiEEv20rocsparse_direction_T3_S4_21rocsparse_index_base_PKT1_PKT2_PKS4_S4_S5_PS6_PS9_PS4_,comdat
.Lfunc_end266:
	.size	_ZN9rocsparseL32bsr2csr_block_per_row_2_7_kernelILj256ELj7E21rocsparse_complex_numIdEiiEEv20rocsparse_direction_T3_S4_21rocsparse_index_base_PKT1_PKT2_PKS4_S4_S5_PS6_PS9_PS4_, .Lfunc_end266-_ZN9rocsparseL32bsr2csr_block_per_row_2_7_kernelILj256ELj7E21rocsparse_complex_numIdEiiEEv20rocsparse_direction_T3_S4_21rocsparse_index_base_PKT1_PKT2_PKS4_S4_S5_PS6_PS9_PS4_
                                        ; -- End function
	.set _ZN9rocsparseL32bsr2csr_block_per_row_2_7_kernelILj256ELj7E21rocsparse_complex_numIdEiiEEv20rocsparse_direction_T3_S4_21rocsparse_index_base_PKT1_PKT2_PKS4_S4_S5_PS6_PS9_PS4_.num_vgpr, 44
	.set _ZN9rocsparseL32bsr2csr_block_per_row_2_7_kernelILj256ELj7E21rocsparse_complex_numIdEiiEEv20rocsparse_direction_T3_S4_21rocsparse_index_base_PKT1_PKT2_PKS4_S4_S5_PS6_PS9_PS4_.num_agpr, 0
	.set _ZN9rocsparseL32bsr2csr_block_per_row_2_7_kernelILj256ELj7E21rocsparse_complex_numIdEiiEEv20rocsparse_direction_T3_S4_21rocsparse_index_base_PKT1_PKT2_PKS4_S4_S5_PS6_PS9_PS4_.numbered_sgpr, 14
	.set _ZN9rocsparseL32bsr2csr_block_per_row_2_7_kernelILj256ELj7E21rocsparse_complex_numIdEiiEEv20rocsparse_direction_T3_S4_21rocsparse_index_base_PKT1_PKT2_PKS4_S4_S5_PS6_PS9_PS4_.num_named_barrier, 0
	.set _ZN9rocsparseL32bsr2csr_block_per_row_2_7_kernelILj256ELj7E21rocsparse_complex_numIdEiiEEv20rocsparse_direction_T3_S4_21rocsparse_index_base_PKT1_PKT2_PKS4_S4_S5_PS6_PS9_PS4_.private_seg_size, 0
	.set _ZN9rocsparseL32bsr2csr_block_per_row_2_7_kernelILj256ELj7E21rocsparse_complex_numIdEiiEEv20rocsparse_direction_T3_S4_21rocsparse_index_base_PKT1_PKT2_PKS4_S4_S5_PS6_PS9_PS4_.uses_vcc, 1
	.set _ZN9rocsparseL32bsr2csr_block_per_row_2_7_kernelILj256ELj7E21rocsparse_complex_numIdEiiEEv20rocsparse_direction_T3_S4_21rocsparse_index_base_PKT1_PKT2_PKS4_S4_S5_PS6_PS9_PS4_.uses_flat_scratch, 0
	.set _ZN9rocsparseL32bsr2csr_block_per_row_2_7_kernelILj256ELj7E21rocsparse_complex_numIdEiiEEv20rocsparse_direction_T3_S4_21rocsparse_index_base_PKT1_PKT2_PKS4_S4_S5_PS6_PS9_PS4_.has_dyn_sized_stack, 0
	.set _ZN9rocsparseL32bsr2csr_block_per_row_2_7_kernelILj256ELj7E21rocsparse_complex_numIdEiiEEv20rocsparse_direction_T3_S4_21rocsparse_index_base_PKT1_PKT2_PKS4_S4_S5_PS6_PS9_PS4_.has_recursion, 0
	.set _ZN9rocsparseL32bsr2csr_block_per_row_2_7_kernelILj256ELj7E21rocsparse_complex_numIdEiiEEv20rocsparse_direction_T3_S4_21rocsparse_index_base_PKT1_PKT2_PKS4_S4_S5_PS6_PS9_PS4_.has_indirect_call, 0
	.section	.AMDGPU.csdata,"",@progbits
; Kernel info:
; codeLenInByte = 904
; TotalNumSgprs: 16
; NumVgprs: 44
; ScratchSize: 0
; MemoryBound: 0
; FloatMode: 240
; IeeeMode: 1
; LDSByteSize: 0 bytes/workgroup (compile time only)
; SGPRBlocks: 0
; VGPRBlocks: 5
; NumSGPRsForWavesPerEU: 16
; NumVGPRsForWavesPerEU: 44
; Occupancy: 16
; WaveLimiterHint : 0
; COMPUTE_PGM_RSRC2:SCRATCH_EN: 0
; COMPUTE_PGM_RSRC2:USER_SGPR: 6
; COMPUTE_PGM_RSRC2:TRAP_HANDLER: 0
; COMPUTE_PGM_RSRC2:TGID_X_EN: 1
; COMPUTE_PGM_RSRC2:TGID_Y_EN: 0
; COMPUTE_PGM_RSRC2:TGID_Z_EN: 0
; COMPUTE_PGM_RSRC2:TIDIG_COMP_CNT: 0
	.section	.text._ZN9rocsparseL33bsr2csr_block_per_row_8_32_kernelILj1024ELj8E21rocsparse_complex_numIdEiiEEv20rocsparse_direction_T3_S4_21rocsparse_index_base_PKT1_PKT2_PKS4_S4_S5_PS6_PS9_PS4_,"axG",@progbits,_ZN9rocsparseL33bsr2csr_block_per_row_8_32_kernelILj1024ELj8E21rocsparse_complex_numIdEiiEEv20rocsparse_direction_T3_S4_21rocsparse_index_base_PKT1_PKT2_PKS4_S4_S5_PS6_PS9_PS4_,comdat
	.globl	_ZN9rocsparseL33bsr2csr_block_per_row_8_32_kernelILj1024ELj8E21rocsparse_complex_numIdEiiEEv20rocsparse_direction_T3_S4_21rocsparse_index_base_PKT1_PKT2_PKS4_S4_S5_PS6_PS9_PS4_ ; -- Begin function _ZN9rocsparseL33bsr2csr_block_per_row_8_32_kernelILj1024ELj8E21rocsparse_complex_numIdEiiEEv20rocsparse_direction_T3_S4_21rocsparse_index_base_PKT1_PKT2_PKS4_S4_S5_PS6_PS9_PS4_
	.p2align	8
	.type	_ZN9rocsparseL33bsr2csr_block_per_row_8_32_kernelILj1024ELj8E21rocsparse_complex_numIdEiiEEv20rocsparse_direction_T3_S4_21rocsparse_index_base_PKT1_PKT2_PKS4_S4_S5_PS6_PS9_PS4_,@function
_ZN9rocsparseL33bsr2csr_block_per_row_8_32_kernelILj1024ELj8E21rocsparse_complex_numIdEiiEEv20rocsparse_direction_T3_S4_21rocsparse_index_base_PKT1_PKT2_PKS4_S4_S5_PS6_PS9_PS4_: ; @_ZN9rocsparseL33bsr2csr_block_per_row_8_32_kernelILj1024ELj8E21rocsparse_complex_numIdEiiEEv20rocsparse_direction_T3_S4_21rocsparse_index_base_PKT1_PKT2_PKS4_S4_S5_PS6_PS9_PS4_
; %bb.0:
	s_clause 0x2
	s_load_dwordx2 s[8:9], s[4:5], 0x18
	s_load_dwordx2 s[2:3], s[4:5], 0x28
	;; [unrolled: 1-line block ×3, first 2 shown]
	s_ashr_i32 s7, s6, 31
	v_or_b32_e32 v1, s6, v0
	s_lshl_b64 s[10:11], s[6:7], 2
	s_mov_b32 s7, exec_lo
	s_waitcnt lgkmcnt(0)
	s_add_u32 s8, s8, s10
	s_addc_u32 s9, s9, s11
	v_cmpx_eq_u32_e32 0, v1
	s_cbranch_execz .LBB267_2
; %bb.1:
	v_mov_b32_e32 v1, 0
	v_mov_b32_e32 v2, s3
	global_store_dword v1, v2, s[0:1]
.LBB267_2:
	s_or_b32 exec_lo, exec_lo, s7
	v_and_b32_e32 v1, 7, v0
	v_bfe_u32 v2, v0, 3, 3
	s_mov_b32 s7, exec_lo
	v_max_i32_e32 v3, v2, v1
	v_cmpx_gt_i32_e64 s2, v3
	s_cbranch_execz .LBB267_6
; %bb.3:
	s_load_dwordx2 s[8:9], s[8:9], 0x0
	s_load_dword s12, s[4:5], 0xc
	v_mad_u64_u32 v[4:5], null, s2, s6, v[2:3]
	v_lshrrev_b32_e32 v3, 6, v0
	s_mul_i32 s14, s2, s2
	v_ashrrev_i32_e32 v5, 31, v4
	v_lshlrev_b64 v[4:5], 2, v[4:5]
	v_add_co_u32 v4, vcc_lo, s0, v4
	s_waitcnt lgkmcnt(0)
	s_sub_i32 s15, s8, s12
	s_sub_i32 s13, s9, s12
	v_add_nc_u32_e32 v0, s15, v3
	s_sub_i32 s16, s13, s15
	s_mul_i32 s7, s15, s14
	s_mul_i32 s6, s16, s2
	v_add_co_ci_u32_e64 v5, null, s1, v5, vcc_lo
	v_mul_lo_u32 v6, s6, v2
	s_add_i32 s6, s6, s3
	v_cmp_gt_i32_e32 vcc_lo, s13, v0
	v_add3_u32 v6, s6, s7, v6
	global_store_dword v[4:5], v6, off offset:4
	s_and_b32 exec_lo, exec_lo, vcc_lo
	s_cbranch_execz .LBB267_6
; %bb.4:
	s_clause 0x2
	s_load_dwordx2 s[6:7], s[4:5], 0x20
	s_load_dwordx2 s[8:9], s[4:5], 0x30
	s_load_dword s0, s[4:5], 0x0
	v_mad_u64_u32 v[4:5], null, s2, v1, v[2:3]
	v_mad_u64_u32 v[5:6], null, s2, v2, v[1:2]
	v_mul_lo_u32 v6, s16, v2
	s_clause 0x1
	s_load_dwordx2 s[10:11], s[4:5], 0x10
	s_load_dwordx2 s[4:5], s[4:5], 0x40
	s_mov_b32 s1, 0
	s_waitcnt lgkmcnt(0)
	s_cmp_eq_u32 s0, 0
	s_mul_i32 s0, s2, s15
	s_cselect_b32 vcc_lo, -1, 0
	v_cndmask_b32_e32 v2, v4, v5, vcc_lo
	v_add3_u32 v4, v3, s0, v6
	v_add_nc_u32_e32 v6, s3, v1
	s_lshl_b32 s3, s14, 4
	v_mad_u64_u32 v[2:3], null, s14, v0, v[2:3]
	s_lshl_b32 s14, s2, 4
	v_mad_u64_u32 v[4:5], null, s2, v4, v[1:2]
	s_inst_prefetch 0x1
	.p2align	6
.LBB267_5:                              ; =>This Inner Loop Header: Depth=1
	v_ashrrev_i32_e32 v1, 31, v0
	v_ashrrev_i32_e32 v3, 31, v2
	;; [unrolled: 1-line block ×3, first 2 shown]
	v_lshlrev_b64 v[7:8], 2, v[0:1]
	v_add_nc_u32_e32 v0, 16, v0
	v_lshlrev_b64 v[11:12], 2, v[4:5]
	v_lshlrev_b64 v[13:14], 4, v[4:5]
	v_add_nc_u32_e32 v4, s14, v4
	v_add_co_u32 v7, vcc_lo, s6, v7
	v_add_co_ci_u32_e64 v8, null, s7, v8, vcc_lo
	v_add_co_u32 v11, s0, s4, v11
	v_add_co_ci_u32_e64 v12, null, s5, v12, s0
	global_load_dword v1, v[7:8], off
	v_lshlrev_b64 v[7:8], 4, v[2:3]
	v_add_co_u32 v13, s0, s8, v13
	v_add_nc_u32_e32 v2, s3, v2
	v_add_co_ci_u32_e64 v14, null, s9, v14, s0
	v_add_co_u32 v7, vcc_lo, s10, v7
	v_add_co_ci_u32_e64 v8, null, s11, v8, vcc_lo
	v_cmp_le_i32_e32 vcc_lo, s13, v0
	global_load_dwordx4 v[7:10], v[7:8], off
	s_or_b32 s1, vcc_lo, s1
	s_waitcnt vmcnt(1)
	v_subrev_nc_u32_e32 v1, s12, v1
	s_waitcnt vmcnt(0)
	v_mad_u64_u32 v[15:16], null, v1, s2, v[6:7]
	global_store_dword v[11:12], v15, off
	global_store_dwordx4 v[13:14], v[7:10], off
	s_andn2_b32 exec_lo, exec_lo, s1
	s_cbranch_execnz .LBB267_5
.LBB267_6:
	s_inst_prefetch 0x2
	s_endpgm
	.section	.rodata,"a",@progbits
	.p2align	6, 0x0
	.amdhsa_kernel _ZN9rocsparseL33bsr2csr_block_per_row_8_32_kernelILj1024ELj8E21rocsparse_complex_numIdEiiEEv20rocsparse_direction_T3_S4_21rocsparse_index_base_PKT1_PKT2_PKS4_S4_S5_PS6_PS9_PS4_
		.amdhsa_group_segment_fixed_size 0
		.amdhsa_private_segment_fixed_size 0
		.amdhsa_kernarg_size 72
		.amdhsa_user_sgpr_count 6
		.amdhsa_user_sgpr_private_segment_buffer 1
		.amdhsa_user_sgpr_dispatch_ptr 0
		.amdhsa_user_sgpr_queue_ptr 0
		.amdhsa_user_sgpr_kernarg_segment_ptr 1
		.amdhsa_user_sgpr_dispatch_id 0
		.amdhsa_user_sgpr_flat_scratch_init 0
		.amdhsa_user_sgpr_private_segment_size 0
		.amdhsa_wavefront_size32 1
		.amdhsa_uses_dynamic_stack 0
		.amdhsa_system_sgpr_private_segment_wavefront_offset 0
		.amdhsa_system_sgpr_workgroup_id_x 1
		.amdhsa_system_sgpr_workgroup_id_y 0
		.amdhsa_system_sgpr_workgroup_id_z 0
		.amdhsa_system_sgpr_workgroup_info 0
		.amdhsa_system_vgpr_workitem_id 0
		.amdhsa_next_free_vgpr 17
		.amdhsa_next_free_sgpr 17
		.amdhsa_reserve_vcc 1
		.amdhsa_reserve_flat_scratch 0
		.amdhsa_float_round_mode_32 0
		.amdhsa_float_round_mode_16_64 0
		.amdhsa_float_denorm_mode_32 3
		.amdhsa_float_denorm_mode_16_64 3
		.amdhsa_dx10_clamp 1
		.amdhsa_ieee_mode 1
		.amdhsa_fp16_overflow 0
		.amdhsa_workgroup_processor_mode 1
		.amdhsa_memory_ordered 1
		.amdhsa_forward_progress 1
		.amdhsa_shared_vgpr_count 0
		.amdhsa_exception_fp_ieee_invalid_op 0
		.amdhsa_exception_fp_denorm_src 0
		.amdhsa_exception_fp_ieee_div_zero 0
		.amdhsa_exception_fp_ieee_overflow 0
		.amdhsa_exception_fp_ieee_underflow 0
		.amdhsa_exception_fp_ieee_inexact 0
		.amdhsa_exception_int_div_zero 0
	.end_amdhsa_kernel
	.section	.text._ZN9rocsparseL33bsr2csr_block_per_row_8_32_kernelILj1024ELj8E21rocsparse_complex_numIdEiiEEv20rocsparse_direction_T3_S4_21rocsparse_index_base_PKT1_PKT2_PKS4_S4_S5_PS6_PS9_PS4_,"axG",@progbits,_ZN9rocsparseL33bsr2csr_block_per_row_8_32_kernelILj1024ELj8E21rocsparse_complex_numIdEiiEEv20rocsparse_direction_T3_S4_21rocsparse_index_base_PKT1_PKT2_PKS4_S4_S5_PS6_PS9_PS4_,comdat
.Lfunc_end267:
	.size	_ZN9rocsparseL33bsr2csr_block_per_row_8_32_kernelILj1024ELj8E21rocsparse_complex_numIdEiiEEv20rocsparse_direction_T3_S4_21rocsparse_index_base_PKT1_PKT2_PKS4_S4_S5_PS6_PS9_PS4_, .Lfunc_end267-_ZN9rocsparseL33bsr2csr_block_per_row_8_32_kernelILj1024ELj8E21rocsparse_complex_numIdEiiEEv20rocsparse_direction_T3_S4_21rocsparse_index_base_PKT1_PKT2_PKS4_S4_S5_PS6_PS9_PS4_
                                        ; -- End function
	.set _ZN9rocsparseL33bsr2csr_block_per_row_8_32_kernelILj1024ELj8E21rocsparse_complex_numIdEiiEEv20rocsparse_direction_T3_S4_21rocsparse_index_base_PKT1_PKT2_PKS4_S4_S5_PS6_PS9_PS4_.num_vgpr, 17
	.set _ZN9rocsparseL33bsr2csr_block_per_row_8_32_kernelILj1024ELj8E21rocsparse_complex_numIdEiiEEv20rocsparse_direction_T3_S4_21rocsparse_index_base_PKT1_PKT2_PKS4_S4_S5_PS6_PS9_PS4_.num_agpr, 0
	.set _ZN9rocsparseL33bsr2csr_block_per_row_8_32_kernelILj1024ELj8E21rocsparse_complex_numIdEiiEEv20rocsparse_direction_T3_S4_21rocsparse_index_base_PKT1_PKT2_PKS4_S4_S5_PS6_PS9_PS4_.numbered_sgpr, 17
	.set _ZN9rocsparseL33bsr2csr_block_per_row_8_32_kernelILj1024ELj8E21rocsparse_complex_numIdEiiEEv20rocsparse_direction_T3_S4_21rocsparse_index_base_PKT1_PKT2_PKS4_S4_S5_PS6_PS9_PS4_.num_named_barrier, 0
	.set _ZN9rocsparseL33bsr2csr_block_per_row_8_32_kernelILj1024ELj8E21rocsparse_complex_numIdEiiEEv20rocsparse_direction_T3_S4_21rocsparse_index_base_PKT1_PKT2_PKS4_S4_S5_PS6_PS9_PS4_.private_seg_size, 0
	.set _ZN9rocsparseL33bsr2csr_block_per_row_8_32_kernelILj1024ELj8E21rocsparse_complex_numIdEiiEEv20rocsparse_direction_T3_S4_21rocsparse_index_base_PKT1_PKT2_PKS4_S4_S5_PS6_PS9_PS4_.uses_vcc, 1
	.set _ZN9rocsparseL33bsr2csr_block_per_row_8_32_kernelILj1024ELj8E21rocsparse_complex_numIdEiiEEv20rocsparse_direction_T3_S4_21rocsparse_index_base_PKT1_PKT2_PKS4_S4_S5_PS6_PS9_PS4_.uses_flat_scratch, 0
	.set _ZN9rocsparseL33bsr2csr_block_per_row_8_32_kernelILj1024ELj8E21rocsparse_complex_numIdEiiEEv20rocsparse_direction_T3_S4_21rocsparse_index_base_PKT1_PKT2_PKS4_S4_S5_PS6_PS9_PS4_.has_dyn_sized_stack, 0
	.set _ZN9rocsparseL33bsr2csr_block_per_row_8_32_kernelILj1024ELj8E21rocsparse_complex_numIdEiiEEv20rocsparse_direction_T3_S4_21rocsparse_index_base_PKT1_PKT2_PKS4_S4_S5_PS6_PS9_PS4_.has_recursion, 0
	.set _ZN9rocsparseL33bsr2csr_block_per_row_8_32_kernelILj1024ELj8E21rocsparse_complex_numIdEiiEEv20rocsparse_direction_T3_S4_21rocsparse_index_base_PKT1_PKT2_PKS4_S4_S5_PS6_PS9_PS4_.has_indirect_call, 0
	.section	.AMDGPU.csdata,"",@progbits
; Kernel info:
; codeLenInByte = 580
; TotalNumSgprs: 19
; NumVgprs: 17
; ScratchSize: 0
; MemoryBound: 0
; FloatMode: 240
; IeeeMode: 1
; LDSByteSize: 0 bytes/workgroup (compile time only)
; SGPRBlocks: 0
; VGPRBlocks: 2
; NumSGPRsForWavesPerEU: 19
; NumVGPRsForWavesPerEU: 17
; Occupancy: 16
; WaveLimiterHint : 0
; COMPUTE_PGM_RSRC2:SCRATCH_EN: 0
; COMPUTE_PGM_RSRC2:USER_SGPR: 6
; COMPUTE_PGM_RSRC2:TRAP_HANDLER: 0
; COMPUTE_PGM_RSRC2:TGID_X_EN: 1
; COMPUTE_PGM_RSRC2:TGID_Y_EN: 0
; COMPUTE_PGM_RSRC2:TGID_Z_EN: 0
; COMPUTE_PGM_RSRC2:TIDIG_COMP_CNT: 0
	.section	.text._ZN9rocsparseL33bsr2csr_block_per_row_8_32_kernelILj1024ELj16E21rocsparse_complex_numIdEiiEEv20rocsparse_direction_T3_S4_21rocsparse_index_base_PKT1_PKT2_PKS4_S4_S5_PS6_PS9_PS4_,"axG",@progbits,_ZN9rocsparseL33bsr2csr_block_per_row_8_32_kernelILj1024ELj16E21rocsparse_complex_numIdEiiEEv20rocsparse_direction_T3_S4_21rocsparse_index_base_PKT1_PKT2_PKS4_S4_S5_PS6_PS9_PS4_,comdat
	.globl	_ZN9rocsparseL33bsr2csr_block_per_row_8_32_kernelILj1024ELj16E21rocsparse_complex_numIdEiiEEv20rocsparse_direction_T3_S4_21rocsparse_index_base_PKT1_PKT2_PKS4_S4_S5_PS6_PS9_PS4_ ; -- Begin function _ZN9rocsparseL33bsr2csr_block_per_row_8_32_kernelILj1024ELj16E21rocsparse_complex_numIdEiiEEv20rocsparse_direction_T3_S4_21rocsparse_index_base_PKT1_PKT2_PKS4_S4_S5_PS6_PS9_PS4_
	.p2align	8
	.type	_ZN9rocsparseL33bsr2csr_block_per_row_8_32_kernelILj1024ELj16E21rocsparse_complex_numIdEiiEEv20rocsparse_direction_T3_S4_21rocsparse_index_base_PKT1_PKT2_PKS4_S4_S5_PS6_PS9_PS4_,@function
_ZN9rocsparseL33bsr2csr_block_per_row_8_32_kernelILj1024ELj16E21rocsparse_complex_numIdEiiEEv20rocsparse_direction_T3_S4_21rocsparse_index_base_PKT1_PKT2_PKS4_S4_S5_PS6_PS9_PS4_: ; @_ZN9rocsparseL33bsr2csr_block_per_row_8_32_kernelILj1024ELj16E21rocsparse_complex_numIdEiiEEv20rocsparse_direction_T3_S4_21rocsparse_index_base_PKT1_PKT2_PKS4_S4_S5_PS6_PS9_PS4_
; %bb.0:
	s_clause 0x2
	s_load_dwordx2 s[8:9], s[4:5], 0x18
	s_load_dwordx2 s[2:3], s[4:5], 0x28
	s_load_dwordx2 s[0:1], s[4:5], 0x38
	s_ashr_i32 s7, s6, 31
	v_or_b32_e32 v1, s6, v0
	s_lshl_b64 s[10:11], s[6:7], 2
	s_mov_b32 s7, exec_lo
	s_waitcnt lgkmcnt(0)
	s_add_u32 s8, s8, s10
	s_addc_u32 s9, s9, s11
	v_cmpx_eq_u32_e32 0, v1
	s_cbranch_execz .LBB268_2
; %bb.1:
	v_mov_b32_e32 v1, 0
	v_mov_b32_e32 v2, s3
	global_store_dword v1, v2, s[0:1]
.LBB268_2:
	s_or_b32 exec_lo, exec_lo, s7
	v_and_b32_e32 v1, 15, v0
	v_bfe_u32 v2, v0, 4, 4
	s_mov_b32 s7, exec_lo
	v_max_i32_e32 v3, v2, v1
	v_cmpx_gt_i32_e64 s2, v3
	s_cbranch_execz .LBB268_6
; %bb.3:
	s_load_dwordx2 s[8:9], s[8:9], 0x0
	s_load_dword s12, s[4:5], 0xc
	v_mad_u64_u32 v[4:5], null, s2, s6, v[2:3]
	v_lshrrev_b32_e32 v3, 8, v0
	s_mul_i32 s14, s2, s2
	v_ashrrev_i32_e32 v5, 31, v4
	v_lshlrev_b64 v[4:5], 2, v[4:5]
	v_add_co_u32 v4, vcc_lo, s0, v4
	s_waitcnt lgkmcnt(0)
	s_sub_i32 s15, s8, s12
	s_sub_i32 s13, s9, s12
	v_add_nc_u32_e32 v0, s15, v3
	s_sub_i32 s16, s13, s15
	s_mul_i32 s7, s15, s14
	s_mul_i32 s6, s16, s2
	v_add_co_ci_u32_e64 v5, null, s1, v5, vcc_lo
	v_mul_lo_u32 v6, s6, v2
	s_add_i32 s6, s6, s3
	v_cmp_gt_i32_e32 vcc_lo, s13, v0
	v_add3_u32 v6, s6, s7, v6
	global_store_dword v[4:5], v6, off offset:4
	s_and_b32 exec_lo, exec_lo, vcc_lo
	s_cbranch_execz .LBB268_6
; %bb.4:
	s_clause 0x2
	s_load_dwordx2 s[6:7], s[4:5], 0x20
	s_load_dwordx2 s[8:9], s[4:5], 0x30
	s_load_dword s0, s[4:5], 0x0
	v_mad_u64_u32 v[4:5], null, s2, v1, v[2:3]
	v_mad_u64_u32 v[5:6], null, s2, v2, v[1:2]
	v_mul_lo_u32 v6, s16, v2
	s_clause 0x1
	s_load_dwordx2 s[10:11], s[4:5], 0x10
	s_load_dwordx2 s[4:5], s[4:5], 0x40
	s_mov_b32 s1, 0
	s_waitcnt lgkmcnt(0)
	s_cmp_eq_u32 s0, 0
	s_mul_i32 s0, s2, s15
	s_cselect_b32 vcc_lo, -1, 0
	v_cndmask_b32_e32 v2, v4, v5, vcc_lo
	v_add3_u32 v4, v3, s0, v6
	v_add_nc_u32_e32 v6, s3, v1
	s_lshl_b32 s3, s14, 2
	v_mad_u64_u32 v[2:3], null, s14, v0, v[2:3]
	s_lshl_b32 s14, s2, 2
	v_mad_u64_u32 v[4:5], null, s2, v4, v[1:2]
	s_inst_prefetch 0x1
	.p2align	6
.LBB268_5:                              ; =>This Inner Loop Header: Depth=1
	v_ashrrev_i32_e32 v1, 31, v0
	v_ashrrev_i32_e32 v3, 31, v2
	;; [unrolled: 1-line block ×3, first 2 shown]
	v_lshlrev_b64 v[7:8], 2, v[0:1]
	v_add_nc_u32_e32 v0, 4, v0
	v_lshlrev_b64 v[11:12], 2, v[4:5]
	v_lshlrev_b64 v[13:14], 4, v[4:5]
	v_add_nc_u32_e32 v4, s14, v4
	v_add_co_u32 v7, vcc_lo, s6, v7
	v_add_co_ci_u32_e64 v8, null, s7, v8, vcc_lo
	v_add_co_u32 v11, s0, s4, v11
	v_add_co_ci_u32_e64 v12, null, s5, v12, s0
	global_load_dword v1, v[7:8], off
	v_lshlrev_b64 v[7:8], 4, v[2:3]
	v_add_co_u32 v13, s0, s8, v13
	v_add_nc_u32_e32 v2, s3, v2
	v_add_co_ci_u32_e64 v14, null, s9, v14, s0
	v_add_co_u32 v7, vcc_lo, s10, v7
	v_add_co_ci_u32_e64 v8, null, s11, v8, vcc_lo
	v_cmp_le_i32_e32 vcc_lo, s13, v0
	global_load_dwordx4 v[7:10], v[7:8], off
	s_or_b32 s1, vcc_lo, s1
	s_waitcnt vmcnt(1)
	v_subrev_nc_u32_e32 v1, s12, v1
	s_waitcnt vmcnt(0)
	v_mad_u64_u32 v[15:16], null, v1, s2, v[6:7]
	global_store_dword v[11:12], v15, off
	global_store_dwordx4 v[13:14], v[7:10], off
	s_andn2_b32 exec_lo, exec_lo, s1
	s_cbranch_execnz .LBB268_5
.LBB268_6:
	s_inst_prefetch 0x2
	s_endpgm
	.section	.rodata,"a",@progbits
	.p2align	6, 0x0
	.amdhsa_kernel _ZN9rocsparseL33bsr2csr_block_per_row_8_32_kernelILj1024ELj16E21rocsparse_complex_numIdEiiEEv20rocsparse_direction_T3_S4_21rocsparse_index_base_PKT1_PKT2_PKS4_S4_S5_PS6_PS9_PS4_
		.amdhsa_group_segment_fixed_size 0
		.amdhsa_private_segment_fixed_size 0
		.amdhsa_kernarg_size 72
		.amdhsa_user_sgpr_count 6
		.amdhsa_user_sgpr_private_segment_buffer 1
		.amdhsa_user_sgpr_dispatch_ptr 0
		.amdhsa_user_sgpr_queue_ptr 0
		.amdhsa_user_sgpr_kernarg_segment_ptr 1
		.amdhsa_user_sgpr_dispatch_id 0
		.amdhsa_user_sgpr_flat_scratch_init 0
		.amdhsa_user_sgpr_private_segment_size 0
		.amdhsa_wavefront_size32 1
		.amdhsa_uses_dynamic_stack 0
		.amdhsa_system_sgpr_private_segment_wavefront_offset 0
		.amdhsa_system_sgpr_workgroup_id_x 1
		.amdhsa_system_sgpr_workgroup_id_y 0
		.amdhsa_system_sgpr_workgroup_id_z 0
		.amdhsa_system_sgpr_workgroup_info 0
		.amdhsa_system_vgpr_workitem_id 0
		.amdhsa_next_free_vgpr 17
		.amdhsa_next_free_sgpr 17
		.amdhsa_reserve_vcc 1
		.amdhsa_reserve_flat_scratch 0
		.amdhsa_float_round_mode_32 0
		.amdhsa_float_round_mode_16_64 0
		.amdhsa_float_denorm_mode_32 3
		.amdhsa_float_denorm_mode_16_64 3
		.amdhsa_dx10_clamp 1
		.amdhsa_ieee_mode 1
		.amdhsa_fp16_overflow 0
		.amdhsa_workgroup_processor_mode 1
		.amdhsa_memory_ordered 1
		.amdhsa_forward_progress 1
		.amdhsa_shared_vgpr_count 0
		.amdhsa_exception_fp_ieee_invalid_op 0
		.amdhsa_exception_fp_denorm_src 0
		.amdhsa_exception_fp_ieee_div_zero 0
		.amdhsa_exception_fp_ieee_overflow 0
		.amdhsa_exception_fp_ieee_underflow 0
		.amdhsa_exception_fp_ieee_inexact 0
		.amdhsa_exception_int_div_zero 0
	.end_amdhsa_kernel
	.section	.text._ZN9rocsparseL33bsr2csr_block_per_row_8_32_kernelILj1024ELj16E21rocsparse_complex_numIdEiiEEv20rocsparse_direction_T3_S4_21rocsparse_index_base_PKT1_PKT2_PKS4_S4_S5_PS6_PS9_PS4_,"axG",@progbits,_ZN9rocsparseL33bsr2csr_block_per_row_8_32_kernelILj1024ELj16E21rocsparse_complex_numIdEiiEEv20rocsparse_direction_T3_S4_21rocsparse_index_base_PKT1_PKT2_PKS4_S4_S5_PS6_PS9_PS4_,comdat
.Lfunc_end268:
	.size	_ZN9rocsparseL33bsr2csr_block_per_row_8_32_kernelILj1024ELj16E21rocsparse_complex_numIdEiiEEv20rocsparse_direction_T3_S4_21rocsparse_index_base_PKT1_PKT2_PKS4_S4_S5_PS6_PS9_PS4_, .Lfunc_end268-_ZN9rocsparseL33bsr2csr_block_per_row_8_32_kernelILj1024ELj16E21rocsparse_complex_numIdEiiEEv20rocsparse_direction_T3_S4_21rocsparse_index_base_PKT1_PKT2_PKS4_S4_S5_PS6_PS9_PS4_
                                        ; -- End function
	.set _ZN9rocsparseL33bsr2csr_block_per_row_8_32_kernelILj1024ELj16E21rocsparse_complex_numIdEiiEEv20rocsparse_direction_T3_S4_21rocsparse_index_base_PKT1_PKT2_PKS4_S4_S5_PS6_PS9_PS4_.num_vgpr, 17
	.set _ZN9rocsparseL33bsr2csr_block_per_row_8_32_kernelILj1024ELj16E21rocsparse_complex_numIdEiiEEv20rocsparse_direction_T3_S4_21rocsparse_index_base_PKT1_PKT2_PKS4_S4_S5_PS6_PS9_PS4_.num_agpr, 0
	.set _ZN9rocsparseL33bsr2csr_block_per_row_8_32_kernelILj1024ELj16E21rocsparse_complex_numIdEiiEEv20rocsparse_direction_T3_S4_21rocsparse_index_base_PKT1_PKT2_PKS4_S4_S5_PS6_PS9_PS4_.numbered_sgpr, 17
	.set _ZN9rocsparseL33bsr2csr_block_per_row_8_32_kernelILj1024ELj16E21rocsparse_complex_numIdEiiEEv20rocsparse_direction_T3_S4_21rocsparse_index_base_PKT1_PKT2_PKS4_S4_S5_PS6_PS9_PS4_.num_named_barrier, 0
	.set _ZN9rocsparseL33bsr2csr_block_per_row_8_32_kernelILj1024ELj16E21rocsparse_complex_numIdEiiEEv20rocsparse_direction_T3_S4_21rocsparse_index_base_PKT1_PKT2_PKS4_S4_S5_PS6_PS9_PS4_.private_seg_size, 0
	.set _ZN9rocsparseL33bsr2csr_block_per_row_8_32_kernelILj1024ELj16E21rocsparse_complex_numIdEiiEEv20rocsparse_direction_T3_S4_21rocsparse_index_base_PKT1_PKT2_PKS4_S4_S5_PS6_PS9_PS4_.uses_vcc, 1
	.set _ZN9rocsparseL33bsr2csr_block_per_row_8_32_kernelILj1024ELj16E21rocsparse_complex_numIdEiiEEv20rocsparse_direction_T3_S4_21rocsparse_index_base_PKT1_PKT2_PKS4_S4_S5_PS6_PS9_PS4_.uses_flat_scratch, 0
	.set _ZN9rocsparseL33bsr2csr_block_per_row_8_32_kernelILj1024ELj16E21rocsparse_complex_numIdEiiEEv20rocsparse_direction_T3_S4_21rocsparse_index_base_PKT1_PKT2_PKS4_S4_S5_PS6_PS9_PS4_.has_dyn_sized_stack, 0
	.set _ZN9rocsparseL33bsr2csr_block_per_row_8_32_kernelILj1024ELj16E21rocsparse_complex_numIdEiiEEv20rocsparse_direction_T3_S4_21rocsparse_index_base_PKT1_PKT2_PKS4_S4_S5_PS6_PS9_PS4_.has_recursion, 0
	.set _ZN9rocsparseL33bsr2csr_block_per_row_8_32_kernelILj1024ELj16E21rocsparse_complex_numIdEiiEEv20rocsparse_direction_T3_S4_21rocsparse_index_base_PKT1_PKT2_PKS4_S4_S5_PS6_PS9_PS4_.has_indirect_call, 0
	.section	.AMDGPU.csdata,"",@progbits
; Kernel info:
; codeLenInByte = 580
; TotalNumSgprs: 19
; NumVgprs: 17
; ScratchSize: 0
; MemoryBound: 0
; FloatMode: 240
; IeeeMode: 1
; LDSByteSize: 0 bytes/workgroup (compile time only)
; SGPRBlocks: 0
; VGPRBlocks: 2
; NumSGPRsForWavesPerEU: 19
; NumVGPRsForWavesPerEU: 17
; Occupancy: 16
; WaveLimiterHint : 0
; COMPUTE_PGM_RSRC2:SCRATCH_EN: 0
; COMPUTE_PGM_RSRC2:USER_SGPR: 6
; COMPUTE_PGM_RSRC2:TRAP_HANDLER: 0
; COMPUTE_PGM_RSRC2:TGID_X_EN: 1
; COMPUTE_PGM_RSRC2:TGID_Y_EN: 0
; COMPUTE_PGM_RSRC2:TGID_Z_EN: 0
; COMPUTE_PGM_RSRC2:TIDIG_COMP_CNT: 0
	.section	.text._ZN9rocsparseL33bsr2csr_block_per_row_8_32_kernelILj1024ELj32E21rocsparse_complex_numIdEiiEEv20rocsparse_direction_T3_S4_21rocsparse_index_base_PKT1_PKT2_PKS4_S4_S5_PS6_PS9_PS4_,"axG",@progbits,_ZN9rocsparseL33bsr2csr_block_per_row_8_32_kernelILj1024ELj32E21rocsparse_complex_numIdEiiEEv20rocsparse_direction_T3_S4_21rocsparse_index_base_PKT1_PKT2_PKS4_S4_S5_PS6_PS9_PS4_,comdat
	.globl	_ZN9rocsparseL33bsr2csr_block_per_row_8_32_kernelILj1024ELj32E21rocsparse_complex_numIdEiiEEv20rocsparse_direction_T3_S4_21rocsparse_index_base_PKT1_PKT2_PKS4_S4_S5_PS6_PS9_PS4_ ; -- Begin function _ZN9rocsparseL33bsr2csr_block_per_row_8_32_kernelILj1024ELj32E21rocsparse_complex_numIdEiiEEv20rocsparse_direction_T3_S4_21rocsparse_index_base_PKT1_PKT2_PKS4_S4_S5_PS6_PS9_PS4_
	.p2align	8
	.type	_ZN9rocsparseL33bsr2csr_block_per_row_8_32_kernelILj1024ELj32E21rocsparse_complex_numIdEiiEEv20rocsparse_direction_T3_S4_21rocsparse_index_base_PKT1_PKT2_PKS4_S4_S5_PS6_PS9_PS4_,@function
_ZN9rocsparseL33bsr2csr_block_per_row_8_32_kernelILj1024ELj32E21rocsparse_complex_numIdEiiEEv20rocsparse_direction_T3_S4_21rocsparse_index_base_PKT1_PKT2_PKS4_S4_S5_PS6_PS9_PS4_: ; @_ZN9rocsparseL33bsr2csr_block_per_row_8_32_kernelILj1024ELj32E21rocsparse_complex_numIdEiiEEv20rocsparse_direction_T3_S4_21rocsparse_index_base_PKT1_PKT2_PKS4_S4_S5_PS6_PS9_PS4_
; %bb.0:
	s_clause 0x2
	s_load_dwordx2 s[2:3], s[4:5], 0x18
	s_load_dwordx2 s[0:1], s[4:5], 0x28
	;; [unrolled: 1-line block ×3, first 2 shown]
	s_ashr_i32 s7, s6, 31
	v_or_b32_e32 v1, s6, v0
	s_lshl_b64 s[10:11], s[6:7], 2
	s_mov_b32 s7, exec_lo
	s_waitcnt lgkmcnt(0)
	s_add_u32 s2, s2, s10
	s_addc_u32 s3, s3, s11
	v_cmpx_eq_u32_e32 0, v1
	s_cbranch_execz .LBB269_2
; %bb.1:
	v_mov_b32_e32 v1, 0
	v_mov_b32_e32 v2, s1
	global_store_dword v1, v2, s[8:9]
.LBB269_2:
	s_or_b32 exec_lo, exec_lo, s7
	v_and_b32_e32 v1, 31, v0
	v_lshrrev_b32_e32 v0, 5, v0
	s_mov_b32 s7, exec_lo
	v_max_i32_e32 v2, v0, v1
	v_cmpx_gt_i32_e64 s0, v2
	s_cbranch_execz .LBB269_6
; %bb.3:
	s_load_dwordx2 s[16:17], s[2:3], 0x0
	s_load_dword s12, s[4:5], 0xc
	v_mad_u64_u32 v[2:3], null, s0, s6, v[0:1]
	s_mul_i32 s14, s0, s0
	v_ashrrev_i32_e32 v3, 31, v2
	v_lshlrev_b64 v[2:3], 2, v[2:3]
	v_add_co_u32 v2, vcc_lo, s8, v2
	s_waitcnt lgkmcnt(0)
	s_sub_i32 s2, s16, s12
	s_sub_i32 s13, s17, s12
	s_mul_i32 s10, s2, s14
	s_sub_i32 s3, s13, s2
	v_add_co_ci_u32_e64 v3, null, s9, v3, vcc_lo
	s_mul_i32 s6, s3, s0
	v_mul_lo_u32 v4, s6, v0
	s_add_i32 s6, s6, s1
	s_cmp_ge_i32 s16, s17
	v_add3_u32 v4, s6, s10, v4
	global_store_dword v[2:3], v4, off offset:4
	s_cbranch_scc1 .LBB269_6
; %bb.4:
	s_clause 0x3
	s_load_dwordx2 s[16:17], s[4:5], 0x20
	s_load_dwordx2 s[6:7], s[4:5], 0x30
	s_load_dword s11, s[4:5], 0x0
	s_load_dwordx2 s[8:9], s[4:5], 0x10
	v_mul_lo_u32 v2, v0, s3
	v_mad_u64_u32 v[3:4], null, s0, v1, v[0:1]
	s_load_dwordx2 s[4:5], s[4:5], 0x40
	v_mad_u64_u32 v[4:5], null, s0, v0, v[1:2]
	v_mad_u64_u32 v[5:6], null, s0, s2, v[2:3]
	v_add_nc_u32_e32 v0, s1, v1
	v_mad_u64_u32 v[1:2], null, s0, v5, v[1:2]
	s_waitcnt lgkmcnt(0)
	s_cmp_eq_u32 s11, 0
	s_cselect_b32 vcc_lo, -1, 0
	s_ashr_i32 s3, s2, 31
	v_cndmask_b32_e32 v3, v3, v4, vcc_lo
	v_add_nc_u32_e32 v3, s10, v3
	s_lshl_b64 s[10:11], s[2:3], 2
	s_add_u32 s10, s16, s10
	s_addc_u32 s11, s17, s11
	s_inst_prefetch 0x1
	.p2align	6
.LBB269_5:                              ; =>This Inner Loop Header: Depth=1
	v_ashrrev_i32_e32 v4, 31, v3
	s_load_dword s1, s[10:11], 0x0
	v_ashrrev_i32_e32 v2, 31, v1
	s_add_i32 s2, s2, 1
	v_lshlrev_b64 v[4:5], 4, v[3:4]
	v_add_nc_u32_e32 v3, s14, v3
	v_lshlrev_b64 v[8:9], 2, v[1:2]
	v_lshlrev_b64 v[10:11], 4, v[1:2]
	v_add_nc_u32_e32 v1, s0, v1
	v_add_co_u32 v4, vcc_lo, s8, v4
	v_add_co_ci_u32_e64 v5, null, s9, v5, vcc_lo
	v_add_co_u32 v8, vcc_lo, s4, v8
	v_add_co_ci_u32_e64 v9, null, s5, v9, vcc_lo
	global_load_dwordx4 v[4:7], v[4:5], off
	v_add_co_u32 v10, vcc_lo, s6, v10
	s_waitcnt lgkmcnt(0)
	s_sub_i32 s1, s1, s12
	v_add_co_ci_u32_e64 v11, null, s7, v11, vcc_lo
	v_mad_u64_u32 v[12:13], null, s1, s0, v[0:1]
	s_add_u32 s10, s10, 4
	s_addc_u32 s11, s11, 0
	s_cmp_lt_i32 s2, s13
	global_store_dword v[8:9], v12, off
	s_waitcnt vmcnt(0)
	global_store_dwordx4 v[10:11], v[4:7], off
	s_cbranch_scc1 .LBB269_5
.LBB269_6:
	s_inst_prefetch 0x2
	s_endpgm
	.section	.rodata,"a",@progbits
	.p2align	6, 0x0
	.amdhsa_kernel _ZN9rocsparseL33bsr2csr_block_per_row_8_32_kernelILj1024ELj32E21rocsparse_complex_numIdEiiEEv20rocsparse_direction_T3_S4_21rocsparse_index_base_PKT1_PKT2_PKS4_S4_S5_PS6_PS9_PS4_
		.amdhsa_group_segment_fixed_size 0
		.amdhsa_private_segment_fixed_size 0
		.amdhsa_kernarg_size 72
		.amdhsa_user_sgpr_count 6
		.amdhsa_user_sgpr_private_segment_buffer 1
		.amdhsa_user_sgpr_dispatch_ptr 0
		.amdhsa_user_sgpr_queue_ptr 0
		.amdhsa_user_sgpr_kernarg_segment_ptr 1
		.amdhsa_user_sgpr_dispatch_id 0
		.amdhsa_user_sgpr_flat_scratch_init 0
		.amdhsa_user_sgpr_private_segment_size 0
		.amdhsa_wavefront_size32 1
		.amdhsa_uses_dynamic_stack 0
		.amdhsa_system_sgpr_private_segment_wavefront_offset 0
		.amdhsa_system_sgpr_workgroup_id_x 1
		.amdhsa_system_sgpr_workgroup_id_y 0
		.amdhsa_system_sgpr_workgroup_id_z 0
		.amdhsa_system_sgpr_workgroup_info 0
		.amdhsa_system_vgpr_workitem_id 0
		.amdhsa_next_free_vgpr 14
		.amdhsa_next_free_sgpr 18
		.amdhsa_reserve_vcc 1
		.amdhsa_reserve_flat_scratch 0
		.amdhsa_float_round_mode_32 0
		.amdhsa_float_round_mode_16_64 0
		.amdhsa_float_denorm_mode_32 3
		.amdhsa_float_denorm_mode_16_64 3
		.amdhsa_dx10_clamp 1
		.amdhsa_ieee_mode 1
		.amdhsa_fp16_overflow 0
		.amdhsa_workgroup_processor_mode 1
		.amdhsa_memory_ordered 1
		.amdhsa_forward_progress 1
		.amdhsa_shared_vgpr_count 0
		.amdhsa_exception_fp_ieee_invalid_op 0
		.amdhsa_exception_fp_denorm_src 0
		.amdhsa_exception_fp_ieee_div_zero 0
		.amdhsa_exception_fp_ieee_overflow 0
		.amdhsa_exception_fp_ieee_underflow 0
		.amdhsa_exception_fp_ieee_inexact 0
		.amdhsa_exception_int_div_zero 0
	.end_amdhsa_kernel
	.section	.text._ZN9rocsparseL33bsr2csr_block_per_row_8_32_kernelILj1024ELj32E21rocsparse_complex_numIdEiiEEv20rocsparse_direction_T3_S4_21rocsparse_index_base_PKT1_PKT2_PKS4_S4_S5_PS6_PS9_PS4_,"axG",@progbits,_ZN9rocsparseL33bsr2csr_block_per_row_8_32_kernelILj1024ELj32E21rocsparse_complex_numIdEiiEEv20rocsparse_direction_T3_S4_21rocsparse_index_base_PKT1_PKT2_PKS4_S4_S5_PS6_PS9_PS4_,comdat
.Lfunc_end269:
	.size	_ZN9rocsparseL33bsr2csr_block_per_row_8_32_kernelILj1024ELj32E21rocsparse_complex_numIdEiiEEv20rocsparse_direction_T3_S4_21rocsparse_index_base_PKT1_PKT2_PKS4_S4_S5_PS6_PS9_PS4_, .Lfunc_end269-_ZN9rocsparseL33bsr2csr_block_per_row_8_32_kernelILj1024ELj32E21rocsparse_complex_numIdEiiEEv20rocsparse_direction_T3_S4_21rocsparse_index_base_PKT1_PKT2_PKS4_S4_S5_PS6_PS9_PS4_
                                        ; -- End function
	.set _ZN9rocsparseL33bsr2csr_block_per_row_8_32_kernelILj1024ELj32E21rocsparse_complex_numIdEiiEEv20rocsparse_direction_T3_S4_21rocsparse_index_base_PKT1_PKT2_PKS4_S4_S5_PS6_PS9_PS4_.num_vgpr, 14
	.set _ZN9rocsparseL33bsr2csr_block_per_row_8_32_kernelILj1024ELj32E21rocsparse_complex_numIdEiiEEv20rocsparse_direction_T3_S4_21rocsparse_index_base_PKT1_PKT2_PKS4_S4_S5_PS6_PS9_PS4_.num_agpr, 0
	.set _ZN9rocsparseL33bsr2csr_block_per_row_8_32_kernelILj1024ELj32E21rocsparse_complex_numIdEiiEEv20rocsparse_direction_T3_S4_21rocsparse_index_base_PKT1_PKT2_PKS4_S4_S5_PS6_PS9_PS4_.numbered_sgpr, 18
	.set _ZN9rocsparseL33bsr2csr_block_per_row_8_32_kernelILj1024ELj32E21rocsparse_complex_numIdEiiEEv20rocsparse_direction_T3_S4_21rocsparse_index_base_PKT1_PKT2_PKS4_S4_S5_PS6_PS9_PS4_.num_named_barrier, 0
	.set _ZN9rocsparseL33bsr2csr_block_per_row_8_32_kernelILj1024ELj32E21rocsparse_complex_numIdEiiEEv20rocsparse_direction_T3_S4_21rocsparse_index_base_PKT1_PKT2_PKS4_S4_S5_PS6_PS9_PS4_.private_seg_size, 0
	.set _ZN9rocsparseL33bsr2csr_block_per_row_8_32_kernelILj1024ELj32E21rocsparse_complex_numIdEiiEEv20rocsparse_direction_T3_S4_21rocsparse_index_base_PKT1_PKT2_PKS4_S4_S5_PS6_PS9_PS4_.uses_vcc, 1
	.set _ZN9rocsparseL33bsr2csr_block_per_row_8_32_kernelILj1024ELj32E21rocsparse_complex_numIdEiiEEv20rocsparse_direction_T3_S4_21rocsparse_index_base_PKT1_PKT2_PKS4_S4_S5_PS6_PS9_PS4_.uses_flat_scratch, 0
	.set _ZN9rocsparseL33bsr2csr_block_per_row_8_32_kernelILj1024ELj32E21rocsparse_complex_numIdEiiEEv20rocsparse_direction_T3_S4_21rocsparse_index_base_PKT1_PKT2_PKS4_S4_S5_PS6_PS9_PS4_.has_dyn_sized_stack, 0
	.set _ZN9rocsparseL33bsr2csr_block_per_row_8_32_kernelILj1024ELj32E21rocsparse_complex_numIdEiiEEv20rocsparse_direction_T3_S4_21rocsparse_index_base_PKT1_PKT2_PKS4_S4_S5_PS6_PS9_PS4_.has_recursion, 0
	.set _ZN9rocsparseL33bsr2csr_block_per_row_8_32_kernelILj1024ELj32E21rocsparse_complex_numIdEiiEEv20rocsparse_direction_T3_S4_21rocsparse_index_base_PKT1_PKT2_PKS4_S4_S5_PS6_PS9_PS4_.has_indirect_call, 0
	.section	.AMDGPU.csdata,"",@progbits
; Kernel info:
; codeLenInByte = 552
; TotalNumSgprs: 20
; NumVgprs: 14
; ScratchSize: 0
; MemoryBound: 0
; FloatMode: 240
; IeeeMode: 1
; LDSByteSize: 0 bytes/workgroup (compile time only)
; SGPRBlocks: 0
; VGPRBlocks: 1
; NumSGPRsForWavesPerEU: 20
; NumVGPRsForWavesPerEU: 14
; Occupancy: 16
; WaveLimiterHint : 0
; COMPUTE_PGM_RSRC2:SCRATCH_EN: 0
; COMPUTE_PGM_RSRC2:USER_SGPR: 6
; COMPUTE_PGM_RSRC2:TRAP_HANDLER: 0
; COMPUTE_PGM_RSRC2:TGID_X_EN: 1
; COMPUTE_PGM_RSRC2:TGID_Y_EN: 0
; COMPUTE_PGM_RSRC2:TGID_Z_EN: 0
; COMPUTE_PGM_RSRC2:TIDIG_COMP_CNT: 0
	.section	.text._ZN9rocsparseL35bsr2csr_block_per_row_33_256_kernelILj1024ELj64ELj32E21rocsparse_complex_numIdEiiEEv20rocsparse_direction_T4_S4_21rocsparse_index_base_PKT2_PKT3_PKS4_S4_S5_PS6_PS9_PS4_,"axG",@progbits,_ZN9rocsparseL35bsr2csr_block_per_row_33_256_kernelILj1024ELj64ELj32E21rocsparse_complex_numIdEiiEEv20rocsparse_direction_T4_S4_21rocsparse_index_base_PKT2_PKT3_PKS4_S4_S5_PS6_PS9_PS4_,comdat
	.globl	_ZN9rocsparseL35bsr2csr_block_per_row_33_256_kernelILj1024ELj64ELj32E21rocsparse_complex_numIdEiiEEv20rocsparse_direction_T4_S4_21rocsparse_index_base_PKT2_PKT3_PKS4_S4_S5_PS6_PS9_PS4_ ; -- Begin function _ZN9rocsparseL35bsr2csr_block_per_row_33_256_kernelILj1024ELj64ELj32E21rocsparse_complex_numIdEiiEEv20rocsparse_direction_T4_S4_21rocsparse_index_base_PKT2_PKT3_PKS4_S4_S5_PS6_PS9_PS4_
	.p2align	8
	.type	_ZN9rocsparseL35bsr2csr_block_per_row_33_256_kernelILj1024ELj64ELj32E21rocsparse_complex_numIdEiiEEv20rocsparse_direction_T4_S4_21rocsparse_index_base_PKT2_PKT3_PKS4_S4_S5_PS6_PS9_PS4_,@function
_ZN9rocsparseL35bsr2csr_block_per_row_33_256_kernelILj1024ELj64ELj32E21rocsparse_complex_numIdEiiEEv20rocsparse_direction_T4_S4_21rocsparse_index_base_PKT2_PKT3_PKS4_S4_S5_PS6_PS9_PS4_: ; @_ZN9rocsparseL35bsr2csr_block_per_row_33_256_kernelILj1024ELj64ELj32E21rocsparse_complex_numIdEiiEEv20rocsparse_direction_T4_S4_21rocsparse_index_base_PKT2_PKT3_PKS4_S4_S5_PS6_PS9_PS4_
; %bb.0:
	s_load_dwordx2 s[0:1], s[4:5], 0x18
	s_ashr_i32 s7, s6, 31
	s_clause 0x1
	s_load_dwordx2 s[8:9], s[4:5], 0x28
	s_load_dwordx2 s[2:3], s[4:5], 0x38
	s_lshl_b64 s[10:11], s[6:7], 2
	v_or_b32_e32 v1, s6, v0
	s_waitcnt lgkmcnt(0)
	s_add_u32 s0, s0, s10
	s_addc_u32 s1, s1, s11
	s_load_dwordx2 s[14:15], s[0:1], 0x0
	s_mov_b32 s0, exec_lo
	v_cmpx_eq_u32_e32 0, v1
	s_cbranch_execz .LBB270_2
; %bb.1:
	v_mov_b32_e32 v1, 0
	v_mov_b32_e32 v2, s9
	global_store_dword v1, v2, s[2:3]
.LBB270_2:
	s_or_b32 exec_lo, exec_lo, s0
	s_load_dword s17, s[4:5], 0xc
	v_lshrrev_b32_e32 v1, 5, v0
	s_mul_i32 s6, s8, s6
	v_cmp_gt_i32_e64 s0, s8, v1
	s_waitcnt lgkmcnt(0)
	s_sub_i32 s10, s14, s17
	s_sub_i32 s18, s15, s17
	s_mul_i32 s16, s8, s10
	s_sub_i32 s11, s18, s10
	s_mul_i32 s1, s16, s8
	s_mul_i32 s7, s11, s8
	s_add_i32 s1, s1, s9
	s_add_i32 s12, s1, s7
	s_and_saveexec_b32 s1, s0
	s_cbranch_execz .LBB270_4
; %bb.3:
	v_add_nc_u32_e32 v2, s6, v1
	v_mad_u64_u32 v[4:5], null, v1, s7, s[12:13]
	v_ashrrev_i32_e32 v3, 31, v2
	v_lshlrev_b64 v[2:3], 2, v[2:3]
	v_add_co_u32 v2, vcc_lo, s2, v2
	v_add_co_ci_u32_e64 v3, null, s3, v3, vcc_lo
	global_store_dword v[2:3], v4, off offset:4
.LBB270_4:
	s_or_b32 exec_lo, exec_lo, s1
	v_or_b32_e32 v2, 32, v1
	v_cmp_gt_i32_e64 s1, s8, v2
	s_and_saveexec_b32 s13, s1
	s_cbranch_execz .LBB270_6
; %bb.5:
	s_ashr_i32 s19, s6, 31
	v_add_co_u32 v3, s6, v1, s6
	v_add_co_ci_u32_e64 v4, null, 0, s19, s6
	v_mad_u64_u32 v[5:6], null, v2, s7, s[12:13]
	v_lshlrev_b64 v[3:4], 2, v[3:4]
	v_add_co_u32 v2, vcc_lo, s2, v3
	v_add_co_ci_u32_e64 v3, null, s3, v4, vcc_lo
	global_store_dword v[2:3], v5, off offset:132
.LBB270_6:
	s_or_b32 exec_lo, exec_lo, s13
	s_cmp_lt_i32 s14, s15
	s_cbranch_scc0 .LBB270_17
; %bb.7:
	s_clause 0x3
	s_load_dwordx2 s[20:21], s[4:5], 0x20
	s_load_dwordx2 s[6:7], s[4:5], 0x30
	s_load_dword s22, s[4:5], 0x0
	s_load_dwordx2 s[12:13], s[4:5], 0x10
	v_mad_u64_u32 v[8:9], null, v1, s11, s[16:17]
	v_and_b32_e32 v0, 31, v0
	s_load_dwordx2 s[4:5], s[4:5], 0x40
	v_add_nc_u32_e32 v3, s16, v1
	s_mul_i32 s19, s8, s8
	v_add_nc_u32_e32 v5, s16, v0
	v_lshl_add_u32 v6, s15, 5, v8
	v_or_b32_e32 v2, 32, v0
	v_add_nc_u32_e32 v4, 32, v3
	v_cmp_gt_i32_e64 s2, s8, v0
	v_add_nc_u32_e32 v7, 32, v5
	v_mul_lo_u32 v3, s8, v3
	v_cmp_gt_i32_e64 s3, s8, v2
	v_mul_lo_u32 v4, s8, v4
	v_mul_lo_u32 v5, s8, v5
	;; [unrolled: 1-line block ×3, first 2 shown]
	s_waitcnt lgkmcnt(0)
	s_cmp_eq_u32 s22, 0
	s_cselect_b32 vcc_lo, -1, 0
	s_lshl_b32 s11, s14, 5
	s_and_b32 s14, s0, s2
	v_subrev_nc_u32_e32 v9, s11, v6
	v_mul_lo_u32 v6, s8, v7
	s_ashr_i32 s11, s10, 31
	s_and_b32 s15, s0, s3
	s_lshl_b64 s[22:23], s[10:11], 2
	v_mul_lo_u32 v7, s8, v9
	s_and_b32 s16, s1, s2
	s_and_b32 s1, s1, s3
	s_add_u32 s2, s20, s22
	s_addc_u32 s3, s21, s23
	s_branch .LBB270_9
.LBB270_8:                              ;   in Loop: Header=BB270_9 Depth=1
	s_or_b32 exec_lo, exec_lo, s11
	s_add_i32 s10, s10, 1
	v_add_nc_u32_e32 v4, s19, v4
	v_add_nc_u32_e32 v3, s19, v3
	;; [unrolled: 1-line block ×5, first 2 shown]
	s_add_u32 s2, s2, 4
	s_addc_u32 s3, s3, 0
	s_cmp_ge_i32 s10, s18
	s_cbranch_scc1 .LBB270_17
.LBB270_9:                              ; =>This Inner Loop Header: Depth=1
	s_load_dword s0, s[2:3], 0x0
	s_waitcnt lgkmcnt(0)
	s_sub_i32 s0, s0, s17
	s_mul_i32 s11, s0, s8
	s_add_i32 s11, s11, s9
	v_add_nc_u32_e32 v9, s11, v0
	s_and_saveexec_b32 s20, s14
	s_cbranch_execz .LBB270_11
; %bb.10:                               ;   in Loop: Header=BB270_9 Depth=1
	v_add_nc_u32_e32 v10, v0, v3
	v_add_nc_u32_e32 v11, v5, v1
	;; [unrolled: 1-line block ×3, first 2 shown]
	v_cndmask_b32_e32 v10, v11, v10, vcc_lo
	v_ashrrev_i32_e32 v15, 31, v14
	v_ashrrev_i32_e32 v11, 31, v10
	v_lshlrev_b64 v[16:17], 2, v[14:15]
	v_lshlrev_b64 v[14:15], 4, v[14:15]
	;; [unrolled: 1-line block ×3, first 2 shown]
	v_add_co_u32 v10, s0, s12, v10
	v_add_co_ci_u32_e64 v11, null, s13, v11, s0
	v_add_co_u32 v16, s0, s4, v16
	v_add_co_ci_u32_e64 v17, null, s5, v17, s0
	global_load_dwordx4 v[10:13], v[10:11], off
	v_add_co_u32 v14, s0, s6, v14
	v_add_co_ci_u32_e64 v15, null, s7, v15, s0
	global_store_dword v[16:17], v9, off
	s_waitcnt vmcnt(0)
	global_store_dwordx4 v[14:15], v[10:13], off
.LBB270_11:                             ;   in Loop: Header=BB270_9 Depth=1
	s_or_b32 exec_lo, exec_lo, s20
	v_add_nc_u32_e32 v10, s11, v2
	v_add_nc_u32_e32 v11, v6, v1
	s_and_saveexec_b32 s11, s15
	s_cbranch_execnz .LBB270_14
; %bb.12:                               ;   in Loop: Header=BB270_9 Depth=1
	s_or_b32 exec_lo, exec_lo, s11
	v_add_nc_u32_e32 v12, v0, v4
	s_and_saveexec_b32 s11, s16
	s_cbranch_execnz .LBB270_15
.LBB270_13:                             ;   in Loop: Header=BB270_9 Depth=1
	s_or_b32 exec_lo, exec_lo, s11
	s_and_saveexec_b32 s11, s1
	s_cbranch_execz .LBB270_8
	s_branch .LBB270_16
.LBB270_14:                             ;   in Loop: Header=BB270_9 Depth=1
	v_add3_u32 v12, v0, v3, 32
	v_add3_u32 v16, v0, v8, 32
	v_cndmask_b32_e32 v12, v11, v12, vcc_lo
	v_ashrrev_i32_e32 v17, 31, v16
	v_ashrrev_i32_e32 v13, 31, v12
	v_lshlrev_b64 v[18:19], 2, v[16:17]
	v_lshlrev_b64 v[16:17], 4, v[16:17]
	;; [unrolled: 1-line block ×3, first 2 shown]
	v_add_co_u32 v12, s0, s12, v12
	v_add_co_ci_u32_e64 v13, null, s13, v13, s0
	v_add_co_u32 v18, s0, s4, v18
	v_add_co_ci_u32_e64 v19, null, s5, v19, s0
	global_load_dwordx4 v[12:15], v[12:13], off
	v_add_co_u32 v16, s0, s6, v16
	v_add_co_ci_u32_e64 v17, null, s7, v17, s0
	global_store_dword v[18:19], v10, off
	s_waitcnt vmcnt(0)
	global_store_dwordx4 v[16:17], v[12:15], off
	s_or_b32 exec_lo, exec_lo, s11
	v_add_nc_u32_e32 v12, v0, v4
	s_and_saveexec_b32 s11, s16
	s_cbranch_execz .LBB270_13
.LBB270_15:                             ;   in Loop: Header=BB270_9 Depth=1
	v_add3_u32 v13, v5, v1, 32
	v_add_nc_u32_e32 v17, v0, v7
	v_cndmask_b32_e32 v13, v13, v12, vcc_lo
	v_ashrrev_i32_e32 v18, 31, v17
	v_ashrrev_i32_e32 v14, 31, v13
	v_lshlrev_b64 v[19:20], 2, v[17:18]
	v_lshlrev_b64 v[17:18], 4, v[17:18]
	;; [unrolled: 1-line block ×3, first 2 shown]
	v_add_co_u32 v13, s0, s12, v13
	v_add_co_ci_u32_e64 v14, null, s13, v14, s0
	v_add_co_u32 v19, s0, s4, v19
	v_add_co_ci_u32_e64 v20, null, s5, v20, s0
	global_load_dwordx4 v[13:16], v[13:14], off
	v_add_co_u32 v17, s0, s6, v17
	v_add_co_ci_u32_e64 v18, null, s7, v18, s0
	global_store_dword v[19:20], v9, off
	s_waitcnt vmcnt(0)
	global_store_dwordx4 v[17:18], v[13:16], off
	s_or_b32 exec_lo, exec_lo, s11
	s_and_saveexec_b32 s11, s1
	s_cbranch_execz .LBB270_8
.LBB270_16:                             ;   in Loop: Header=BB270_9 Depth=1
	v_cndmask_b32_e32 v9, v11, v12, vcc_lo
	v_add3_u32 v15, v0, v7, 32
	v_add_nc_u32_e32 v11, 32, v9
	v_ashrrev_i32_e32 v16, 31, v15
	v_ashrrev_i32_e32 v12, 31, v11
	v_lshlrev_b64 v[17:18], 2, v[15:16]
	v_lshlrev_b64 v[15:16], 4, v[15:16]
	;; [unrolled: 1-line block ×3, first 2 shown]
	v_add_co_u32 v11, s0, s12, v11
	v_add_co_ci_u32_e64 v12, null, s13, v12, s0
	v_add_co_u32 v17, s0, s4, v17
	v_add_co_ci_u32_e64 v18, null, s5, v18, s0
	global_load_dwordx4 v[11:14], v[11:12], off
	v_add_co_u32 v15, s0, s6, v15
	v_add_co_ci_u32_e64 v16, null, s7, v16, s0
	global_store_dword v[17:18], v10, off
	s_waitcnt vmcnt(0)
	global_store_dwordx4 v[15:16], v[11:14], off
	s_branch .LBB270_8
.LBB270_17:
	s_endpgm
	.section	.rodata,"a",@progbits
	.p2align	6, 0x0
	.amdhsa_kernel _ZN9rocsparseL35bsr2csr_block_per_row_33_256_kernelILj1024ELj64ELj32E21rocsparse_complex_numIdEiiEEv20rocsparse_direction_T4_S4_21rocsparse_index_base_PKT2_PKT3_PKS4_S4_S5_PS6_PS9_PS4_
		.amdhsa_group_segment_fixed_size 0
		.amdhsa_private_segment_fixed_size 0
		.amdhsa_kernarg_size 72
		.amdhsa_user_sgpr_count 6
		.amdhsa_user_sgpr_private_segment_buffer 1
		.amdhsa_user_sgpr_dispatch_ptr 0
		.amdhsa_user_sgpr_queue_ptr 0
		.amdhsa_user_sgpr_kernarg_segment_ptr 1
		.amdhsa_user_sgpr_dispatch_id 0
		.amdhsa_user_sgpr_flat_scratch_init 0
		.amdhsa_user_sgpr_private_segment_size 0
		.amdhsa_wavefront_size32 1
		.amdhsa_uses_dynamic_stack 0
		.amdhsa_system_sgpr_private_segment_wavefront_offset 0
		.amdhsa_system_sgpr_workgroup_id_x 1
		.amdhsa_system_sgpr_workgroup_id_y 0
		.amdhsa_system_sgpr_workgroup_id_z 0
		.amdhsa_system_sgpr_workgroup_info 0
		.amdhsa_system_vgpr_workitem_id 0
		.amdhsa_next_free_vgpr 21
		.amdhsa_next_free_sgpr 24
		.amdhsa_reserve_vcc 1
		.amdhsa_reserve_flat_scratch 0
		.amdhsa_float_round_mode_32 0
		.amdhsa_float_round_mode_16_64 0
		.amdhsa_float_denorm_mode_32 3
		.amdhsa_float_denorm_mode_16_64 3
		.amdhsa_dx10_clamp 1
		.amdhsa_ieee_mode 1
		.amdhsa_fp16_overflow 0
		.amdhsa_workgroup_processor_mode 1
		.amdhsa_memory_ordered 1
		.amdhsa_forward_progress 1
		.amdhsa_shared_vgpr_count 0
		.amdhsa_exception_fp_ieee_invalid_op 0
		.amdhsa_exception_fp_denorm_src 0
		.amdhsa_exception_fp_ieee_div_zero 0
		.amdhsa_exception_fp_ieee_overflow 0
		.amdhsa_exception_fp_ieee_underflow 0
		.amdhsa_exception_fp_ieee_inexact 0
		.amdhsa_exception_int_div_zero 0
	.end_amdhsa_kernel
	.section	.text._ZN9rocsparseL35bsr2csr_block_per_row_33_256_kernelILj1024ELj64ELj32E21rocsparse_complex_numIdEiiEEv20rocsparse_direction_T4_S4_21rocsparse_index_base_PKT2_PKT3_PKS4_S4_S5_PS6_PS9_PS4_,"axG",@progbits,_ZN9rocsparseL35bsr2csr_block_per_row_33_256_kernelILj1024ELj64ELj32E21rocsparse_complex_numIdEiiEEv20rocsparse_direction_T4_S4_21rocsparse_index_base_PKT2_PKT3_PKS4_S4_S5_PS6_PS9_PS4_,comdat
.Lfunc_end270:
	.size	_ZN9rocsparseL35bsr2csr_block_per_row_33_256_kernelILj1024ELj64ELj32E21rocsparse_complex_numIdEiiEEv20rocsparse_direction_T4_S4_21rocsparse_index_base_PKT2_PKT3_PKS4_S4_S5_PS6_PS9_PS4_, .Lfunc_end270-_ZN9rocsparseL35bsr2csr_block_per_row_33_256_kernelILj1024ELj64ELj32E21rocsparse_complex_numIdEiiEEv20rocsparse_direction_T4_S4_21rocsparse_index_base_PKT2_PKT3_PKS4_S4_S5_PS6_PS9_PS4_
                                        ; -- End function
	.set _ZN9rocsparseL35bsr2csr_block_per_row_33_256_kernelILj1024ELj64ELj32E21rocsparse_complex_numIdEiiEEv20rocsparse_direction_T4_S4_21rocsparse_index_base_PKT2_PKT3_PKS4_S4_S5_PS6_PS9_PS4_.num_vgpr, 21
	.set _ZN9rocsparseL35bsr2csr_block_per_row_33_256_kernelILj1024ELj64ELj32E21rocsparse_complex_numIdEiiEEv20rocsparse_direction_T4_S4_21rocsparse_index_base_PKT2_PKT3_PKS4_S4_S5_PS6_PS9_PS4_.num_agpr, 0
	.set _ZN9rocsparseL35bsr2csr_block_per_row_33_256_kernelILj1024ELj64ELj32E21rocsparse_complex_numIdEiiEEv20rocsparse_direction_T4_S4_21rocsparse_index_base_PKT2_PKT3_PKS4_S4_S5_PS6_PS9_PS4_.numbered_sgpr, 24
	.set _ZN9rocsparseL35bsr2csr_block_per_row_33_256_kernelILj1024ELj64ELj32E21rocsparse_complex_numIdEiiEEv20rocsparse_direction_T4_S4_21rocsparse_index_base_PKT2_PKT3_PKS4_S4_S5_PS6_PS9_PS4_.num_named_barrier, 0
	.set _ZN9rocsparseL35bsr2csr_block_per_row_33_256_kernelILj1024ELj64ELj32E21rocsparse_complex_numIdEiiEEv20rocsparse_direction_T4_S4_21rocsparse_index_base_PKT2_PKT3_PKS4_S4_S5_PS6_PS9_PS4_.private_seg_size, 0
	.set _ZN9rocsparseL35bsr2csr_block_per_row_33_256_kernelILj1024ELj64ELj32E21rocsparse_complex_numIdEiiEEv20rocsparse_direction_T4_S4_21rocsparse_index_base_PKT2_PKT3_PKS4_S4_S5_PS6_PS9_PS4_.uses_vcc, 1
	.set _ZN9rocsparseL35bsr2csr_block_per_row_33_256_kernelILj1024ELj64ELj32E21rocsparse_complex_numIdEiiEEv20rocsparse_direction_T4_S4_21rocsparse_index_base_PKT2_PKT3_PKS4_S4_S5_PS6_PS9_PS4_.uses_flat_scratch, 0
	.set _ZN9rocsparseL35bsr2csr_block_per_row_33_256_kernelILj1024ELj64ELj32E21rocsparse_complex_numIdEiiEEv20rocsparse_direction_T4_S4_21rocsparse_index_base_PKT2_PKT3_PKS4_S4_S5_PS6_PS9_PS4_.has_dyn_sized_stack, 0
	.set _ZN9rocsparseL35bsr2csr_block_per_row_33_256_kernelILj1024ELj64ELj32E21rocsparse_complex_numIdEiiEEv20rocsparse_direction_T4_S4_21rocsparse_index_base_PKT2_PKT3_PKS4_S4_S5_PS6_PS9_PS4_.has_recursion, 0
	.set _ZN9rocsparseL35bsr2csr_block_per_row_33_256_kernelILj1024ELj64ELj32E21rocsparse_complex_numIdEiiEEv20rocsparse_direction_T4_S4_21rocsparse_index_base_PKT2_PKT3_PKS4_S4_S5_PS6_PS9_PS4_.has_indirect_call, 0
	.section	.AMDGPU.csdata,"",@progbits
; Kernel info:
; codeLenInByte = 1180
; TotalNumSgprs: 26
; NumVgprs: 21
; ScratchSize: 0
; MemoryBound: 0
; FloatMode: 240
; IeeeMode: 1
; LDSByteSize: 0 bytes/workgroup (compile time only)
; SGPRBlocks: 0
; VGPRBlocks: 2
; NumSGPRsForWavesPerEU: 26
; NumVGPRsForWavesPerEU: 21
; Occupancy: 16
; WaveLimiterHint : 0
; COMPUTE_PGM_RSRC2:SCRATCH_EN: 0
; COMPUTE_PGM_RSRC2:USER_SGPR: 6
; COMPUTE_PGM_RSRC2:TRAP_HANDLER: 0
; COMPUTE_PGM_RSRC2:TGID_X_EN: 1
; COMPUTE_PGM_RSRC2:TGID_Y_EN: 0
; COMPUTE_PGM_RSRC2:TGID_Z_EN: 0
; COMPUTE_PGM_RSRC2:TIDIG_COMP_CNT: 0
	.section	.text._ZN9rocsparseL35bsr2csr_block_per_row_33_256_kernelILj1024ELj128ELj32E21rocsparse_complex_numIdEiiEEv20rocsparse_direction_T4_S4_21rocsparse_index_base_PKT2_PKT3_PKS4_S4_S5_PS6_PS9_PS4_,"axG",@progbits,_ZN9rocsparseL35bsr2csr_block_per_row_33_256_kernelILj1024ELj128ELj32E21rocsparse_complex_numIdEiiEEv20rocsparse_direction_T4_S4_21rocsparse_index_base_PKT2_PKT3_PKS4_S4_S5_PS6_PS9_PS4_,comdat
	.globl	_ZN9rocsparseL35bsr2csr_block_per_row_33_256_kernelILj1024ELj128ELj32E21rocsparse_complex_numIdEiiEEv20rocsparse_direction_T4_S4_21rocsparse_index_base_PKT2_PKT3_PKS4_S4_S5_PS6_PS9_PS4_ ; -- Begin function _ZN9rocsparseL35bsr2csr_block_per_row_33_256_kernelILj1024ELj128ELj32E21rocsparse_complex_numIdEiiEEv20rocsparse_direction_T4_S4_21rocsparse_index_base_PKT2_PKT3_PKS4_S4_S5_PS6_PS9_PS4_
	.p2align	8
	.type	_ZN9rocsparseL35bsr2csr_block_per_row_33_256_kernelILj1024ELj128ELj32E21rocsparse_complex_numIdEiiEEv20rocsparse_direction_T4_S4_21rocsparse_index_base_PKT2_PKT3_PKS4_S4_S5_PS6_PS9_PS4_,@function
_ZN9rocsparseL35bsr2csr_block_per_row_33_256_kernelILj1024ELj128ELj32E21rocsparse_complex_numIdEiiEEv20rocsparse_direction_T4_S4_21rocsparse_index_base_PKT2_PKT3_PKS4_S4_S5_PS6_PS9_PS4_: ; @_ZN9rocsparseL35bsr2csr_block_per_row_33_256_kernelILj1024ELj128ELj32E21rocsparse_complex_numIdEiiEEv20rocsparse_direction_T4_S4_21rocsparse_index_base_PKT2_PKT3_PKS4_S4_S5_PS6_PS9_PS4_
; %bb.0:
	s_load_dwordx2 s[0:1], s[4:5], 0x18
	s_ashr_i32 s7, s6, 31
	s_clause 0x1
	s_load_dwordx2 s[8:9], s[4:5], 0x28
	s_load_dwordx2 s[12:13], s[4:5], 0x38
	s_lshl_b64 s[2:3], s[6:7], 2
	v_or_b32_e32 v1, s6, v0
	s_waitcnt lgkmcnt(0)
	s_add_u32 s0, s0, s2
	s_addc_u32 s1, s1, s3
	s_load_dwordx2 s[18:19], s[0:1], 0x0
	s_mov_b32 s0, exec_lo
	v_cmpx_eq_u32_e32 0, v1
	s_cbranch_execz .LBB271_2
; %bb.1:
	v_mov_b32_e32 v1, 0
	v_mov_b32_e32 v2, s9
	global_store_dword v1, v2, s[12:13]
.LBB271_2:
	s_or_b32 exec_lo, exec_lo, s0
	s_load_dword s21, s[4:5], 0xc
	v_lshrrev_b32_e32 v4, 5, v0
	s_mul_i32 s6, s8, s6
	v_cmp_gt_i32_e64 s0, s8, v4
	s_waitcnt lgkmcnt(0)
	s_sub_i32 s10, s18, s21
	s_sub_i32 s24, s19, s21
	s_mul_i32 s20, s8, s10
	s_sub_i32 s11, s24, s10
	s_mul_i32 s1, s20, s8
	s_mul_i32 s7, s11, s8
	s_add_i32 s1, s1, s9
	s_add_i32 s14, s1, s7
	s_and_saveexec_b32 s1, s0
	s_cbranch_execz .LBB271_4
; %bb.3:
	v_add_nc_u32_e32 v1, s6, v4
	v_mad_u64_u32 v[5:6], null, v4, s7, s[14:15]
	v_ashrrev_i32_e32 v2, 31, v1
	v_lshlrev_b64 v[1:2], 2, v[1:2]
	v_add_co_u32 v1, vcc_lo, s12, v1
	v_add_co_ci_u32_e64 v2, null, s13, v2, vcc_lo
	global_store_dword v[1:2], v5, off offset:4
.LBB271_4:
	s_or_b32 exec_lo, exec_lo, s1
	v_or_b32_e32 v1, 32, v4
	v_cmp_gt_i32_e64 s2, s8, v1
	s_and_saveexec_b32 s1, s2
	s_cbranch_execz .LBB271_6
; %bb.5:
	s_ashr_i32 s3, s6, 31
	v_add_co_u32 v2, s15, v4, s6
	v_add_co_ci_u32_e64 v3, null, 0, s3, s15
	v_mad_u64_u32 v[5:6], null, v1, s7, s[14:15]
	v_lshlrev_b64 v[2:3], 2, v[2:3]
	v_add_co_u32 v1, vcc_lo, s12, v2
	v_add_co_ci_u32_e64 v2, null, s13, v3, vcc_lo
	global_store_dword v[1:2], v5, off offset:132
.LBB271_6:
	s_or_b32 exec_lo, exec_lo, s1
	v_or_b32_e32 v1, 64, v4
	v_cmp_gt_i32_e64 s3, s8, v1
	s_and_saveexec_b32 s1, s3
	s_cbranch_execz .LBB271_8
; %bb.7:
	s_ashr_i32 s15, s6, 31
	v_add_co_u32 v2, s16, v4, s6
	v_add_co_ci_u32_e64 v3, null, 0, s15, s16
	v_mad_u64_u32 v[5:6], null, v1, s7, s[14:15]
	v_lshlrev_b64 v[2:3], 2, v[2:3]
	v_add_co_u32 v1, vcc_lo, s12, v2
	v_add_co_ci_u32_e64 v2, null, s13, v3, vcc_lo
	global_store_dword v[1:2], v5, off offset:260
.LBB271_8:
	;; [unrolled: 15-line block ×3, first 2 shown]
	s_or_b32 exec_lo, exec_lo, s15
	s_cmp_lt_i32 s18, s19
	s_cbranch_scc0 .LBB271_45
; %bb.11:
	s_clause 0x2
	s_load_dwordx2 s[22:23], s[4:5], 0x20
	s_load_dwordx2 s[12:13], s[4:5], 0x30
	s_load_dword s7, s[4:5], 0x0
	v_mad_u64_u32 v[15:16], null, v4, s11, s[20:21]
	v_and_b32_e32 v5, 31, v0
	v_add_nc_u32_e32 v0, s20, v4
	s_clause 0x1
	s_load_dwordx2 s[14:15], s[4:5], 0x10
	s_load_dwordx2 s[16:17], s[4:5], 0x40
	s_mul_i32 s25, s8, s8
	s_mov_b32 s26, 0
	v_or_b32_e32 v6, 32, v5
	v_or_b32_e32 v7, 64, v5
	;; [unrolled: 1-line block ×3, first 2 shown]
	v_add_nc_u32_e32 v1, 32, v0
	v_add_nc_u32_e32 v17, s20, v5
	;; [unrolled: 1-line block ×3, first 2 shown]
	v_lshl_add_u32 v16, s19, 5, v15
	v_cmp_gt_i32_e64 s4, s8, v5
	v_cmp_gt_i32_e64 s5, s8, v6
	;; [unrolled: 1-line block ×3, first 2 shown]
	v_mul_lo_u32 v9, s8, v1
	v_add_nc_u32_e32 v1, 0x60, v17
	s_waitcnt lgkmcnt(0)
	s_cmp_eq_u32 s7, 0
	v_cmp_gt_i32_e64 s7, s8, v8
	v_mul_lo_u32 v10, s8, v2
	v_add_nc_u32_e32 v2, 64, v17
	v_mad_u64_u32 v[13:14], null, 0x60, s19, v[15:16]
	v_lshl_add_u32 v14, s19, 6, v15
	s_cselect_b32 vcc_lo, -1, 0
	s_and_b32 s27, s0, s4
	s_and_b32 s28, s0, s5
	;; [unrolled: 1-line block ×4, first 2 shown]
	v_add_nc_u32_e32 v3, 0x60, v0
	v_mul_lo_u32 v12, s8, v0
	v_mad_u64_u32 v[0:1], null, s8, v1, v[4:5]
	s_lshl_b32 s0, s18, 5
	v_mad_u64_u32 v[1:2], null, s8, v2, v[4:5]
	s_and_b32 s31, s2, s4
	s_and_b32 s33, s2, s5
	;; [unrolled: 1-line block ×4, first 2 shown]
	v_add_nc_u32_e32 v2, 32, v17
	v_subrev_nc_u32_e32 v16, s0, v16
	s_lshl_b32 s0, s18, 6
	s_mul_i32 s2, s18, 0x60
	v_subrev_nc_u32_e32 v14, s0, v14
	v_subrev_nc_u32_e32 v18, s2, v13
	v_mul_lo_u32 v11, s8, v3
	v_mad_u64_u32 v[2:3], null, s8, v2, v[4:5]
	v_mad_u64_u32 v[3:4], null, s8, v17, v[4:5]
	v_mul_lo_u32 v4, s8, v16
	v_mul_lo_u32 v13, s8, v14
	;; [unrolled: 1-line block ×4, first 2 shown]
	s_ashr_i32 s11, s10, 31
	s_and_b32 s36, s3, s4
	s_and_b32 s37, s3, s5
	;; [unrolled: 1-line block ×4, first 2 shown]
	s_lshl_b64 s[2:3], s[10:11], 2
	s_and_b32 s4, s1, s4
	s_and_b32 s5, s1, s5
	s_and_b32 s6, s1, s6
	s_and_b32 s1, s1, s7
	s_add_u32 s2, s22, s2
	s_addc_u32 s3, s23, s3
	s_branch .LBB271_13
.LBB271_12:                             ;   in Loop: Header=BB271_13 Depth=1
	s_or_b32 exec_lo, exec_lo, s7
	s_add_i32 s10, s10, 1
	v_add_nc_u32_e32 v9, s25, v9
	v_add_nc_u32_e32 v10, s25, v10
	;; [unrolled: 1-line block ×4, first 2 shown]
	s_add_i32 s26, s26, s25
	v_add_nc_u32_e32 v4, s8, v4
	v_add_nc_u32_e32 v13, s8, v13
	;; [unrolled: 1-line block ×4, first 2 shown]
	s_add_u32 s2, s2, 4
	s_addc_u32 s3, s3, 0
	s_cmp_ge_i32 s10, s24
	s_cbranch_scc1 .LBB271_45
.LBB271_13:                             ; =>This Inner Loop Header: Depth=1
	s_load_dword s0, s[2:3], 0x0
	s_waitcnt lgkmcnt(0)
	s_sub_i32 s0, s0, s21
	s_mul_i32 s7, s0, s8
	s_add_i32 s7, s7, s9
	v_add_nc_u32_e32 v16, s7, v5
	s_and_saveexec_b32 s11, s27
	s_cbranch_execz .LBB271_15
; %bb.14:                               ;   in Loop: Header=BB271_13 Depth=1
	v_add_nc_u32_e32 v17, v5, v12
	v_add_nc_u32_e32 v18, s26, v3
	;; [unrolled: 1-line block ×3, first 2 shown]
	v_cndmask_b32_e32 v17, v18, v17, vcc_lo
	v_ashrrev_i32_e32 v22, 31, v21
	v_ashrrev_i32_e32 v18, 31, v17
	v_lshlrev_b64 v[23:24], 2, v[21:22]
	v_lshlrev_b64 v[21:22], 4, v[21:22]
	;; [unrolled: 1-line block ×3, first 2 shown]
	v_add_co_u32 v17, s0, s14, v17
	v_add_co_ci_u32_e64 v18, null, s15, v18, s0
	v_add_co_u32 v23, s0, s16, v23
	v_add_co_ci_u32_e64 v24, null, s17, v24, s0
	global_load_dwordx4 v[17:20], v[17:18], off
	v_add_co_u32 v21, s0, s12, v21
	v_add_co_ci_u32_e64 v22, null, s13, v22, s0
	global_store_dword v[23:24], v16, off
	s_waitcnt vmcnt(0)
	global_store_dwordx4 v[21:22], v[17:20], off
.LBB271_15:                             ;   in Loop: Header=BB271_13 Depth=1
	s_or_b32 exec_lo, exec_lo, s11
	v_add_nc_u32_e32 v17, s7, v6
	v_add_nc_u32_e32 v22, s26, v2
	s_and_saveexec_b32 s11, s28
	s_cbranch_execz .LBB271_17
; %bb.16:                               ;   in Loop: Header=BB271_13 Depth=1
	v_add3_u32 v18, v5, v12, 32
	v_add3_u32 v23, v5, v15, 32
	v_cndmask_b32_e32 v18, v22, v18, vcc_lo
	v_ashrrev_i32_e32 v24, 31, v23
	v_ashrrev_i32_e32 v19, 31, v18
	v_lshlrev_b64 v[25:26], 2, v[23:24]
	v_lshlrev_b64 v[23:24], 4, v[23:24]
	;; [unrolled: 1-line block ×3, first 2 shown]
	v_add_co_u32 v18, s0, s14, v18
	v_add_co_ci_u32_e64 v19, null, s15, v19, s0
	v_add_co_u32 v25, s0, s16, v25
	v_add_co_ci_u32_e64 v26, null, s17, v26, s0
	global_load_dwordx4 v[18:21], v[18:19], off
	v_add_co_u32 v23, s0, s12, v23
	v_add_co_ci_u32_e64 v24, null, s13, v24, s0
	global_store_dword v[25:26], v17, off
	s_waitcnt vmcnt(0)
	global_store_dwordx4 v[23:24], v[18:21], off
.LBB271_17:                             ;   in Loop: Header=BB271_13 Depth=1
	s_or_b32 exec_lo, exec_lo, s11
	v_add_nc_u32_e32 v18, s7, v7
	v_add_nc_u32_e32 v21, s26, v1
	s_and_saveexec_b32 s11, s29
	s_cbranch_execz .LBB271_19
; %bb.18:                               ;   in Loop: Header=BB271_13 Depth=1
	v_add3_u32 v19, v5, v12, 64
	v_cndmask_b32_e32 v19, v21, v19, vcc_lo
	v_ashrrev_i32_e32 v20, 31, v19
	v_lshlrev_b64 v[19:20], 4, v[19:20]
	v_add_co_u32 v19, s0, s14, v19
	v_add_co_ci_u32_e64 v20, null, s15, v20, s0
	global_load_dwordx4 v[23:26], v[19:20], off
	v_add3_u32 v19, v5, v15, 64
	v_ashrrev_i32_e32 v20, 31, v19
	v_lshlrev_b64 v[27:28], 2, v[19:20]
	v_lshlrev_b64 v[19:20], 4, v[19:20]
	v_add_co_u32 v27, s0, s16, v27
	v_add_co_ci_u32_e64 v28, null, s17, v28, s0
	v_add_co_u32 v19, s0, s12, v19
	v_add_co_ci_u32_e64 v20, null, s13, v20, s0
	global_store_dword v[27:28], v18, off
	s_waitcnt vmcnt(0)
	global_store_dwordx4 v[19:20], v[23:26], off
.LBB271_19:                             ;   in Loop: Header=BB271_13 Depth=1
	s_or_b32 exec_lo, exec_lo, s11
	v_add_nc_u32_e32 v19, s7, v8
	v_add_nc_u32_e32 v20, s26, v0
	s_and_saveexec_b32 s7, s30
	s_cbranch_execnz .LBB271_32
; %bb.20:                               ;   in Loop: Header=BB271_13 Depth=1
	s_or_b32 exec_lo, exec_lo, s7
	v_add_nc_u32_e32 v23, v5, v9
	s_and_saveexec_b32 s7, s31
	s_cbranch_execnz .LBB271_33
.LBB271_21:                             ;   in Loop: Header=BB271_13 Depth=1
	s_or_b32 exec_lo, exec_lo, s7
	s_and_saveexec_b32 s7, s33
	s_cbranch_execnz .LBB271_34
.LBB271_22:                             ;   in Loop: Header=BB271_13 Depth=1
	s_or_b32 exec_lo, exec_lo, s7
	s_and_saveexec_b32 s7, s34
	s_cbranch_execnz .LBB271_35
.LBB271_23:                             ;   in Loop: Header=BB271_13 Depth=1
	s_or_b32 exec_lo, exec_lo, s7
	s_and_saveexec_b32 s7, s35
	s_cbranch_execnz .LBB271_36
.LBB271_24:                             ;   in Loop: Header=BB271_13 Depth=1
	s_or_b32 exec_lo, exec_lo, s7
	v_add_nc_u32_e32 v22, v5, v10
	s_and_saveexec_b32 s7, s36
	s_cbranch_execnz .LBB271_37
.LBB271_25:                             ;   in Loop: Header=BB271_13 Depth=1
	s_or_b32 exec_lo, exec_lo, s7
	s_and_saveexec_b32 s7, s37
	s_cbranch_execnz .LBB271_38
.LBB271_26:                             ;   in Loop: Header=BB271_13 Depth=1
	s_or_b32 exec_lo, exec_lo, s7
	s_and_saveexec_b32 s7, s38
	s_cbranch_execnz .LBB271_39
.LBB271_27:                             ;   in Loop: Header=BB271_13 Depth=1
	s_or_b32 exec_lo, exec_lo, s7
	s_and_saveexec_b32 s7, s39
	s_cbranch_execnz .LBB271_40
.LBB271_28:                             ;   in Loop: Header=BB271_13 Depth=1
	s_or_b32 exec_lo, exec_lo, s7
	v_add_nc_u32_e32 v21, v5, v11
	s_and_saveexec_b32 s7, s4
	s_cbranch_execnz .LBB271_41
.LBB271_29:                             ;   in Loop: Header=BB271_13 Depth=1
	s_or_b32 exec_lo, exec_lo, s7
	s_and_saveexec_b32 s7, s5
	s_cbranch_execnz .LBB271_42
.LBB271_30:                             ;   in Loop: Header=BB271_13 Depth=1
	s_or_b32 exec_lo, exec_lo, s7
	s_and_saveexec_b32 s7, s6
	s_cbranch_execnz .LBB271_43
.LBB271_31:                             ;   in Loop: Header=BB271_13 Depth=1
	s_or_b32 exec_lo, exec_lo, s7
	s_and_saveexec_b32 s7, s1
	s_cbranch_execz .LBB271_12
	s_branch .LBB271_44
.LBB271_32:                             ;   in Loop: Header=BB271_13 Depth=1
	v_add3_u32 v23, v5, v12, 0x60
	v_add3_u32 v27, v5, v15, 0x60
	v_cndmask_b32_e32 v23, v20, v23, vcc_lo
	v_ashrrev_i32_e32 v28, 31, v27
	v_ashrrev_i32_e32 v24, 31, v23
	v_lshlrev_b64 v[29:30], 2, v[27:28]
	v_lshlrev_b64 v[27:28], 4, v[27:28]
	;; [unrolled: 1-line block ×3, first 2 shown]
	v_add_co_u32 v23, s0, s14, v23
	v_add_co_ci_u32_e64 v24, null, s15, v24, s0
	v_add_co_u32 v29, s0, s16, v29
	v_add_co_ci_u32_e64 v30, null, s17, v30, s0
	global_load_dwordx4 v[23:26], v[23:24], off
	v_add_co_u32 v27, s0, s12, v27
	v_add_co_ci_u32_e64 v28, null, s13, v28, s0
	global_store_dword v[29:30], v19, off
	s_waitcnt vmcnt(0)
	global_store_dwordx4 v[27:28], v[23:26], off
	s_or_b32 exec_lo, exec_lo, s7
	v_add_nc_u32_e32 v23, v5, v9
	s_and_saveexec_b32 s7, s31
	s_cbranch_execz .LBB271_21
.LBB271_33:                             ;   in Loop: Header=BB271_13 Depth=1
	v_add3_u32 v24, v3, s26, 32
	v_add_nc_u32_e32 v28, v5, v4
	v_cndmask_b32_e32 v24, v24, v23, vcc_lo
	v_ashrrev_i32_e32 v29, 31, v28
	v_ashrrev_i32_e32 v25, 31, v24
	v_lshlrev_b64 v[30:31], 2, v[28:29]
	v_lshlrev_b64 v[28:29], 4, v[28:29]
	;; [unrolled: 1-line block ×3, first 2 shown]
	v_add_co_u32 v24, s0, s14, v24
	v_add_co_ci_u32_e64 v25, null, s15, v25, s0
	v_add_co_u32 v30, s0, s16, v30
	v_add_co_ci_u32_e64 v31, null, s17, v31, s0
	global_load_dwordx4 v[24:27], v[24:25], off
	v_add_co_u32 v28, s0, s12, v28
	v_add_co_ci_u32_e64 v29, null, s13, v29, s0
	global_store_dword v[30:31], v16, off
	s_waitcnt vmcnt(0)
	global_store_dwordx4 v[28:29], v[24:27], off
	s_or_b32 exec_lo, exec_lo, s7
	s_and_saveexec_b32 s7, s33
	s_cbranch_execz .LBB271_22
.LBB271_34:                             ;   in Loop: Header=BB271_13 Depth=1
	v_cndmask_b32_e32 v22, v22, v23, vcc_lo
	v_add3_u32 v26, v5, v4, 32
	v_add_nc_u32_e32 v22, 32, v22
	v_ashrrev_i32_e32 v27, 31, v26
	v_ashrrev_i32_e32 v23, 31, v22
	v_lshlrev_b64 v[28:29], 2, v[26:27]
	v_lshlrev_b64 v[26:27], 4, v[26:27]
	;; [unrolled: 1-line block ×3, first 2 shown]
	v_add_co_u32 v22, s0, s14, v22
	v_add_co_ci_u32_e64 v23, null, s15, v23, s0
	v_add_co_u32 v28, s0, s16, v28
	v_add_co_ci_u32_e64 v29, null, s17, v29, s0
	global_load_dwordx4 v[22:25], v[22:23], off
	v_add_co_u32 v26, s0, s12, v26
	v_add_co_ci_u32_e64 v27, null, s13, v27, s0
	global_store_dword v[28:29], v17, off
	s_waitcnt vmcnt(0)
	global_store_dwordx4 v[26:27], v[22:25], off
	s_or_b32 exec_lo, exec_lo, s7
	s_and_saveexec_b32 s7, s34
	s_cbranch_execz .LBB271_23
.LBB271_35:                             ;   in Loop: Header=BB271_13 Depth=1
	v_add3_u32 v22, v5, v9, 64
	v_add3_u32 v23, v1, s26, 32
	;; [unrolled: 1-line block ×3, first 2 shown]
	v_cndmask_b32_e32 v22, v23, v22, vcc_lo
	v_ashrrev_i32_e32 v27, 31, v26
	v_ashrrev_i32_e32 v23, 31, v22
	v_lshlrev_b64 v[28:29], 2, v[26:27]
	v_lshlrev_b64 v[26:27], 4, v[26:27]
	;; [unrolled: 1-line block ×3, first 2 shown]
	v_add_co_u32 v22, s0, s14, v22
	v_add_co_ci_u32_e64 v23, null, s15, v23, s0
	v_add_co_u32 v28, s0, s16, v28
	v_add_co_ci_u32_e64 v29, null, s17, v29, s0
	global_load_dwordx4 v[22:25], v[22:23], off
	v_add_co_u32 v26, s0, s12, v26
	v_add_co_ci_u32_e64 v27, null, s13, v27, s0
	global_store_dword v[28:29], v18, off
	s_waitcnt vmcnt(0)
	global_store_dwordx4 v[26:27], v[22:25], off
	s_or_b32 exec_lo, exec_lo, s7
	s_and_saveexec_b32 s7, s35
	s_cbranch_execz .LBB271_24
.LBB271_36:                             ;   in Loop: Header=BB271_13 Depth=1
	v_add3_u32 v22, v5, v9, 0x60
	v_add3_u32 v23, v0, s26, 32
	;; [unrolled: 1-line block ×3, first 2 shown]
	v_cndmask_b32_e32 v22, v23, v22, vcc_lo
	v_ashrrev_i32_e32 v27, 31, v26
	v_ashrrev_i32_e32 v23, 31, v22
	v_lshlrev_b64 v[28:29], 2, v[26:27]
	v_lshlrev_b64 v[26:27], 4, v[26:27]
	;; [unrolled: 1-line block ×3, first 2 shown]
	v_add_co_u32 v22, s0, s14, v22
	v_add_co_ci_u32_e64 v23, null, s15, v23, s0
	v_add_co_u32 v28, s0, s16, v28
	v_add_co_ci_u32_e64 v29, null, s17, v29, s0
	global_load_dwordx4 v[22:25], v[22:23], off
	v_add_co_u32 v26, s0, s12, v26
	v_add_co_ci_u32_e64 v27, null, s13, v27, s0
	global_store_dword v[28:29], v19, off
	s_waitcnt vmcnt(0)
	global_store_dwordx4 v[26:27], v[22:25], off
	s_or_b32 exec_lo, exec_lo, s7
	v_add_nc_u32_e32 v22, v5, v10
	s_and_saveexec_b32 s7, s36
	s_cbranch_execz .LBB271_25
.LBB271_37:                             ;   in Loop: Header=BB271_13 Depth=1
	v_add3_u32 v23, v3, s26, 64
	v_add_nc_u32_e32 v27, v5, v13
	v_cndmask_b32_e32 v23, v23, v22, vcc_lo
	v_ashrrev_i32_e32 v28, 31, v27
	v_ashrrev_i32_e32 v24, 31, v23
	v_lshlrev_b64 v[29:30], 2, v[27:28]
	v_lshlrev_b64 v[27:28], 4, v[27:28]
	;; [unrolled: 1-line block ×3, first 2 shown]
	v_add_co_u32 v23, s0, s14, v23
	v_add_co_ci_u32_e64 v24, null, s15, v24, s0
	v_add_co_u32 v29, s0, s16, v29
	v_add_co_ci_u32_e64 v30, null, s17, v30, s0
	global_load_dwordx4 v[23:26], v[23:24], off
	v_add_co_u32 v27, s0, s12, v27
	v_add_co_ci_u32_e64 v28, null, s13, v28, s0
	global_store_dword v[29:30], v16, off
	s_waitcnt vmcnt(0)
	global_store_dwordx4 v[27:28], v[23:26], off
	s_or_b32 exec_lo, exec_lo, s7
	s_and_saveexec_b32 s7, s37
	s_cbranch_execz .LBB271_26
.LBB271_38:                             ;   in Loop: Header=BB271_13 Depth=1
	v_add3_u32 v23, v5, v10, 32
	v_add3_u32 v24, v2, s26, 64
	;; [unrolled: 1-line block ×3, first 2 shown]
	v_cndmask_b32_e32 v23, v24, v23, vcc_lo
	v_ashrrev_i32_e32 v28, 31, v27
	v_ashrrev_i32_e32 v24, 31, v23
	v_lshlrev_b64 v[29:30], 2, v[27:28]
	v_lshlrev_b64 v[27:28], 4, v[27:28]
	;; [unrolled: 1-line block ×3, first 2 shown]
	v_add_co_u32 v23, s0, s14, v23
	v_add_co_ci_u32_e64 v24, null, s15, v24, s0
	v_add_co_u32 v29, s0, s16, v29
	v_add_co_ci_u32_e64 v30, null, s17, v30, s0
	global_load_dwordx4 v[23:26], v[23:24], off
	v_add_co_u32 v27, s0, s12, v27
	v_add_co_ci_u32_e64 v28, null, s13, v28, s0
	global_store_dword v[29:30], v17, off
	s_waitcnt vmcnt(0)
	global_store_dwordx4 v[27:28], v[23:26], off
	s_or_b32 exec_lo, exec_lo, s7
	s_and_saveexec_b32 s7, s38
	s_cbranch_execz .LBB271_27
.LBB271_39:                             ;   in Loop: Header=BB271_13 Depth=1
	v_cndmask_b32_e32 v21, v21, v22, vcc_lo
	v_add3_u32 v25, v5, v13, 64
	v_add_nc_u32_e32 v21, 64, v21
	v_ashrrev_i32_e32 v26, 31, v25
	v_ashrrev_i32_e32 v22, 31, v21
	v_lshlrev_b64 v[27:28], 2, v[25:26]
	v_lshlrev_b64 v[25:26], 4, v[25:26]
	;; [unrolled: 1-line block ×3, first 2 shown]
	v_add_co_u32 v21, s0, s14, v21
	v_add_co_ci_u32_e64 v22, null, s15, v22, s0
	v_add_co_u32 v27, s0, s16, v27
	v_add_co_ci_u32_e64 v28, null, s17, v28, s0
	global_load_dwordx4 v[21:24], v[21:22], off
	v_add_co_u32 v25, s0, s12, v25
	v_add_co_ci_u32_e64 v26, null, s13, v26, s0
	global_store_dword v[27:28], v18, off
	s_waitcnt vmcnt(0)
	global_store_dwordx4 v[25:26], v[21:24], off
	s_or_b32 exec_lo, exec_lo, s7
	s_and_saveexec_b32 s7, s39
	s_cbranch_execz .LBB271_28
.LBB271_40:                             ;   in Loop: Header=BB271_13 Depth=1
	v_add3_u32 v21, v5, v10, 0x60
	v_add3_u32 v22, v0, s26, 64
	v_add3_u32 v25, v5, v13, 0x60
	v_cndmask_b32_e32 v21, v22, v21, vcc_lo
	v_ashrrev_i32_e32 v26, 31, v25
	v_ashrrev_i32_e32 v22, 31, v21
	v_lshlrev_b64 v[27:28], 2, v[25:26]
	v_lshlrev_b64 v[25:26], 4, v[25:26]
	;; [unrolled: 1-line block ×3, first 2 shown]
	v_add_co_u32 v21, s0, s14, v21
	v_add_co_ci_u32_e64 v22, null, s15, v22, s0
	v_add_co_u32 v27, s0, s16, v27
	v_add_co_ci_u32_e64 v28, null, s17, v28, s0
	global_load_dwordx4 v[21:24], v[21:22], off
	v_add_co_u32 v25, s0, s12, v25
	v_add_co_ci_u32_e64 v26, null, s13, v26, s0
	global_store_dword v[27:28], v19, off
	s_waitcnt vmcnt(0)
	global_store_dwordx4 v[25:26], v[21:24], off
	s_or_b32 exec_lo, exec_lo, s7
	v_add_nc_u32_e32 v21, v5, v11
	s_and_saveexec_b32 s7, s4
	s_cbranch_execz .LBB271_29
.LBB271_41:                             ;   in Loop: Header=BB271_13 Depth=1
	v_add3_u32 v22, v3, s26, 0x60
	v_add_nc_u32_e32 v26, v5, v14
	v_cndmask_b32_e32 v22, v22, v21, vcc_lo
	v_ashrrev_i32_e32 v27, 31, v26
	v_ashrrev_i32_e32 v23, 31, v22
	v_lshlrev_b64 v[28:29], 2, v[26:27]
	v_lshlrev_b64 v[26:27], 4, v[26:27]
	;; [unrolled: 1-line block ×3, first 2 shown]
	v_add_co_u32 v22, s0, s14, v22
	v_add_co_ci_u32_e64 v23, null, s15, v23, s0
	v_add_co_u32 v28, s0, s16, v28
	v_add_co_ci_u32_e64 v29, null, s17, v29, s0
	global_load_dwordx4 v[22:25], v[22:23], off
	v_add_co_u32 v26, s0, s12, v26
	v_add_co_ci_u32_e64 v27, null, s13, v27, s0
	global_store_dword v[28:29], v16, off
	s_waitcnt vmcnt(0)
	global_store_dwordx4 v[26:27], v[22:25], off
	s_or_b32 exec_lo, exec_lo, s7
	s_and_saveexec_b32 s7, s5
	s_cbranch_execz .LBB271_30
.LBB271_42:                             ;   in Loop: Header=BB271_13 Depth=1
	v_add3_u32 v16, v5, v11, 32
	v_add3_u32 v22, v2, s26, 0x60
	;; [unrolled: 1-line block ×3, first 2 shown]
	v_cndmask_b32_e32 v22, v22, v16, vcc_lo
	v_ashrrev_i32_e32 v27, 31, v26
	v_ashrrev_i32_e32 v23, 31, v22
	v_lshlrev_b64 v[28:29], 2, v[26:27]
	v_lshlrev_b64 v[26:27], 4, v[26:27]
	;; [unrolled: 1-line block ×3, first 2 shown]
	v_add_co_u32 v22, s0, s14, v22
	v_add_co_ci_u32_e64 v23, null, s15, v23, s0
	v_add_co_u32 v28, s0, s16, v28
	v_add_co_ci_u32_e64 v29, null, s17, v29, s0
	global_load_dwordx4 v[22:25], v[22:23], off
	v_add_co_u32 v26, s0, s12, v26
	v_add_co_ci_u32_e64 v27, null, s13, v27, s0
	global_store_dword v[28:29], v17, off
	s_waitcnt vmcnt(0)
	global_store_dwordx4 v[26:27], v[22:25], off
	s_or_b32 exec_lo, exec_lo, s7
	s_and_saveexec_b32 s7, s6
	s_cbranch_execz .LBB271_31
.LBB271_43:                             ;   in Loop: Header=BB271_13 Depth=1
	v_add3_u32 v16, v5, v11, 64
	v_add3_u32 v17, v1, s26, 0x60
	v_cndmask_b32_e32 v16, v17, v16, vcc_lo
	v_ashrrev_i32_e32 v17, 31, v16
	v_lshlrev_b64 v[16:17], 4, v[16:17]
	v_add_co_u32 v16, s0, s14, v16
	v_add_co_ci_u32_e64 v17, null, s15, v17, s0
	global_load_dwordx4 v[22:25], v[16:17], off
	v_add3_u32 v16, v5, v14, 64
	v_ashrrev_i32_e32 v17, 31, v16
	v_lshlrev_b64 v[26:27], 2, v[16:17]
	v_lshlrev_b64 v[16:17], 4, v[16:17]
	v_add_co_u32 v26, s0, s16, v26
	v_add_co_ci_u32_e64 v27, null, s17, v27, s0
	v_add_co_u32 v16, s0, s12, v16
	v_add_co_ci_u32_e64 v17, null, s13, v17, s0
	global_store_dword v[26:27], v18, off
	s_waitcnt vmcnt(0)
	global_store_dwordx4 v[16:17], v[22:25], off
	s_or_b32 exec_lo, exec_lo, s7
	s_and_saveexec_b32 s7, s1
	s_cbranch_execz .LBB271_12
.LBB271_44:                             ;   in Loop: Header=BB271_13 Depth=1
	v_cndmask_b32_e32 v16, v20, v21, vcc_lo
	v_add_nc_u32_e32 v16, 0x60, v16
	v_ashrrev_i32_e32 v17, 31, v16
	v_lshlrev_b64 v[16:17], 4, v[16:17]
	v_add_co_u32 v16, s0, s14, v16
	v_add_co_ci_u32_e64 v17, null, s15, v17, s0
	global_load_dwordx4 v[20:23], v[16:17], off
	v_add3_u32 v16, v5, v14, 0x60
	v_ashrrev_i32_e32 v17, 31, v16
	v_lshlrev_b64 v[24:25], 2, v[16:17]
	v_lshlrev_b64 v[16:17], 4, v[16:17]
	v_add_co_u32 v24, s0, s16, v24
	v_add_co_ci_u32_e64 v25, null, s17, v25, s0
	v_add_co_u32 v16, s0, s12, v16
	v_add_co_ci_u32_e64 v17, null, s13, v17, s0
	global_store_dword v[24:25], v19, off
	s_waitcnt vmcnt(0)
	global_store_dwordx4 v[16:17], v[20:23], off
	s_branch .LBB271_12
.LBB271_45:
	s_endpgm
	.section	.rodata,"a",@progbits
	.p2align	6, 0x0
	.amdhsa_kernel _ZN9rocsparseL35bsr2csr_block_per_row_33_256_kernelILj1024ELj128ELj32E21rocsparse_complex_numIdEiiEEv20rocsparse_direction_T4_S4_21rocsparse_index_base_PKT2_PKT3_PKS4_S4_S5_PS6_PS9_PS4_
		.amdhsa_group_segment_fixed_size 0
		.amdhsa_private_segment_fixed_size 0
		.amdhsa_kernarg_size 72
		.amdhsa_user_sgpr_count 6
		.amdhsa_user_sgpr_private_segment_buffer 1
		.amdhsa_user_sgpr_dispatch_ptr 0
		.amdhsa_user_sgpr_queue_ptr 0
		.amdhsa_user_sgpr_kernarg_segment_ptr 1
		.amdhsa_user_sgpr_dispatch_id 0
		.amdhsa_user_sgpr_flat_scratch_init 0
		.amdhsa_user_sgpr_private_segment_size 0
		.amdhsa_wavefront_size32 1
		.amdhsa_uses_dynamic_stack 0
		.amdhsa_system_sgpr_private_segment_wavefront_offset 0
		.amdhsa_system_sgpr_workgroup_id_x 1
		.amdhsa_system_sgpr_workgroup_id_y 0
		.amdhsa_system_sgpr_workgroup_id_z 0
		.amdhsa_system_sgpr_workgroup_info 0
		.amdhsa_system_vgpr_workitem_id 0
		.amdhsa_next_free_vgpr 32
		.amdhsa_next_free_sgpr 40
		.amdhsa_reserve_vcc 1
		.amdhsa_reserve_flat_scratch 0
		.amdhsa_float_round_mode_32 0
		.amdhsa_float_round_mode_16_64 0
		.amdhsa_float_denorm_mode_32 3
		.amdhsa_float_denorm_mode_16_64 3
		.amdhsa_dx10_clamp 1
		.amdhsa_ieee_mode 1
		.amdhsa_fp16_overflow 0
		.amdhsa_workgroup_processor_mode 1
		.amdhsa_memory_ordered 1
		.amdhsa_forward_progress 1
		.amdhsa_shared_vgpr_count 0
		.amdhsa_exception_fp_ieee_invalid_op 0
		.amdhsa_exception_fp_denorm_src 0
		.amdhsa_exception_fp_ieee_div_zero 0
		.amdhsa_exception_fp_ieee_overflow 0
		.amdhsa_exception_fp_ieee_underflow 0
		.amdhsa_exception_fp_ieee_inexact 0
		.amdhsa_exception_int_div_zero 0
	.end_amdhsa_kernel
	.section	.text._ZN9rocsparseL35bsr2csr_block_per_row_33_256_kernelILj1024ELj128ELj32E21rocsparse_complex_numIdEiiEEv20rocsparse_direction_T4_S4_21rocsparse_index_base_PKT2_PKT3_PKS4_S4_S5_PS6_PS9_PS4_,"axG",@progbits,_ZN9rocsparseL35bsr2csr_block_per_row_33_256_kernelILj1024ELj128ELj32E21rocsparse_complex_numIdEiiEEv20rocsparse_direction_T4_S4_21rocsparse_index_base_PKT2_PKT3_PKS4_S4_S5_PS6_PS9_PS4_,comdat
.Lfunc_end271:
	.size	_ZN9rocsparseL35bsr2csr_block_per_row_33_256_kernelILj1024ELj128ELj32E21rocsparse_complex_numIdEiiEEv20rocsparse_direction_T4_S4_21rocsparse_index_base_PKT2_PKT3_PKS4_S4_S5_PS6_PS9_PS4_, .Lfunc_end271-_ZN9rocsparseL35bsr2csr_block_per_row_33_256_kernelILj1024ELj128ELj32E21rocsparse_complex_numIdEiiEEv20rocsparse_direction_T4_S4_21rocsparse_index_base_PKT2_PKT3_PKS4_S4_S5_PS6_PS9_PS4_
                                        ; -- End function
	.set _ZN9rocsparseL35bsr2csr_block_per_row_33_256_kernelILj1024ELj128ELj32E21rocsparse_complex_numIdEiiEEv20rocsparse_direction_T4_S4_21rocsparse_index_base_PKT2_PKT3_PKS4_S4_S5_PS6_PS9_PS4_.num_vgpr, 32
	.set _ZN9rocsparseL35bsr2csr_block_per_row_33_256_kernelILj1024ELj128ELj32E21rocsparse_complex_numIdEiiEEv20rocsparse_direction_T4_S4_21rocsparse_index_base_PKT2_PKT3_PKS4_S4_S5_PS6_PS9_PS4_.num_agpr, 0
	.set _ZN9rocsparseL35bsr2csr_block_per_row_33_256_kernelILj1024ELj128ELj32E21rocsparse_complex_numIdEiiEEv20rocsparse_direction_T4_S4_21rocsparse_index_base_PKT2_PKT3_PKS4_S4_S5_PS6_PS9_PS4_.numbered_sgpr, 40
	.set _ZN9rocsparseL35bsr2csr_block_per_row_33_256_kernelILj1024ELj128ELj32E21rocsparse_complex_numIdEiiEEv20rocsparse_direction_T4_S4_21rocsparse_index_base_PKT2_PKT3_PKS4_S4_S5_PS6_PS9_PS4_.num_named_barrier, 0
	.set _ZN9rocsparseL35bsr2csr_block_per_row_33_256_kernelILj1024ELj128ELj32E21rocsparse_complex_numIdEiiEEv20rocsparse_direction_T4_S4_21rocsparse_index_base_PKT2_PKT3_PKS4_S4_S5_PS6_PS9_PS4_.private_seg_size, 0
	.set _ZN9rocsparseL35bsr2csr_block_per_row_33_256_kernelILj1024ELj128ELj32E21rocsparse_complex_numIdEiiEEv20rocsparse_direction_T4_S4_21rocsparse_index_base_PKT2_PKT3_PKS4_S4_S5_PS6_PS9_PS4_.uses_vcc, 1
	.set _ZN9rocsparseL35bsr2csr_block_per_row_33_256_kernelILj1024ELj128ELj32E21rocsparse_complex_numIdEiiEEv20rocsparse_direction_T4_S4_21rocsparse_index_base_PKT2_PKT3_PKS4_S4_S5_PS6_PS9_PS4_.uses_flat_scratch, 0
	.set _ZN9rocsparseL35bsr2csr_block_per_row_33_256_kernelILj1024ELj128ELj32E21rocsparse_complex_numIdEiiEEv20rocsparse_direction_T4_S4_21rocsparse_index_base_PKT2_PKT3_PKS4_S4_S5_PS6_PS9_PS4_.has_dyn_sized_stack, 0
	.set _ZN9rocsparseL35bsr2csr_block_per_row_33_256_kernelILj1024ELj128ELj32E21rocsparse_complex_numIdEiiEEv20rocsparse_direction_T4_S4_21rocsparse_index_base_PKT2_PKT3_PKS4_S4_S5_PS6_PS9_PS4_.has_recursion, 0
	.set _ZN9rocsparseL35bsr2csr_block_per_row_33_256_kernelILj1024ELj128ELj32E21rocsparse_complex_numIdEiiEEv20rocsparse_direction_T4_S4_21rocsparse_index_base_PKT2_PKT3_PKS4_S4_S5_PS6_PS9_PS4_.has_indirect_call, 0
	.section	.AMDGPU.csdata,"",@progbits
; Kernel info:
; codeLenInByte = 3472
; TotalNumSgprs: 42
; NumVgprs: 32
; ScratchSize: 0
; MemoryBound: 0
; FloatMode: 240
; IeeeMode: 1
; LDSByteSize: 0 bytes/workgroup (compile time only)
; SGPRBlocks: 0
; VGPRBlocks: 3
; NumSGPRsForWavesPerEU: 42
; NumVGPRsForWavesPerEU: 32
; Occupancy: 16
; WaveLimiterHint : 0
; COMPUTE_PGM_RSRC2:SCRATCH_EN: 0
; COMPUTE_PGM_RSRC2:USER_SGPR: 6
; COMPUTE_PGM_RSRC2:TRAP_HANDLER: 0
; COMPUTE_PGM_RSRC2:TGID_X_EN: 1
; COMPUTE_PGM_RSRC2:TGID_Y_EN: 0
; COMPUTE_PGM_RSRC2:TGID_Z_EN: 0
; COMPUTE_PGM_RSRC2:TIDIG_COMP_CNT: 0
	.section	.text._ZN9rocsparseL35bsr2csr_block_per_row_33_256_kernelILj1024ELj256ELj32E21rocsparse_complex_numIdEiiEEv20rocsparse_direction_T4_S4_21rocsparse_index_base_PKT2_PKT3_PKS4_S4_S5_PS6_PS9_PS4_,"axG",@progbits,_ZN9rocsparseL35bsr2csr_block_per_row_33_256_kernelILj1024ELj256ELj32E21rocsparse_complex_numIdEiiEEv20rocsparse_direction_T4_S4_21rocsparse_index_base_PKT2_PKT3_PKS4_S4_S5_PS6_PS9_PS4_,comdat
	.globl	_ZN9rocsparseL35bsr2csr_block_per_row_33_256_kernelILj1024ELj256ELj32E21rocsparse_complex_numIdEiiEEv20rocsparse_direction_T4_S4_21rocsparse_index_base_PKT2_PKT3_PKS4_S4_S5_PS6_PS9_PS4_ ; -- Begin function _ZN9rocsparseL35bsr2csr_block_per_row_33_256_kernelILj1024ELj256ELj32E21rocsparse_complex_numIdEiiEEv20rocsparse_direction_T4_S4_21rocsparse_index_base_PKT2_PKT3_PKS4_S4_S5_PS6_PS9_PS4_
	.p2align	8
	.type	_ZN9rocsparseL35bsr2csr_block_per_row_33_256_kernelILj1024ELj256ELj32E21rocsparse_complex_numIdEiiEEv20rocsparse_direction_T4_S4_21rocsparse_index_base_PKT2_PKT3_PKS4_S4_S5_PS6_PS9_PS4_,@function
_ZN9rocsparseL35bsr2csr_block_per_row_33_256_kernelILj1024ELj256ELj32E21rocsparse_complex_numIdEiiEEv20rocsparse_direction_T4_S4_21rocsparse_index_base_PKT2_PKT3_PKS4_S4_S5_PS6_PS9_PS4_: ; @_ZN9rocsparseL35bsr2csr_block_per_row_33_256_kernelILj1024ELj256ELj32E21rocsparse_complex_numIdEiiEEv20rocsparse_direction_T4_S4_21rocsparse_index_base_PKT2_PKT3_PKS4_S4_S5_PS6_PS9_PS4_
; %bb.0:
	s_load_dwordx2 s[0:1], s[4:5], 0x18
	s_ashr_i32 s7, s6, 31
	s_clause 0x1
	s_load_dwordx2 s[16:17], s[4:5], 0x28
	s_load_dwordx2 s[10:11], s[4:5], 0x38
	s_lshl_b64 s[2:3], s[6:7], 2
	v_or_b32_e32 v1, s6, v0
	s_waitcnt lgkmcnt(0)
	s_add_u32 s0, s0, s2
	s_addc_u32 s1, s1, s3
	s_load_dwordx2 s[26:27], s[0:1], 0x0
	s_mov_b32 s0, exec_lo
	v_cmpx_eq_u32_e32 0, v1
	s_cbranch_execz .LBB272_2
; %bb.1:
	v_mov_b32_e32 v1, 0
	v_mov_b32_e32 v2, s17
	global_store_dword v1, v2, s[10:11]
.LBB272_2:
	s_or_b32 exec_lo, exec_lo, s0
	s_load_dword s29, s[4:5], 0xc
	v_lshrrev_b32_e32 v13, 5, v0
	s_mul_i32 s14, s16, s6
	v_cmp_gt_i32_e64 s0, s16, v13
	s_waitcnt lgkmcnt(0)
	s_sub_i32 s18, s26, s29
	s_sub_i32 s33, s27, s29
	s_mul_i32 s28, s16, s18
	s_sub_i32 s19, s33, s18
	s_mul_i32 s1, s28, s16
	s_mul_i32 s13, s19, s16
	s_add_i32 s1, s1, s17
	s_add_i32 s12, s1, s13
	s_and_saveexec_b32 s1, s0
	s_cbranch_execz .LBB272_4
; %bb.3:
	v_add_nc_u32_e32 v1, s14, v13
	v_mad_u64_u32 v[3:4], null, v13, s13, s[12:13]
	v_ashrrev_i32_e32 v2, 31, v1
	v_lshlrev_b64 v[1:2], 2, v[1:2]
	v_add_co_u32 v1, vcc_lo, s10, v1
	v_add_co_ci_u32_e64 v2, null, s11, v2, vcc_lo
	global_store_dword v[1:2], v3, off offset:4
.LBB272_4:
	s_or_b32 exec_lo, exec_lo, s1
	v_or_b32_e32 v1, 32, v13
	v_cmp_gt_i32_e64 s1, s16, v1
	s_and_saveexec_b32 s2, s1
	s_cbranch_execz .LBB272_6
; %bb.5:
	s_ashr_i32 s3, s14, 31
	v_add_co_u32 v2, s6, v13, s14
	v_add_co_ci_u32_e64 v3, null, 0, s3, s6
	v_mad_u64_u32 v[4:5], null, v1, s13, s[12:13]
	v_lshlrev_b64 v[2:3], 2, v[2:3]
	v_add_co_u32 v1, vcc_lo, s10, v2
	v_add_co_ci_u32_e64 v2, null, s11, v3, vcc_lo
	global_store_dword v[1:2], v4, off offset:132
.LBB272_6:
	s_or_b32 exec_lo, exec_lo, s2
	v_or_b32_e32 v1, 64, v13
	v_cmp_gt_i32_e64 s3, s16, v1
	s_and_saveexec_b32 s2, s3
	s_cbranch_execz .LBB272_8
; %bb.7:
	s_ashr_i32 s6, s14, 31
	v_add_co_u32 v2, s7, v13, s14
	v_add_co_ci_u32_e64 v3, null, 0, s6, s7
	v_mad_u64_u32 v[4:5], null, v1, s13, s[12:13]
	v_lshlrev_b64 v[2:3], 2, v[2:3]
	v_add_co_u32 v1, vcc_lo, s10, v2
	v_add_co_ci_u32_e64 v2, null, s11, v3, vcc_lo
	global_store_dword v[1:2], v4, off offset:260
.LBB272_8:
	;; [unrolled: 15-line block ×7, first 2 shown]
	s_or_b32 exec_lo, exec_lo, s15
	s_cmp_lt_i32 s26, s27
	s_cbranch_scc0 .LBB272_149
; %bb.19:
	v_and_b32_e32 v0, 31, v0
	v_add_nc_u32_e32 v17, s28, v13
	s_clause 0x3
	s_load_dwordx2 s[30:31], s[4:5], 0x20
	s_load_dwordx2 s[20:21], s[4:5], 0x30
	s_load_dword s11, s[4:5], 0x0
	s_load_dwordx2 s[22:23], s[4:5], 0x10
	v_mad_u64_u32 v[31:32], null, v13, s19, s[28:29]
	v_add_nc_u32_e32 v9, s28, v0
	v_mad_u64_u32 v[1:2], null, s16, v17, v[0:1]
	v_add_nc_u32_e32 v12, 32, v17
	v_or_b32_e32 v18, 32, v0
	v_mad_u64_u32 v[2:3], null, s16, v9, v[13:14]
	v_add_nc_u32_e32 v3, 0xe0, v9
	v_add_nc_u32_e32 v5, 0xc0, v9
	;; [unrolled: 1-line block ×5, first 2 shown]
	v_mad_u64_u32 v[3:4], null, s16, v3, v[13:14]
	v_add_nc_u32_e32 v10, 64, v9
	v_mad_u64_u32 v[4:5], null, s16, v5, v[13:14]
	v_mad_u64_u32 v[5:6], null, s16, v6, v[13:14]
	;; [unrolled: 1-line block ×4, first 2 shown]
	v_add_nc_u32_e32 v11, 32, v9
	v_mad_u64_u32 v[8:9], null, s16, v10, v[13:14]
	v_add_nc_u32_e32 v14, 64, v17
	v_or_b32_e32 v19, 64, v0
	v_or_b32_e32 v20, 0x60, v0
	;; [unrolled: 1-line block ×4, first 2 shown]
	v_mad_u64_u32 v[9:10], null, s16, v11, v[13:14]
	v_mad_u64_u32 v[10:11], null, s16, v12, v[0:1]
	;; [unrolled: 1-line block ×3, first 2 shown]
	v_add_nc_u32_e32 v12, 0x60, v17
	v_add_nc_u32_e32 v14, 0x80, v17
	v_or_b32_e32 v23, 0xc0, v0
	v_or_b32_e32 v24, 0xe0, v0
	v_mad_u64_u32 v[25:26], null, 0xe0, s27, v[31:32]
	v_mad_u64_u32 v[12:13], null, s16, v12, v[0:1]
	;; [unrolled: 1-line block ×3, first 2 shown]
	v_add_nc_u32_e32 v14, 0xa0, v17
	v_mad_u64_u32 v[26:27], null, 0xc0, s27, v[31:32]
	s_load_dwordx2 s[24:25], s[4:5], 0x40
	v_cmp_gt_i32_e64 s4, s16, v0
	v_cmp_gt_i32_e64 s5, s16, v18
	;; [unrolled: 1-line block ×3, first 2 shown]
	s_waitcnt lgkmcnt(0)
	s_cmp_eq_u32 s11, 0
	v_cmp_gt_i32_e64 s11, s16, v20
	v_cmp_gt_i32_e64 s12, s16, v21
	;; [unrolled: 1-line block ×5, first 2 shown]
	v_add_nc_u32_e32 v16, 0xc0, v17
	v_mad_u64_u32 v[14:15], null, s16, v14, v[0:1]
	s_cselect_b32 vcc_lo, -1, 0
	s_and_b32 s36, s0, s4
	s_and_b32 s37, s0, s5
	;; [unrolled: 1-line block ×16, first 2 shown]
	v_mad_u64_u32 v[15:16], null, s16, v16, v[0:1]
	s_mul_i32 s0, s26, 0xe0
	s_mul_i32 s3, s26, 0xc0
	v_add_nc_u32_e32 v16, 0xe0, v17
	v_subrev_nc_u32_e32 v25, s0, v25
	v_subrev_nc_u32_e32 v28, s3, v26
	v_mad_u64_u32 v[26:27], null, 0xa0, s27, v[31:32]
	v_mad_u64_u32 v[16:17], null, s16, v16, v[0:1]
	v_mul_lo_u32 v17, s16, v25
	v_mul_lo_u32 v25, s16, v28
	v_lshl_add_u32 v29, s27, 7, v31
	v_mad_u64_u32 v[27:28], null, 0x60, s27, v[31:32]
	s_lshl_b32 s3, s26, 7
	s_mul_i32 s0, s26, 0xa0
	v_subrev_nc_u32_e32 v28, s3, v29
	v_lshl_add_u32 v29, s27, 6, v31
	v_lshl_add_u32 v30, s27, 5, v31
	v_subrev_nc_u32_e32 v26, s0, v26
	s_mul_i32 s0, s26, 0x60
	s_lshl_b32 s3, s26, 5
	v_subrev_nc_u32_e32 v32, s0, v27
	s_lshl_b32 s0, s26, 6
	v_subrev_nc_u32_e32 v30, s3, v30
	v_subrev_nc_u32_e32 v29, s0, v29
	v_mul_lo_u32 v26, s16, v26
	v_mul_lo_u32 v27, s16, v28
	;; [unrolled: 1-line block ×6, first 2 shown]
	s_ashr_i32 s19, s18, 31
	v_cndmask_b32_e32 v32, v2, v1, vcc_lo
	s_lshl_b64 s[26:27], s[18:19], 2
	s_and_b32 s44, s1, s4
	s_and_b32 s45, s1, s5
	;; [unrolled: 1-line block ×48, first 2 shown]
	s_add_u32 s2, s30, s26
	s_mul_i32 s34, s16, s16
	s_mov_b32 s35, 0
	s_addc_u32 s3, s31, s27
	s_branch .LBB272_21
.LBB272_20:                             ;   in Loop: Header=BB272_21 Depth=1
	s_or_b32 exec_lo, exec_lo, s19
	s_add_i32 s18, s18, 1
	s_add_i32 s35, s35, s34
	v_add_nc_u32_e32 v17, s16, v17
	v_add_nc_u32_e32 v25, s16, v25
	;; [unrolled: 1-line block ×8, first 2 shown]
	s_add_u32 s2, s2, 4
	s_addc_u32 s3, s3, 0
	s_cmp_ge_i32 s18, s33
	s_cbranch_scc1 .LBB272_149
.LBB272_21:                             ; =>This Inner Loop Header: Depth=1
	s_load_dword s0, s[2:3], 0x0
	s_waitcnt lgkmcnt(0)
	s_sub_i32 s0, s0, s29
	s_mul_i32 s19, s0, s16
	s_add_i32 s19, s19, s17
	v_add_nc_u32_e32 v34, s19, v0
	s_and_saveexec_b32 s26, s36
	s_cbranch_execnz .LBB272_85
; %bb.22:                               ;   in Loop: Header=BB272_21 Depth=1
	s_or_b32 exec_lo, exec_lo, s26
	v_add_nc_u32_e32 v33, s19, v18
	s_and_saveexec_b32 s26, s37
	s_cbranch_execnz .LBB272_86
.LBB272_23:                             ;   in Loop: Header=BB272_21 Depth=1
	s_or_b32 exec_lo, exec_lo, s26
	v_add_nc_u32_e32 v35, s19, v19
	s_and_saveexec_b32 s26, s38
	s_cbranch_execnz .LBB272_87
.LBB272_24:                             ;   in Loop: Header=BB272_21 Depth=1
	s_or_b32 exec_lo, exec_lo, s26
	v_add_nc_u32_e32 v36, s19, v20
	s_and_saveexec_b32 s26, s39
	s_cbranch_execnz .LBB272_88
.LBB272_25:                             ;   in Loop: Header=BB272_21 Depth=1
	s_or_b32 exec_lo, exec_lo, s26
	v_add_nc_u32_e32 v37, s19, v21
	s_and_saveexec_b32 s26, s40
	s_cbranch_execnz .LBB272_89
.LBB272_26:                             ;   in Loop: Header=BB272_21 Depth=1
	s_or_b32 exec_lo, exec_lo, s26
	v_add_nc_u32_e32 v38, s19, v22
	s_and_saveexec_b32 s26, s41
	s_cbranch_execnz .LBB272_90
.LBB272_27:                             ;   in Loop: Header=BB272_21 Depth=1
	s_or_b32 exec_lo, exec_lo, s26
	v_add_nc_u32_e32 v39, s19, v23
	s_and_saveexec_b32 s26, s42
	s_cbranch_execnz .LBB272_91
.LBB272_28:                             ;   in Loop: Header=BB272_21 Depth=1
	s_or_b32 exec_lo, exec_lo, s26
	v_add_nc_u32_e32 v40, s19, v24
	s_and_saveexec_b32 s19, s43
	s_cbranch_execnz .LBB272_92
.LBB272_29:                             ;   in Loop: Header=BB272_21 Depth=1
	s_or_b32 exec_lo, exec_lo, s19
	s_and_saveexec_b32 s19, s44
	s_cbranch_execnz .LBB272_93
.LBB272_30:                             ;   in Loop: Header=BB272_21 Depth=1
	s_or_b32 exec_lo, exec_lo, s19
	s_and_saveexec_b32 s19, s45
	s_cbranch_execnz .LBB272_94
.LBB272_31:                             ;   in Loop: Header=BB272_21 Depth=1
	s_or_b32 exec_lo, exec_lo, s19
	s_and_saveexec_b32 s19, s46
	s_cbranch_execnz .LBB272_95
.LBB272_32:                             ;   in Loop: Header=BB272_21 Depth=1
	s_or_b32 exec_lo, exec_lo, s19
	s_and_saveexec_b32 s19, s47
	s_cbranch_execnz .LBB272_96
.LBB272_33:                             ;   in Loop: Header=BB272_21 Depth=1
	s_or_b32 exec_lo, exec_lo, s19
	s_and_saveexec_b32 s19, s48
	s_cbranch_execnz .LBB272_97
.LBB272_34:                             ;   in Loop: Header=BB272_21 Depth=1
	s_or_b32 exec_lo, exec_lo, s19
	s_and_saveexec_b32 s19, s49
	s_cbranch_execnz .LBB272_98
.LBB272_35:                             ;   in Loop: Header=BB272_21 Depth=1
	s_or_b32 exec_lo, exec_lo, s19
	s_and_saveexec_b32 s19, s50
	s_cbranch_execnz .LBB272_99
.LBB272_36:                             ;   in Loop: Header=BB272_21 Depth=1
	s_or_b32 exec_lo, exec_lo, s19
	s_and_saveexec_b32 s19, s1
	s_cbranch_execnz .LBB272_100
.LBB272_37:                             ;   in Loop: Header=BB272_21 Depth=1
	s_or_b32 exec_lo, exec_lo, s19
	s_and_saveexec_b32 s19, s51
	s_cbranch_execnz .LBB272_101
.LBB272_38:                             ;   in Loop: Header=BB272_21 Depth=1
	s_or_b32 exec_lo, exec_lo, s19
	s_and_saveexec_b32 s19, s52
	s_cbranch_execnz .LBB272_102
.LBB272_39:                             ;   in Loop: Header=BB272_21 Depth=1
	s_or_b32 exec_lo, exec_lo, s19
	s_and_saveexec_b32 s19, s53
	s_cbranch_execnz .LBB272_103
.LBB272_40:                             ;   in Loop: Header=BB272_21 Depth=1
	s_or_b32 exec_lo, exec_lo, s19
	s_and_saveexec_b32 s19, s54
	s_cbranch_execnz .LBB272_104
.LBB272_41:                             ;   in Loop: Header=BB272_21 Depth=1
	s_or_b32 exec_lo, exec_lo, s19
	s_and_saveexec_b32 s19, s55
	s_cbranch_execnz .LBB272_105
.LBB272_42:                             ;   in Loop: Header=BB272_21 Depth=1
	s_or_b32 exec_lo, exec_lo, s19
	s_and_saveexec_b32 s19, s56
	s_cbranch_execnz .LBB272_106
.LBB272_43:                             ;   in Loop: Header=BB272_21 Depth=1
	s_or_b32 exec_lo, exec_lo, s19
	s_and_saveexec_b32 s19, s57
	s_cbranch_execnz .LBB272_107
.LBB272_44:                             ;   in Loop: Header=BB272_21 Depth=1
	s_or_b32 exec_lo, exec_lo, s19
	s_and_saveexec_b32 s19, s58
	s_cbranch_execnz .LBB272_108
.LBB272_45:                             ;   in Loop: Header=BB272_21 Depth=1
	s_or_b32 exec_lo, exec_lo, s19
	s_and_saveexec_b32 s19, s59
	s_cbranch_execnz .LBB272_109
.LBB272_46:                             ;   in Loop: Header=BB272_21 Depth=1
	s_or_b32 exec_lo, exec_lo, s19
	s_and_saveexec_b32 s19, s60
	s_cbranch_execnz .LBB272_110
.LBB272_47:                             ;   in Loop: Header=BB272_21 Depth=1
	s_or_b32 exec_lo, exec_lo, s19
	s_and_saveexec_b32 s19, s61
	s_cbranch_execnz .LBB272_111
.LBB272_48:                             ;   in Loop: Header=BB272_21 Depth=1
	s_or_b32 exec_lo, exec_lo, s19
	s_and_saveexec_b32 s19, s62
	s_cbranch_execnz .LBB272_112
.LBB272_49:                             ;   in Loop: Header=BB272_21 Depth=1
	s_or_b32 exec_lo, exec_lo, s19
	s_and_saveexec_b32 s19, s63
	s_cbranch_execnz .LBB272_113
.LBB272_50:                             ;   in Loop: Header=BB272_21 Depth=1
	s_or_b32 exec_lo, exec_lo, s19
	s_and_saveexec_b32 s19, s64
	s_cbranch_execnz .LBB272_114
.LBB272_51:                             ;   in Loop: Header=BB272_21 Depth=1
	s_or_b32 exec_lo, exec_lo, s19
	s_and_saveexec_b32 s19, s65
	s_cbranch_execnz .LBB272_115
.LBB272_52:                             ;   in Loop: Header=BB272_21 Depth=1
	s_or_b32 exec_lo, exec_lo, s19
	s_and_saveexec_b32 s19, s6
	s_cbranch_execnz .LBB272_116
.LBB272_53:                             ;   in Loop: Header=BB272_21 Depth=1
	s_or_b32 exec_lo, exec_lo, s19
	s_and_saveexec_b32 s19, s66
	s_cbranch_execnz .LBB272_117
.LBB272_54:                             ;   in Loop: Header=BB272_21 Depth=1
	s_or_b32 exec_lo, exec_lo, s19
	s_and_saveexec_b32 s19, s67
	s_cbranch_execnz .LBB272_118
.LBB272_55:                             ;   in Loop: Header=BB272_21 Depth=1
	s_or_b32 exec_lo, exec_lo, s19
	s_and_saveexec_b32 s19, s68
	s_cbranch_execnz .LBB272_119
.LBB272_56:                             ;   in Loop: Header=BB272_21 Depth=1
	s_or_b32 exec_lo, exec_lo, s19
	s_and_saveexec_b32 s19, s69
	s_cbranch_execnz .LBB272_120
.LBB272_57:                             ;   in Loop: Header=BB272_21 Depth=1
	s_or_b32 exec_lo, exec_lo, s19
	s_and_saveexec_b32 s19, s70
	s_cbranch_execnz .LBB272_121
.LBB272_58:                             ;   in Loop: Header=BB272_21 Depth=1
	s_or_b32 exec_lo, exec_lo, s19
	s_and_saveexec_b32 s19, s71
	s_cbranch_execnz .LBB272_122
.LBB272_59:                             ;   in Loop: Header=BB272_21 Depth=1
	s_or_b32 exec_lo, exec_lo, s19
	s_and_saveexec_b32 s19, s72
	s_cbranch_execnz .LBB272_123
.LBB272_60:                             ;   in Loop: Header=BB272_21 Depth=1
	s_or_b32 exec_lo, exec_lo, s19
	s_and_saveexec_b32 s19, s7
	s_cbranch_execnz .LBB272_124
.LBB272_61:                             ;   in Loop: Header=BB272_21 Depth=1
	s_or_b32 exec_lo, exec_lo, s19
	s_and_saveexec_b32 s19, s73
	s_cbranch_execnz .LBB272_125
.LBB272_62:                             ;   in Loop: Header=BB272_21 Depth=1
	s_or_b32 exec_lo, exec_lo, s19
	s_and_saveexec_b32 s19, s74
	s_cbranch_execnz .LBB272_126
.LBB272_63:                             ;   in Loop: Header=BB272_21 Depth=1
	s_or_b32 exec_lo, exec_lo, s19
	s_and_saveexec_b32 s19, s75
	s_cbranch_execnz .LBB272_127
.LBB272_64:                             ;   in Loop: Header=BB272_21 Depth=1
	s_or_b32 exec_lo, exec_lo, s19
	s_and_saveexec_b32 s19, s76
	s_cbranch_execnz .LBB272_128
.LBB272_65:                             ;   in Loop: Header=BB272_21 Depth=1
	s_or_b32 exec_lo, exec_lo, s19
	s_and_saveexec_b32 s19, s77
	s_cbranch_execnz .LBB272_129
.LBB272_66:                             ;   in Loop: Header=BB272_21 Depth=1
	s_or_b32 exec_lo, exec_lo, s19
	s_and_saveexec_b32 s19, s78
	s_cbranch_execnz .LBB272_130
.LBB272_67:                             ;   in Loop: Header=BB272_21 Depth=1
	s_or_b32 exec_lo, exec_lo, s19
	s_and_saveexec_b32 s19, s79
	s_cbranch_execnz .LBB272_131
.LBB272_68:                             ;   in Loop: Header=BB272_21 Depth=1
	s_or_b32 exec_lo, exec_lo, s19
	s_and_saveexec_b32 s19, s8
	s_cbranch_execnz .LBB272_132
.LBB272_69:                             ;   in Loop: Header=BB272_21 Depth=1
	s_or_b32 exec_lo, exec_lo, s19
	s_and_saveexec_b32 s19, s80
	s_cbranch_execnz .LBB272_133
.LBB272_70:                             ;   in Loop: Header=BB272_21 Depth=1
	s_or_b32 exec_lo, exec_lo, s19
	s_and_saveexec_b32 s19, s81
	s_cbranch_execnz .LBB272_134
.LBB272_71:                             ;   in Loop: Header=BB272_21 Depth=1
	s_or_b32 exec_lo, exec_lo, s19
	s_and_saveexec_b32 s19, s82
	s_cbranch_execnz .LBB272_135
.LBB272_72:                             ;   in Loop: Header=BB272_21 Depth=1
	s_or_b32 exec_lo, exec_lo, s19
	s_and_saveexec_b32 s19, s83
	s_cbranch_execnz .LBB272_136
.LBB272_73:                             ;   in Loop: Header=BB272_21 Depth=1
	s_or_b32 exec_lo, exec_lo, s19
	s_and_saveexec_b32 s19, s84
	s_cbranch_execnz .LBB272_137
.LBB272_74:                             ;   in Loop: Header=BB272_21 Depth=1
	s_or_b32 exec_lo, exec_lo, s19
	s_and_saveexec_b32 s19, s85
	s_cbranch_execnz .LBB272_138
.LBB272_75:                             ;   in Loop: Header=BB272_21 Depth=1
	s_or_b32 exec_lo, exec_lo, s19
	s_and_saveexec_b32 s19, s86
	s_cbranch_execnz .LBB272_139
.LBB272_76:                             ;   in Loop: Header=BB272_21 Depth=1
	s_or_b32 exec_lo, exec_lo, s19
	s_and_saveexec_b32 s19, s9
	s_cbranch_execnz .LBB272_140
.LBB272_77:                             ;   in Loop: Header=BB272_21 Depth=1
	s_or_b32 exec_lo, exec_lo, s19
	s_and_saveexec_b32 s19, s4
	s_cbranch_execnz .LBB272_141
.LBB272_78:                             ;   in Loop: Header=BB272_21 Depth=1
	s_or_b32 exec_lo, exec_lo, s19
	s_and_saveexec_b32 s19, s5
	s_cbranch_execnz .LBB272_142
.LBB272_79:                             ;   in Loop: Header=BB272_21 Depth=1
	s_or_b32 exec_lo, exec_lo, s19
	s_and_saveexec_b32 s19, s10
	s_cbranch_execnz .LBB272_143
.LBB272_80:                             ;   in Loop: Header=BB272_21 Depth=1
	s_or_b32 exec_lo, exec_lo, s19
	s_and_saveexec_b32 s19, s11
	s_cbranch_execnz .LBB272_144
.LBB272_81:                             ;   in Loop: Header=BB272_21 Depth=1
	s_or_b32 exec_lo, exec_lo, s19
	s_and_saveexec_b32 s19, s12
	s_cbranch_execnz .LBB272_145
.LBB272_82:                             ;   in Loop: Header=BB272_21 Depth=1
	s_or_b32 exec_lo, exec_lo, s19
	s_and_saveexec_b32 s19, s13
	s_cbranch_execnz .LBB272_146
.LBB272_83:                             ;   in Loop: Header=BB272_21 Depth=1
	s_or_b32 exec_lo, exec_lo, s19
	s_and_saveexec_b32 s19, s14
	s_cbranch_execnz .LBB272_147
.LBB272_84:                             ;   in Loop: Header=BB272_21 Depth=1
	s_or_b32 exec_lo, exec_lo, s19
	s_and_saveexec_b32 s19, s15
	s_cbranch_execz .LBB272_20
	s_branch .LBB272_148
.LBB272_85:                             ;   in Loop: Header=BB272_21 Depth=1
	v_add_nc_u32_e32 v35, s35, v32
	v_add_nc_u32_e32 v39, v0, v31
	v_ashrrev_i32_e32 v36, 31, v35
	v_ashrrev_i32_e32 v40, 31, v39
	v_lshlrev_b64 v[35:36], 4, v[35:36]
	v_lshlrev_b64 v[41:42], 2, v[39:40]
	;; [unrolled: 1-line block ×3, first 2 shown]
	v_add_co_u32 v35, s0, s22, v35
	v_add_co_ci_u32_e64 v36, null, s23, v36, s0
	v_add_co_u32 v41, s0, s24, v41
	v_add_co_ci_u32_e64 v42, null, s25, v42, s0
	global_load_dwordx4 v[35:38], v[35:36], off
	v_add_co_u32 v39, s0, s20, v39
	v_add_co_ci_u32_e64 v40, null, s21, v40, s0
	global_store_dword v[41:42], v34, off
	s_waitcnt vmcnt(0)
	global_store_dwordx4 v[39:40], v[35:38], off
	s_or_b32 exec_lo, exec_lo, s26
	v_add_nc_u32_e32 v33, s19, v18
	s_and_saveexec_b32 s26, s37
	s_cbranch_execz .LBB272_23
.LBB272_86:                             ;   in Loop: Header=BB272_21 Depth=1
	v_add3_u32 v35, v1, s35, 32
	v_add_nc_u32_e32 v36, s35, v9
	v_add3_u32 v39, v0, v31, 32
	v_cndmask_b32_e32 v35, v36, v35, vcc_lo
	v_ashrrev_i32_e32 v40, 31, v39
	v_ashrrev_i32_e32 v36, 31, v35
	v_lshlrev_b64 v[41:42], 2, v[39:40]
	v_lshlrev_b64 v[39:40], 4, v[39:40]
	;; [unrolled: 1-line block ×3, first 2 shown]
	v_add_co_u32 v35, s0, s22, v35
	v_add_co_ci_u32_e64 v36, null, s23, v36, s0
	v_add_co_u32 v41, s0, s24, v41
	v_add_co_ci_u32_e64 v42, null, s25, v42, s0
	global_load_dwordx4 v[35:38], v[35:36], off
	v_add_co_u32 v39, s0, s20, v39
	v_add_co_ci_u32_e64 v40, null, s21, v40, s0
	global_store_dword v[41:42], v33, off
	s_waitcnt vmcnt(0)
	global_store_dwordx4 v[39:40], v[35:38], off
	s_or_b32 exec_lo, exec_lo, s26
	v_add_nc_u32_e32 v35, s19, v19
	s_and_saveexec_b32 s26, s38
	s_cbranch_execz .LBB272_24
.LBB272_87:                             ;   in Loop: Header=BB272_21 Depth=1
	v_add3_u32 v36, v1, s35, 64
	v_add_nc_u32_e32 v37, s35, v8
	v_add3_u32 v40, v0, v31, 64
	v_cndmask_b32_e32 v36, v37, v36, vcc_lo
	v_ashrrev_i32_e32 v41, 31, v40
	v_ashrrev_i32_e32 v37, 31, v36
	v_lshlrev_b64 v[42:43], 2, v[40:41]
	v_lshlrev_b64 v[40:41], 4, v[40:41]
	;; [unrolled: 1-line block ×3, first 2 shown]
	v_add_co_u32 v36, s0, s22, v36
	v_add_co_ci_u32_e64 v37, null, s23, v37, s0
	v_add_co_u32 v42, s0, s24, v42
	v_add_co_ci_u32_e64 v43, null, s25, v43, s0
	global_load_dwordx4 v[36:39], v[36:37], off
	v_add_co_u32 v40, s0, s20, v40
	v_add_co_ci_u32_e64 v41, null, s21, v41, s0
	global_store_dword v[42:43], v35, off
	s_waitcnt vmcnt(0)
	global_store_dwordx4 v[40:41], v[36:39], off
	s_or_b32 exec_lo, exec_lo, s26
	v_add_nc_u32_e32 v36, s19, v20
	s_and_saveexec_b32 s26, s39
	s_cbranch_execz .LBB272_25
.LBB272_88:                             ;   in Loop: Header=BB272_21 Depth=1
	v_add3_u32 v37, v1, s35, 0x60
	v_add_nc_u32_e32 v38, s35, v7
	v_add3_u32 v41, v0, v31, 0x60
	v_cndmask_b32_e32 v37, v38, v37, vcc_lo
	v_ashrrev_i32_e32 v42, 31, v41
	v_ashrrev_i32_e32 v38, 31, v37
	v_lshlrev_b64 v[43:44], 2, v[41:42]
	v_lshlrev_b64 v[41:42], 4, v[41:42]
	;; [unrolled: 1-line block ×3, first 2 shown]
	v_add_co_u32 v37, s0, s22, v37
	v_add_co_ci_u32_e64 v38, null, s23, v38, s0
	v_add_co_u32 v43, s0, s24, v43
	v_add_co_ci_u32_e64 v44, null, s25, v44, s0
	global_load_dwordx4 v[37:40], v[37:38], off
	v_add_co_u32 v41, s0, s20, v41
	v_add_co_ci_u32_e64 v42, null, s21, v42, s0
	global_store_dword v[43:44], v36, off
	s_waitcnt vmcnt(0)
	global_store_dwordx4 v[41:42], v[37:40], off
	s_or_b32 exec_lo, exec_lo, s26
	v_add_nc_u32_e32 v37, s19, v21
	s_and_saveexec_b32 s26, s40
	s_cbranch_execz .LBB272_26
.LBB272_89:                             ;   in Loop: Header=BB272_21 Depth=1
	v_add3_u32 v38, v1, s35, 0x80
	v_add_nc_u32_e32 v39, s35, v6
	v_add3_u32 v42, v0, v31, 0x80
	v_cndmask_b32_e32 v38, v39, v38, vcc_lo
	v_ashrrev_i32_e32 v43, 31, v42
	v_ashrrev_i32_e32 v39, 31, v38
	v_lshlrev_b64 v[44:45], 2, v[42:43]
	v_lshlrev_b64 v[42:43], 4, v[42:43]
	;; [unrolled: 1-line block ×3, first 2 shown]
	v_add_co_u32 v38, s0, s22, v38
	v_add_co_ci_u32_e64 v39, null, s23, v39, s0
	v_add_co_u32 v44, s0, s24, v44
	v_add_co_ci_u32_e64 v45, null, s25, v45, s0
	global_load_dwordx4 v[38:41], v[38:39], off
	v_add_co_u32 v42, s0, s20, v42
	v_add_co_ci_u32_e64 v43, null, s21, v43, s0
	global_store_dword v[44:45], v37, off
	s_waitcnt vmcnt(0)
	global_store_dwordx4 v[42:43], v[38:41], off
	s_or_b32 exec_lo, exec_lo, s26
	v_add_nc_u32_e32 v38, s19, v22
	s_and_saveexec_b32 s26, s41
	s_cbranch_execz .LBB272_27
.LBB272_90:                             ;   in Loop: Header=BB272_21 Depth=1
	v_add3_u32 v39, v1, s35, 0xa0
	v_add_nc_u32_e32 v40, s35, v5
	v_add3_u32 v43, v0, v31, 0xa0
	v_cndmask_b32_e32 v39, v40, v39, vcc_lo
	v_ashrrev_i32_e32 v44, 31, v43
	v_ashrrev_i32_e32 v40, 31, v39
	v_lshlrev_b64 v[45:46], 2, v[43:44]
	v_lshlrev_b64 v[43:44], 4, v[43:44]
	;; [unrolled: 1-line block ×3, first 2 shown]
	v_add_co_u32 v39, s0, s22, v39
	v_add_co_ci_u32_e64 v40, null, s23, v40, s0
	v_add_co_u32 v45, s0, s24, v45
	v_add_co_ci_u32_e64 v46, null, s25, v46, s0
	global_load_dwordx4 v[39:42], v[39:40], off
	v_add_co_u32 v43, s0, s20, v43
	v_add_co_ci_u32_e64 v44, null, s21, v44, s0
	global_store_dword v[45:46], v38, off
	s_waitcnt vmcnt(0)
	global_store_dwordx4 v[43:44], v[39:42], off
	s_or_b32 exec_lo, exec_lo, s26
	v_add_nc_u32_e32 v39, s19, v23
	s_and_saveexec_b32 s26, s42
	s_cbranch_execz .LBB272_28
.LBB272_91:                             ;   in Loop: Header=BB272_21 Depth=1
	v_add3_u32 v40, v1, s35, 0xc0
	v_add_nc_u32_e32 v41, s35, v4
	v_add3_u32 v44, v0, v31, 0xc0
	v_cndmask_b32_e32 v40, v41, v40, vcc_lo
	v_ashrrev_i32_e32 v45, 31, v44
	v_ashrrev_i32_e32 v41, 31, v40
	v_lshlrev_b64 v[46:47], 2, v[44:45]
	v_lshlrev_b64 v[44:45], 4, v[44:45]
	;; [unrolled: 1-line block ×3, first 2 shown]
	v_add_co_u32 v40, s0, s22, v40
	v_add_co_ci_u32_e64 v41, null, s23, v41, s0
	v_add_co_u32 v46, s0, s24, v46
	v_add_co_ci_u32_e64 v47, null, s25, v47, s0
	global_load_dwordx4 v[40:43], v[40:41], off
	v_add_co_u32 v44, s0, s20, v44
	v_add_co_ci_u32_e64 v45, null, s21, v45, s0
	global_store_dword v[46:47], v39, off
	s_waitcnt vmcnt(0)
	global_store_dwordx4 v[44:45], v[40:43], off
	s_or_b32 exec_lo, exec_lo, s26
	v_add_nc_u32_e32 v40, s19, v24
	s_and_saveexec_b32 s19, s43
	s_cbranch_execz .LBB272_29
.LBB272_92:                             ;   in Loop: Header=BB272_21 Depth=1
	v_add3_u32 v41, v1, s35, 0xe0
	v_add_nc_u32_e32 v42, s35, v3
	v_add3_u32 v45, v0, v31, 0xe0
	v_cndmask_b32_e32 v41, v42, v41, vcc_lo
	v_ashrrev_i32_e32 v46, 31, v45
	v_ashrrev_i32_e32 v42, 31, v41
	v_lshlrev_b64 v[47:48], 2, v[45:46]
	v_lshlrev_b64 v[45:46], 4, v[45:46]
	;; [unrolled: 1-line block ×3, first 2 shown]
	v_add_co_u32 v41, s0, s22, v41
	v_add_co_ci_u32_e64 v42, null, s23, v42, s0
	v_add_co_u32 v47, s0, s24, v47
	v_add_co_ci_u32_e64 v48, null, s25, v48, s0
	global_load_dwordx4 v[41:44], v[41:42], off
	v_add_co_u32 v45, s0, s20, v45
	v_add_co_ci_u32_e64 v46, null, s21, v46, s0
	global_store_dword v[47:48], v40, off
	s_waitcnt vmcnt(0)
	global_store_dwordx4 v[45:46], v[41:44], off
	s_or_b32 exec_lo, exec_lo, s19
	s_and_saveexec_b32 s19, s44
	s_cbranch_execz .LBB272_30
.LBB272_93:                             ;   in Loop: Header=BB272_21 Depth=1
	v_add_nc_u32_e32 v41, s35, v10
	v_add3_u32 v42, v2, s35, 32
	v_add_nc_u32_e32 v45, v0, v30
	v_cndmask_b32_e32 v41, v42, v41, vcc_lo
	v_ashrrev_i32_e32 v46, 31, v45
	v_ashrrev_i32_e32 v42, 31, v41
	v_lshlrev_b64 v[47:48], 2, v[45:46]
	v_lshlrev_b64 v[45:46], 4, v[45:46]
	v_lshlrev_b64 v[41:42], 4, v[41:42]
	v_add_co_u32 v41, s0, s22, v41
	v_add_co_ci_u32_e64 v42, null, s23, v42, s0
	v_add_co_u32 v47, s0, s24, v47
	v_add_co_ci_u32_e64 v48, null, s25, v48, s0
	global_load_dwordx4 v[41:44], v[41:42], off
	v_add_co_u32 v45, s0, s20, v45
	v_add_co_ci_u32_e64 v46, null, s21, v46, s0
	global_store_dword v[47:48], v34, off
	s_waitcnt vmcnt(0)
	global_store_dwordx4 v[45:46], v[41:44], off
	s_or_b32 exec_lo, exec_lo, s19
	s_and_saveexec_b32 s19, s45
	s_cbranch_execz .LBB272_31
.LBB272_94:                             ;   in Loop: Header=BB272_21 Depth=1
	v_cndmask_b32_e32 v41, v9, v10, vcc_lo
	v_add3_u32 v45, v0, v30, 32
	v_add3_u32 v41, v41, s35, 32
	v_ashrrev_i32_e32 v46, 31, v45
	v_ashrrev_i32_e32 v42, 31, v41
	v_lshlrev_b64 v[47:48], 2, v[45:46]
	v_lshlrev_b64 v[45:46], 4, v[45:46]
	;; [unrolled: 1-line block ×3, first 2 shown]
	v_add_co_u32 v41, s0, s22, v41
	v_add_co_ci_u32_e64 v42, null, s23, v42, s0
	v_add_co_u32 v47, s0, s24, v47
	v_add_co_ci_u32_e64 v48, null, s25, v48, s0
	global_load_dwordx4 v[41:44], v[41:42], off
	v_add_co_u32 v45, s0, s20, v45
	v_add_co_ci_u32_e64 v46, null, s21, v46, s0
	global_store_dword v[47:48], v33, off
	s_waitcnt vmcnt(0)
	global_store_dwordx4 v[45:46], v[41:44], off
	s_or_b32 exec_lo, exec_lo, s19
	s_and_saveexec_b32 s19, s46
	s_cbranch_execz .LBB272_32
.LBB272_95:                             ;   in Loop: Header=BB272_21 Depth=1
	v_add3_u32 v41, v10, s35, 64
	v_add3_u32 v42, v8, s35, 32
	;; [unrolled: 1-line block ×3, first 2 shown]
	v_cndmask_b32_e32 v41, v42, v41, vcc_lo
	v_ashrrev_i32_e32 v46, 31, v45
	v_ashrrev_i32_e32 v42, 31, v41
	v_lshlrev_b64 v[47:48], 2, v[45:46]
	v_lshlrev_b64 v[45:46], 4, v[45:46]
	;; [unrolled: 1-line block ×3, first 2 shown]
	v_add_co_u32 v41, s0, s22, v41
	v_add_co_ci_u32_e64 v42, null, s23, v42, s0
	v_add_co_u32 v47, s0, s24, v47
	v_add_co_ci_u32_e64 v48, null, s25, v48, s0
	global_load_dwordx4 v[41:44], v[41:42], off
	v_add_co_u32 v45, s0, s20, v45
	v_add_co_ci_u32_e64 v46, null, s21, v46, s0
	global_store_dword v[47:48], v35, off
	s_waitcnt vmcnt(0)
	global_store_dwordx4 v[45:46], v[41:44], off
	s_or_b32 exec_lo, exec_lo, s19
	s_and_saveexec_b32 s19, s47
	s_cbranch_execz .LBB272_33
.LBB272_96:                             ;   in Loop: Header=BB272_21 Depth=1
	v_add3_u32 v41, v10, s35, 0x60
	v_add3_u32 v42, v7, s35, 32
	;; [unrolled: 1-line block ×3, first 2 shown]
	v_cndmask_b32_e32 v41, v42, v41, vcc_lo
	v_ashrrev_i32_e32 v46, 31, v45
	v_ashrrev_i32_e32 v42, 31, v41
	v_lshlrev_b64 v[47:48], 2, v[45:46]
	v_lshlrev_b64 v[45:46], 4, v[45:46]
	;; [unrolled: 1-line block ×3, first 2 shown]
	v_add_co_u32 v41, s0, s22, v41
	v_add_co_ci_u32_e64 v42, null, s23, v42, s0
	v_add_co_u32 v47, s0, s24, v47
	v_add_co_ci_u32_e64 v48, null, s25, v48, s0
	global_load_dwordx4 v[41:44], v[41:42], off
	v_add_co_u32 v45, s0, s20, v45
	v_add_co_ci_u32_e64 v46, null, s21, v46, s0
	global_store_dword v[47:48], v36, off
	s_waitcnt vmcnt(0)
	global_store_dwordx4 v[45:46], v[41:44], off
	s_or_b32 exec_lo, exec_lo, s19
	s_and_saveexec_b32 s19, s48
	s_cbranch_execz .LBB272_34
.LBB272_97:                             ;   in Loop: Header=BB272_21 Depth=1
	v_add3_u32 v41, v10, s35, 0x80
	v_add3_u32 v42, v6, s35, 32
	;; [unrolled: 1-line block ×3, first 2 shown]
	v_cndmask_b32_e32 v41, v42, v41, vcc_lo
	v_ashrrev_i32_e32 v46, 31, v45
	v_ashrrev_i32_e32 v42, 31, v41
	v_lshlrev_b64 v[47:48], 2, v[45:46]
	v_lshlrev_b64 v[45:46], 4, v[45:46]
	;; [unrolled: 1-line block ×3, first 2 shown]
	v_add_co_u32 v41, s0, s22, v41
	v_add_co_ci_u32_e64 v42, null, s23, v42, s0
	v_add_co_u32 v47, s0, s24, v47
	v_add_co_ci_u32_e64 v48, null, s25, v48, s0
	global_load_dwordx4 v[41:44], v[41:42], off
	v_add_co_u32 v45, s0, s20, v45
	v_add_co_ci_u32_e64 v46, null, s21, v46, s0
	global_store_dword v[47:48], v37, off
	s_waitcnt vmcnt(0)
	global_store_dwordx4 v[45:46], v[41:44], off
	s_or_b32 exec_lo, exec_lo, s19
	s_and_saveexec_b32 s19, s49
	s_cbranch_execz .LBB272_35
.LBB272_98:                             ;   in Loop: Header=BB272_21 Depth=1
	v_add3_u32 v41, v10, s35, 0xa0
	v_add3_u32 v42, v5, s35, 32
	v_add3_u32 v45, v0, v30, 0xa0
	v_cndmask_b32_e32 v41, v42, v41, vcc_lo
	v_ashrrev_i32_e32 v46, 31, v45
	v_ashrrev_i32_e32 v42, 31, v41
	v_lshlrev_b64 v[47:48], 2, v[45:46]
	v_lshlrev_b64 v[45:46], 4, v[45:46]
	;; [unrolled: 1-line block ×3, first 2 shown]
	v_add_co_u32 v41, s0, s22, v41
	v_add_co_ci_u32_e64 v42, null, s23, v42, s0
	v_add_co_u32 v47, s0, s24, v47
	v_add_co_ci_u32_e64 v48, null, s25, v48, s0
	global_load_dwordx4 v[41:44], v[41:42], off
	v_add_co_u32 v45, s0, s20, v45
	v_add_co_ci_u32_e64 v46, null, s21, v46, s0
	global_store_dword v[47:48], v38, off
	s_waitcnt vmcnt(0)
	global_store_dwordx4 v[45:46], v[41:44], off
	s_or_b32 exec_lo, exec_lo, s19
	s_and_saveexec_b32 s19, s50
	s_cbranch_execz .LBB272_36
.LBB272_99:                             ;   in Loop: Header=BB272_21 Depth=1
	v_add3_u32 v41, v10, s35, 0xc0
	v_add3_u32 v42, v4, s35, 32
	;; [unrolled: 1-line block ×3, first 2 shown]
	v_cndmask_b32_e32 v41, v42, v41, vcc_lo
	v_ashrrev_i32_e32 v46, 31, v45
	v_ashrrev_i32_e32 v42, 31, v41
	v_lshlrev_b64 v[47:48], 2, v[45:46]
	v_lshlrev_b64 v[45:46], 4, v[45:46]
	;; [unrolled: 1-line block ×3, first 2 shown]
	v_add_co_u32 v41, s0, s22, v41
	v_add_co_ci_u32_e64 v42, null, s23, v42, s0
	v_add_co_u32 v47, s0, s24, v47
	v_add_co_ci_u32_e64 v48, null, s25, v48, s0
	global_load_dwordx4 v[41:44], v[41:42], off
	v_add_co_u32 v45, s0, s20, v45
	v_add_co_ci_u32_e64 v46, null, s21, v46, s0
	global_store_dword v[47:48], v39, off
	s_waitcnt vmcnt(0)
	global_store_dwordx4 v[45:46], v[41:44], off
	s_or_b32 exec_lo, exec_lo, s19
	s_and_saveexec_b32 s19, s1
	s_cbranch_execz .LBB272_37
.LBB272_100:                            ;   in Loop: Header=BB272_21 Depth=1
	v_add3_u32 v41, v10, s35, 0xe0
	v_add3_u32 v42, v3, s35, 32
	;; [unrolled: 1-line block ×3, first 2 shown]
	v_cndmask_b32_e32 v41, v42, v41, vcc_lo
	v_ashrrev_i32_e32 v46, 31, v45
	v_ashrrev_i32_e32 v42, 31, v41
	v_lshlrev_b64 v[47:48], 2, v[45:46]
	v_lshlrev_b64 v[45:46], 4, v[45:46]
	;; [unrolled: 1-line block ×3, first 2 shown]
	v_add_co_u32 v41, s0, s22, v41
	v_add_co_ci_u32_e64 v42, null, s23, v42, s0
	v_add_co_u32 v47, s0, s24, v47
	v_add_co_ci_u32_e64 v48, null, s25, v48, s0
	global_load_dwordx4 v[41:44], v[41:42], off
	v_add_co_u32 v45, s0, s20, v45
	v_add_co_ci_u32_e64 v46, null, s21, v46, s0
	global_store_dword v[47:48], v40, off
	s_waitcnt vmcnt(0)
	global_store_dwordx4 v[45:46], v[41:44], off
	s_or_b32 exec_lo, exec_lo, s19
	s_and_saveexec_b32 s19, s51
	s_cbranch_execz .LBB272_38
.LBB272_101:                            ;   in Loop: Header=BB272_21 Depth=1
	v_add_nc_u32_e32 v41, s35, v11
	v_add3_u32 v42, v2, s35, 64
	v_add_nc_u32_e32 v45, v0, v29
	v_cndmask_b32_e32 v41, v42, v41, vcc_lo
	v_ashrrev_i32_e32 v46, 31, v45
	v_ashrrev_i32_e32 v42, 31, v41
	v_lshlrev_b64 v[47:48], 2, v[45:46]
	v_lshlrev_b64 v[45:46], 4, v[45:46]
	;; [unrolled: 1-line block ×3, first 2 shown]
	v_add_co_u32 v41, s0, s22, v41
	v_add_co_ci_u32_e64 v42, null, s23, v42, s0
	v_add_co_u32 v47, s0, s24, v47
	v_add_co_ci_u32_e64 v48, null, s25, v48, s0
	global_load_dwordx4 v[41:44], v[41:42], off
	v_add_co_u32 v45, s0, s20, v45
	v_add_co_ci_u32_e64 v46, null, s21, v46, s0
	global_store_dword v[47:48], v34, off
	s_waitcnt vmcnt(0)
	global_store_dwordx4 v[45:46], v[41:44], off
	s_or_b32 exec_lo, exec_lo, s19
	s_and_saveexec_b32 s19, s52
	s_cbranch_execz .LBB272_39
.LBB272_102:                            ;   in Loop: Header=BB272_21 Depth=1
	v_add3_u32 v41, v11, s35, 32
	v_add3_u32 v42, v9, s35, 64
	;; [unrolled: 1-line block ×3, first 2 shown]
	v_cndmask_b32_e32 v41, v42, v41, vcc_lo
	v_ashrrev_i32_e32 v46, 31, v45
	v_ashrrev_i32_e32 v42, 31, v41
	v_lshlrev_b64 v[47:48], 2, v[45:46]
	v_lshlrev_b64 v[45:46], 4, v[45:46]
	;; [unrolled: 1-line block ×3, first 2 shown]
	v_add_co_u32 v41, s0, s22, v41
	v_add_co_ci_u32_e64 v42, null, s23, v42, s0
	v_add_co_u32 v47, s0, s24, v47
	v_add_co_ci_u32_e64 v48, null, s25, v48, s0
	global_load_dwordx4 v[41:44], v[41:42], off
	v_add_co_u32 v45, s0, s20, v45
	v_add_co_ci_u32_e64 v46, null, s21, v46, s0
	global_store_dword v[47:48], v33, off
	s_waitcnt vmcnt(0)
	global_store_dwordx4 v[45:46], v[41:44], off
	s_or_b32 exec_lo, exec_lo, s19
	s_and_saveexec_b32 s19, s53
	s_cbranch_execz .LBB272_40
.LBB272_103:                            ;   in Loop: Header=BB272_21 Depth=1
	v_cndmask_b32_e32 v41, v8, v11, vcc_lo
	v_add3_u32 v45, v0, v29, 64
	v_add3_u32 v41, v41, s35, 64
	v_ashrrev_i32_e32 v46, 31, v45
	v_ashrrev_i32_e32 v42, 31, v41
	v_lshlrev_b64 v[47:48], 2, v[45:46]
	v_lshlrev_b64 v[45:46], 4, v[45:46]
	;; [unrolled: 1-line block ×3, first 2 shown]
	v_add_co_u32 v41, s0, s22, v41
	v_add_co_ci_u32_e64 v42, null, s23, v42, s0
	v_add_co_u32 v47, s0, s24, v47
	v_add_co_ci_u32_e64 v48, null, s25, v48, s0
	global_load_dwordx4 v[41:44], v[41:42], off
	v_add_co_u32 v45, s0, s20, v45
	v_add_co_ci_u32_e64 v46, null, s21, v46, s0
	global_store_dword v[47:48], v35, off
	s_waitcnt vmcnt(0)
	global_store_dwordx4 v[45:46], v[41:44], off
	s_or_b32 exec_lo, exec_lo, s19
	s_and_saveexec_b32 s19, s54
	s_cbranch_execz .LBB272_41
.LBB272_104:                            ;   in Loop: Header=BB272_21 Depth=1
	v_add3_u32 v41, v11, s35, 0x60
	v_add3_u32 v42, v7, s35, 64
	;; [unrolled: 1-line block ×3, first 2 shown]
	v_cndmask_b32_e32 v41, v42, v41, vcc_lo
	v_ashrrev_i32_e32 v46, 31, v45
	v_ashrrev_i32_e32 v42, 31, v41
	v_lshlrev_b64 v[47:48], 2, v[45:46]
	v_lshlrev_b64 v[45:46], 4, v[45:46]
	;; [unrolled: 1-line block ×3, first 2 shown]
	v_add_co_u32 v41, s0, s22, v41
	v_add_co_ci_u32_e64 v42, null, s23, v42, s0
	v_add_co_u32 v47, s0, s24, v47
	v_add_co_ci_u32_e64 v48, null, s25, v48, s0
	global_load_dwordx4 v[41:44], v[41:42], off
	v_add_co_u32 v45, s0, s20, v45
	v_add_co_ci_u32_e64 v46, null, s21, v46, s0
	global_store_dword v[47:48], v36, off
	s_waitcnt vmcnt(0)
	global_store_dwordx4 v[45:46], v[41:44], off
	s_or_b32 exec_lo, exec_lo, s19
	s_and_saveexec_b32 s19, s55
	s_cbranch_execz .LBB272_42
.LBB272_105:                            ;   in Loop: Header=BB272_21 Depth=1
	v_add3_u32 v41, v11, s35, 0x80
	v_add3_u32 v42, v6, s35, 64
	v_add3_u32 v45, v0, v29, 0x80
	v_cndmask_b32_e32 v41, v42, v41, vcc_lo
	v_ashrrev_i32_e32 v46, 31, v45
	v_ashrrev_i32_e32 v42, 31, v41
	v_lshlrev_b64 v[47:48], 2, v[45:46]
	v_lshlrev_b64 v[45:46], 4, v[45:46]
	;; [unrolled: 1-line block ×3, first 2 shown]
	v_add_co_u32 v41, s0, s22, v41
	v_add_co_ci_u32_e64 v42, null, s23, v42, s0
	v_add_co_u32 v47, s0, s24, v47
	v_add_co_ci_u32_e64 v48, null, s25, v48, s0
	global_load_dwordx4 v[41:44], v[41:42], off
	v_add_co_u32 v45, s0, s20, v45
	v_add_co_ci_u32_e64 v46, null, s21, v46, s0
	global_store_dword v[47:48], v37, off
	s_waitcnt vmcnt(0)
	global_store_dwordx4 v[45:46], v[41:44], off
	s_or_b32 exec_lo, exec_lo, s19
	s_and_saveexec_b32 s19, s56
	s_cbranch_execz .LBB272_43
.LBB272_106:                            ;   in Loop: Header=BB272_21 Depth=1
	v_add3_u32 v41, v11, s35, 0xa0
	v_add3_u32 v42, v5, s35, 64
	;; [unrolled: 1-line block ×3, first 2 shown]
	v_cndmask_b32_e32 v41, v42, v41, vcc_lo
	v_ashrrev_i32_e32 v46, 31, v45
	v_ashrrev_i32_e32 v42, 31, v41
	v_lshlrev_b64 v[47:48], 2, v[45:46]
	v_lshlrev_b64 v[45:46], 4, v[45:46]
	;; [unrolled: 1-line block ×3, first 2 shown]
	v_add_co_u32 v41, s0, s22, v41
	v_add_co_ci_u32_e64 v42, null, s23, v42, s0
	v_add_co_u32 v47, s0, s24, v47
	v_add_co_ci_u32_e64 v48, null, s25, v48, s0
	global_load_dwordx4 v[41:44], v[41:42], off
	v_add_co_u32 v45, s0, s20, v45
	v_add_co_ci_u32_e64 v46, null, s21, v46, s0
	global_store_dword v[47:48], v38, off
	s_waitcnt vmcnt(0)
	global_store_dwordx4 v[45:46], v[41:44], off
	s_or_b32 exec_lo, exec_lo, s19
	s_and_saveexec_b32 s19, s57
	s_cbranch_execz .LBB272_44
.LBB272_107:                            ;   in Loop: Header=BB272_21 Depth=1
	v_add3_u32 v41, v11, s35, 0xc0
	v_add3_u32 v42, v4, s35, 64
	;; [unrolled: 1-line block ×3, first 2 shown]
	v_cndmask_b32_e32 v41, v42, v41, vcc_lo
	v_ashrrev_i32_e32 v46, 31, v45
	v_ashrrev_i32_e32 v42, 31, v41
	v_lshlrev_b64 v[47:48], 2, v[45:46]
	v_lshlrev_b64 v[45:46], 4, v[45:46]
	;; [unrolled: 1-line block ×3, first 2 shown]
	v_add_co_u32 v41, s0, s22, v41
	v_add_co_ci_u32_e64 v42, null, s23, v42, s0
	v_add_co_u32 v47, s0, s24, v47
	v_add_co_ci_u32_e64 v48, null, s25, v48, s0
	global_load_dwordx4 v[41:44], v[41:42], off
	v_add_co_u32 v45, s0, s20, v45
	v_add_co_ci_u32_e64 v46, null, s21, v46, s0
	global_store_dword v[47:48], v39, off
	s_waitcnt vmcnt(0)
	global_store_dwordx4 v[45:46], v[41:44], off
	s_or_b32 exec_lo, exec_lo, s19
	s_and_saveexec_b32 s19, s58
	s_cbranch_execz .LBB272_45
.LBB272_108:                            ;   in Loop: Header=BB272_21 Depth=1
	v_add3_u32 v41, v11, s35, 0xe0
	v_add3_u32 v42, v3, s35, 64
	;; [unrolled: 1-line block ×3, first 2 shown]
	v_cndmask_b32_e32 v41, v42, v41, vcc_lo
	v_ashrrev_i32_e32 v46, 31, v45
	v_ashrrev_i32_e32 v42, 31, v41
	v_lshlrev_b64 v[47:48], 2, v[45:46]
	v_lshlrev_b64 v[45:46], 4, v[45:46]
	;; [unrolled: 1-line block ×3, first 2 shown]
	v_add_co_u32 v41, s0, s22, v41
	v_add_co_ci_u32_e64 v42, null, s23, v42, s0
	v_add_co_u32 v47, s0, s24, v47
	v_add_co_ci_u32_e64 v48, null, s25, v48, s0
	global_load_dwordx4 v[41:44], v[41:42], off
	v_add_co_u32 v45, s0, s20, v45
	v_add_co_ci_u32_e64 v46, null, s21, v46, s0
	global_store_dword v[47:48], v40, off
	s_waitcnt vmcnt(0)
	global_store_dwordx4 v[45:46], v[41:44], off
	s_or_b32 exec_lo, exec_lo, s19
	s_and_saveexec_b32 s19, s59
	s_cbranch_execz .LBB272_46
.LBB272_109:                            ;   in Loop: Header=BB272_21 Depth=1
	v_add_nc_u32_e32 v41, s35, v12
	v_add3_u32 v42, v2, s35, 0x60
	v_add_nc_u32_e32 v45, v0, v28
	v_cndmask_b32_e32 v41, v42, v41, vcc_lo
	v_ashrrev_i32_e32 v46, 31, v45
	v_ashrrev_i32_e32 v42, 31, v41
	v_lshlrev_b64 v[47:48], 2, v[45:46]
	v_lshlrev_b64 v[45:46], 4, v[45:46]
	v_lshlrev_b64 v[41:42], 4, v[41:42]
	v_add_co_u32 v41, s0, s22, v41
	v_add_co_ci_u32_e64 v42, null, s23, v42, s0
	v_add_co_u32 v47, s0, s24, v47
	v_add_co_ci_u32_e64 v48, null, s25, v48, s0
	global_load_dwordx4 v[41:44], v[41:42], off
	v_add_co_u32 v45, s0, s20, v45
	v_add_co_ci_u32_e64 v46, null, s21, v46, s0
	global_store_dword v[47:48], v34, off
	s_waitcnt vmcnt(0)
	global_store_dwordx4 v[45:46], v[41:44], off
	s_or_b32 exec_lo, exec_lo, s19
	s_and_saveexec_b32 s19, s60
	s_cbranch_execz .LBB272_47
.LBB272_110:                            ;   in Loop: Header=BB272_21 Depth=1
	v_add3_u32 v41, v12, s35, 32
	v_add3_u32 v42, v9, s35, 0x60
	;; [unrolled: 1-line block ×3, first 2 shown]
	v_cndmask_b32_e32 v41, v42, v41, vcc_lo
	v_ashrrev_i32_e32 v46, 31, v45
	v_ashrrev_i32_e32 v42, 31, v41
	v_lshlrev_b64 v[47:48], 2, v[45:46]
	v_lshlrev_b64 v[45:46], 4, v[45:46]
	;; [unrolled: 1-line block ×3, first 2 shown]
	v_add_co_u32 v41, s0, s22, v41
	v_add_co_ci_u32_e64 v42, null, s23, v42, s0
	v_add_co_u32 v47, s0, s24, v47
	v_add_co_ci_u32_e64 v48, null, s25, v48, s0
	global_load_dwordx4 v[41:44], v[41:42], off
	v_add_co_u32 v45, s0, s20, v45
	v_add_co_ci_u32_e64 v46, null, s21, v46, s0
	global_store_dword v[47:48], v33, off
	s_waitcnt vmcnt(0)
	global_store_dwordx4 v[45:46], v[41:44], off
	s_or_b32 exec_lo, exec_lo, s19
	s_and_saveexec_b32 s19, s61
	s_cbranch_execz .LBB272_48
.LBB272_111:                            ;   in Loop: Header=BB272_21 Depth=1
	v_add3_u32 v41, v12, s35, 64
	v_add3_u32 v42, v8, s35, 0x60
	;; [unrolled: 1-line block ×3, first 2 shown]
	v_cndmask_b32_e32 v41, v42, v41, vcc_lo
	v_ashrrev_i32_e32 v46, 31, v45
	v_ashrrev_i32_e32 v42, 31, v41
	v_lshlrev_b64 v[47:48], 2, v[45:46]
	v_lshlrev_b64 v[45:46], 4, v[45:46]
	;; [unrolled: 1-line block ×3, first 2 shown]
	v_add_co_u32 v41, s0, s22, v41
	v_add_co_ci_u32_e64 v42, null, s23, v42, s0
	v_add_co_u32 v47, s0, s24, v47
	v_add_co_ci_u32_e64 v48, null, s25, v48, s0
	global_load_dwordx4 v[41:44], v[41:42], off
	v_add_co_u32 v45, s0, s20, v45
	v_add_co_ci_u32_e64 v46, null, s21, v46, s0
	global_store_dword v[47:48], v35, off
	s_waitcnt vmcnt(0)
	global_store_dwordx4 v[45:46], v[41:44], off
	s_or_b32 exec_lo, exec_lo, s19
	s_and_saveexec_b32 s19, s62
	s_cbranch_execz .LBB272_49
.LBB272_112:                            ;   in Loop: Header=BB272_21 Depth=1
	v_cndmask_b32_e32 v41, v7, v12, vcc_lo
	v_add3_u32 v45, v0, v28, 0x60
	v_add3_u32 v41, v41, s35, 0x60
	v_ashrrev_i32_e32 v46, 31, v45
	v_ashrrev_i32_e32 v42, 31, v41
	v_lshlrev_b64 v[47:48], 2, v[45:46]
	v_lshlrev_b64 v[45:46], 4, v[45:46]
	;; [unrolled: 1-line block ×3, first 2 shown]
	v_add_co_u32 v41, s0, s22, v41
	v_add_co_ci_u32_e64 v42, null, s23, v42, s0
	v_add_co_u32 v47, s0, s24, v47
	v_add_co_ci_u32_e64 v48, null, s25, v48, s0
	global_load_dwordx4 v[41:44], v[41:42], off
	v_add_co_u32 v45, s0, s20, v45
	v_add_co_ci_u32_e64 v46, null, s21, v46, s0
	global_store_dword v[47:48], v36, off
	s_waitcnt vmcnt(0)
	global_store_dwordx4 v[45:46], v[41:44], off
	s_or_b32 exec_lo, exec_lo, s19
	s_and_saveexec_b32 s19, s63
	s_cbranch_execz .LBB272_50
.LBB272_113:                            ;   in Loop: Header=BB272_21 Depth=1
	v_add3_u32 v41, v12, s35, 0x80
	v_add3_u32 v42, v6, s35, 0x60
	v_add3_u32 v45, v0, v28, 0x80
	v_cndmask_b32_e32 v41, v42, v41, vcc_lo
	v_ashrrev_i32_e32 v46, 31, v45
	v_ashrrev_i32_e32 v42, 31, v41
	v_lshlrev_b64 v[47:48], 2, v[45:46]
	v_lshlrev_b64 v[45:46], 4, v[45:46]
	;; [unrolled: 1-line block ×3, first 2 shown]
	v_add_co_u32 v41, s0, s22, v41
	v_add_co_ci_u32_e64 v42, null, s23, v42, s0
	v_add_co_u32 v47, s0, s24, v47
	v_add_co_ci_u32_e64 v48, null, s25, v48, s0
	global_load_dwordx4 v[41:44], v[41:42], off
	v_add_co_u32 v45, s0, s20, v45
	v_add_co_ci_u32_e64 v46, null, s21, v46, s0
	global_store_dword v[47:48], v37, off
	s_waitcnt vmcnt(0)
	global_store_dwordx4 v[45:46], v[41:44], off
	s_or_b32 exec_lo, exec_lo, s19
	s_and_saveexec_b32 s19, s64
	s_cbranch_execz .LBB272_51
.LBB272_114:                            ;   in Loop: Header=BB272_21 Depth=1
	v_add3_u32 v41, v12, s35, 0xa0
	v_add3_u32 v42, v5, s35, 0x60
	;; [unrolled: 1-line block ×3, first 2 shown]
	v_cndmask_b32_e32 v41, v42, v41, vcc_lo
	v_ashrrev_i32_e32 v46, 31, v45
	v_ashrrev_i32_e32 v42, 31, v41
	v_lshlrev_b64 v[47:48], 2, v[45:46]
	v_lshlrev_b64 v[45:46], 4, v[45:46]
	;; [unrolled: 1-line block ×3, first 2 shown]
	v_add_co_u32 v41, s0, s22, v41
	v_add_co_ci_u32_e64 v42, null, s23, v42, s0
	v_add_co_u32 v47, s0, s24, v47
	v_add_co_ci_u32_e64 v48, null, s25, v48, s0
	global_load_dwordx4 v[41:44], v[41:42], off
	v_add_co_u32 v45, s0, s20, v45
	v_add_co_ci_u32_e64 v46, null, s21, v46, s0
	global_store_dword v[47:48], v38, off
	s_waitcnt vmcnt(0)
	global_store_dwordx4 v[45:46], v[41:44], off
	s_or_b32 exec_lo, exec_lo, s19
	s_and_saveexec_b32 s19, s65
	s_cbranch_execz .LBB272_52
.LBB272_115:                            ;   in Loop: Header=BB272_21 Depth=1
	v_add3_u32 v41, v12, s35, 0xc0
	v_add3_u32 v42, v4, s35, 0x60
	;; [unrolled: 1-line block ×3, first 2 shown]
	v_cndmask_b32_e32 v41, v42, v41, vcc_lo
	v_ashrrev_i32_e32 v46, 31, v45
	v_ashrrev_i32_e32 v42, 31, v41
	v_lshlrev_b64 v[47:48], 2, v[45:46]
	v_lshlrev_b64 v[45:46], 4, v[45:46]
	;; [unrolled: 1-line block ×3, first 2 shown]
	v_add_co_u32 v41, s0, s22, v41
	v_add_co_ci_u32_e64 v42, null, s23, v42, s0
	v_add_co_u32 v47, s0, s24, v47
	v_add_co_ci_u32_e64 v48, null, s25, v48, s0
	global_load_dwordx4 v[41:44], v[41:42], off
	v_add_co_u32 v45, s0, s20, v45
	v_add_co_ci_u32_e64 v46, null, s21, v46, s0
	global_store_dword v[47:48], v39, off
	s_waitcnt vmcnt(0)
	global_store_dwordx4 v[45:46], v[41:44], off
	s_or_b32 exec_lo, exec_lo, s19
	s_and_saveexec_b32 s19, s6
	s_cbranch_execz .LBB272_53
.LBB272_116:                            ;   in Loop: Header=BB272_21 Depth=1
	v_add3_u32 v41, v12, s35, 0xe0
	v_add3_u32 v42, v3, s35, 0x60
	;; [unrolled: 1-line block ×3, first 2 shown]
	v_cndmask_b32_e32 v41, v42, v41, vcc_lo
	v_ashrrev_i32_e32 v46, 31, v45
	v_ashrrev_i32_e32 v42, 31, v41
	v_lshlrev_b64 v[47:48], 2, v[45:46]
	v_lshlrev_b64 v[45:46], 4, v[45:46]
	;; [unrolled: 1-line block ×3, first 2 shown]
	v_add_co_u32 v41, s0, s22, v41
	v_add_co_ci_u32_e64 v42, null, s23, v42, s0
	v_add_co_u32 v47, s0, s24, v47
	v_add_co_ci_u32_e64 v48, null, s25, v48, s0
	global_load_dwordx4 v[41:44], v[41:42], off
	v_add_co_u32 v45, s0, s20, v45
	v_add_co_ci_u32_e64 v46, null, s21, v46, s0
	global_store_dword v[47:48], v40, off
	s_waitcnt vmcnt(0)
	global_store_dwordx4 v[45:46], v[41:44], off
	s_or_b32 exec_lo, exec_lo, s19
	s_and_saveexec_b32 s19, s66
	s_cbranch_execz .LBB272_54
.LBB272_117:                            ;   in Loop: Header=BB272_21 Depth=1
	v_add_nc_u32_e32 v41, s35, v13
	v_add3_u32 v42, v2, s35, 0x80
	v_add_nc_u32_e32 v45, v0, v27
	v_cndmask_b32_e32 v41, v42, v41, vcc_lo
	v_ashrrev_i32_e32 v46, 31, v45
	v_ashrrev_i32_e32 v42, 31, v41
	v_lshlrev_b64 v[47:48], 2, v[45:46]
	v_lshlrev_b64 v[45:46], 4, v[45:46]
	;; [unrolled: 1-line block ×3, first 2 shown]
	v_add_co_u32 v41, s0, s22, v41
	v_add_co_ci_u32_e64 v42, null, s23, v42, s0
	v_add_co_u32 v47, s0, s24, v47
	v_add_co_ci_u32_e64 v48, null, s25, v48, s0
	global_load_dwordx4 v[41:44], v[41:42], off
	v_add_co_u32 v45, s0, s20, v45
	v_add_co_ci_u32_e64 v46, null, s21, v46, s0
	global_store_dword v[47:48], v34, off
	s_waitcnt vmcnt(0)
	global_store_dwordx4 v[45:46], v[41:44], off
	s_or_b32 exec_lo, exec_lo, s19
	s_and_saveexec_b32 s19, s67
	s_cbranch_execz .LBB272_55
.LBB272_118:                            ;   in Loop: Header=BB272_21 Depth=1
	v_add3_u32 v41, v13, s35, 32
	v_add3_u32 v42, v9, s35, 0x80
	;; [unrolled: 1-line block ×3, first 2 shown]
	v_cndmask_b32_e32 v41, v42, v41, vcc_lo
	v_ashrrev_i32_e32 v46, 31, v45
	v_ashrrev_i32_e32 v42, 31, v41
	v_lshlrev_b64 v[47:48], 2, v[45:46]
	v_lshlrev_b64 v[45:46], 4, v[45:46]
	;; [unrolled: 1-line block ×3, first 2 shown]
	v_add_co_u32 v41, s0, s22, v41
	v_add_co_ci_u32_e64 v42, null, s23, v42, s0
	v_add_co_u32 v47, s0, s24, v47
	v_add_co_ci_u32_e64 v48, null, s25, v48, s0
	global_load_dwordx4 v[41:44], v[41:42], off
	v_add_co_u32 v45, s0, s20, v45
	v_add_co_ci_u32_e64 v46, null, s21, v46, s0
	global_store_dword v[47:48], v33, off
	s_waitcnt vmcnt(0)
	global_store_dwordx4 v[45:46], v[41:44], off
	s_or_b32 exec_lo, exec_lo, s19
	s_and_saveexec_b32 s19, s68
	s_cbranch_execz .LBB272_56
.LBB272_119:                            ;   in Loop: Header=BB272_21 Depth=1
	v_add3_u32 v41, v13, s35, 64
	v_add3_u32 v42, v8, s35, 0x80
	;; [unrolled: 1-line block ×3, first 2 shown]
	v_cndmask_b32_e32 v41, v42, v41, vcc_lo
	v_ashrrev_i32_e32 v46, 31, v45
	v_ashrrev_i32_e32 v42, 31, v41
	v_lshlrev_b64 v[47:48], 2, v[45:46]
	v_lshlrev_b64 v[45:46], 4, v[45:46]
	;; [unrolled: 1-line block ×3, first 2 shown]
	v_add_co_u32 v41, s0, s22, v41
	v_add_co_ci_u32_e64 v42, null, s23, v42, s0
	v_add_co_u32 v47, s0, s24, v47
	v_add_co_ci_u32_e64 v48, null, s25, v48, s0
	global_load_dwordx4 v[41:44], v[41:42], off
	v_add_co_u32 v45, s0, s20, v45
	v_add_co_ci_u32_e64 v46, null, s21, v46, s0
	global_store_dword v[47:48], v35, off
	s_waitcnt vmcnt(0)
	global_store_dwordx4 v[45:46], v[41:44], off
	s_or_b32 exec_lo, exec_lo, s19
	s_and_saveexec_b32 s19, s69
	s_cbranch_execz .LBB272_57
.LBB272_120:                            ;   in Loop: Header=BB272_21 Depth=1
	v_add3_u32 v41, v13, s35, 0x60
	v_add3_u32 v42, v7, s35, 0x80
	v_add3_u32 v45, v0, v27, 0x60
	v_cndmask_b32_e32 v41, v42, v41, vcc_lo
	v_ashrrev_i32_e32 v46, 31, v45
	v_ashrrev_i32_e32 v42, 31, v41
	v_lshlrev_b64 v[47:48], 2, v[45:46]
	v_lshlrev_b64 v[45:46], 4, v[45:46]
	;; [unrolled: 1-line block ×3, first 2 shown]
	v_add_co_u32 v41, s0, s22, v41
	v_add_co_ci_u32_e64 v42, null, s23, v42, s0
	v_add_co_u32 v47, s0, s24, v47
	v_add_co_ci_u32_e64 v48, null, s25, v48, s0
	global_load_dwordx4 v[41:44], v[41:42], off
	v_add_co_u32 v45, s0, s20, v45
	v_add_co_ci_u32_e64 v46, null, s21, v46, s0
	global_store_dword v[47:48], v36, off
	s_waitcnt vmcnt(0)
	global_store_dwordx4 v[45:46], v[41:44], off
	s_or_b32 exec_lo, exec_lo, s19
	s_and_saveexec_b32 s19, s70
	s_cbranch_execz .LBB272_58
.LBB272_121:                            ;   in Loop: Header=BB272_21 Depth=1
	v_cndmask_b32_e32 v41, v6, v13, vcc_lo
	v_add3_u32 v45, v0, v27, 0x80
	v_add3_u32 v41, v41, s35, 0x80
	v_ashrrev_i32_e32 v46, 31, v45
	v_ashrrev_i32_e32 v42, 31, v41
	v_lshlrev_b64 v[47:48], 2, v[45:46]
	v_lshlrev_b64 v[45:46], 4, v[45:46]
	;; [unrolled: 1-line block ×3, first 2 shown]
	v_add_co_u32 v41, s0, s22, v41
	v_add_co_ci_u32_e64 v42, null, s23, v42, s0
	v_add_co_u32 v47, s0, s24, v47
	v_add_co_ci_u32_e64 v48, null, s25, v48, s0
	global_load_dwordx4 v[41:44], v[41:42], off
	v_add_co_u32 v45, s0, s20, v45
	v_add_co_ci_u32_e64 v46, null, s21, v46, s0
	global_store_dword v[47:48], v37, off
	s_waitcnt vmcnt(0)
	global_store_dwordx4 v[45:46], v[41:44], off
	s_or_b32 exec_lo, exec_lo, s19
	s_and_saveexec_b32 s19, s71
	s_cbranch_execz .LBB272_59
.LBB272_122:                            ;   in Loop: Header=BB272_21 Depth=1
	v_add3_u32 v41, v13, s35, 0xa0
	v_add3_u32 v42, v5, s35, 0x80
	;; [unrolled: 1-line block ×3, first 2 shown]
	v_cndmask_b32_e32 v41, v42, v41, vcc_lo
	v_ashrrev_i32_e32 v46, 31, v45
	v_ashrrev_i32_e32 v42, 31, v41
	v_lshlrev_b64 v[47:48], 2, v[45:46]
	v_lshlrev_b64 v[45:46], 4, v[45:46]
	;; [unrolled: 1-line block ×3, first 2 shown]
	v_add_co_u32 v41, s0, s22, v41
	v_add_co_ci_u32_e64 v42, null, s23, v42, s0
	v_add_co_u32 v47, s0, s24, v47
	v_add_co_ci_u32_e64 v48, null, s25, v48, s0
	global_load_dwordx4 v[41:44], v[41:42], off
	v_add_co_u32 v45, s0, s20, v45
	v_add_co_ci_u32_e64 v46, null, s21, v46, s0
	global_store_dword v[47:48], v38, off
	s_waitcnt vmcnt(0)
	global_store_dwordx4 v[45:46], v[41:44], off
	s_or_b32 exec_lo, exec_lo, s19
	s_and_saveexec_b32 s19, s72
	s_cbranch_execz .LBB272_60
.LBB272_123:                            ;   in Loop: Header=BB272_21 Depth=1
	v_add3_u32 v41, v13, s35, 0xc0
	v_add3_u32 v42, v4, s35, 0x80
	;; [unrolled: 1-line block ×3, first 2 shown]
	v_cndmask_b32_e32 v41, v42, v41, vcc_lo
	v_ashrrev_i32_e32 v46, 31, v45
	v_ashrrev_i32_e32 v42, 31, v41
	v_lshlrev_b64 v[47:48], 2, v[45:46]
	v_lshlrev_b64 v[45:46], 4, v[45:46]
	;; [unrolled: 1-line block ×3, first 2 shown]
	v_add_co_u32 v41, s0, s22, v41
	v_add_co_ci_u32_e64 v42, null, s23, v42, s0
	v_add_co_u32 v47, s0, s24, v47
	v_add_co_ci_u32_e64 v48, null, s25, v48, s0
	global_load_dwordx4 v[41:44], v[41:42], off
	v_add_co_u32 v45, s0, s20, v45
	v_add_co_ci_u32_e64 v46, null, s21, v46, s0
	global_store_dword v[47:48], v39, off
	s_waitcnt vmcnt(0)
	global_store_dwordx4 v[45:46], v[41:44], off
	s_or_b32 exec_lo, exec_lo, s19
	s_and_saveexec_b32 s19, s7
	s_cbranch_execz .LBB272_61
.LBB272_124:                            ;   in Loop: Header=BB272_21 Depth=1
	v_add3_u32 v41, v13, s35, 0xe0
	v_add3_u32 v42, v3, s35, 0x80
	;; [unrolled: 1-line block ×3, first 2 shown]
	v_cndmask_b32_e32 v41, v42, v41, vcc_lo
	v_ashrrev_i32_e32 v46, 31, v45
	v_ashrrev_i32_e32 v42, 31, v41
	v_lshlrev_b64 v[47:48], 2, v[45:46]
	v_lshlrev_b64 v[45:46], 4, v[45:46]
	;; [unrolled: 1-line block ×3, first 2 shown]
	v_add_co_u32 v41, s0, s22, v41
	v_add_co_ci_u32_e64 v42, null, s23, v42, s0
	v_add_co_u32 v47, s0, s24, v47
	v_add_co_ci_u32_e64 v48, null, s25, v48, s0
	global_load_dwordx4 v[41:44], v[41:42], off
	v_add_co_u32 v45, s0, s20, v45
	v_add_co_ci_u32_e64 v46, null, s21, v46, s0
	global_store_dword v[47:48], v40, off
	s_waitcnt vmcnt(0)
	global_store_dwordx4 v[45:46], v[41:44], off
	s_or_b32 exec_lo, exec_lo, s19
	s_and_saveexec_b32 s19, s73
	s_cbranch_execz .LBB272_62
.LBB272_125:                            ;   in Loop: Header=BB272_21 Depth=1
	v_add_nc_u32_e32 v41, s35, v14
	v_add3_u32 v42, v2, s35, 0xa0
	v_add_nc_u32_e32 v45, v0, v26
	v_cndmask_b32_e32 v41, v42, v41, vcc_lo
	v_ashrrev_i32_e32 v46, 31, v45
	v_ashrrev_i32_e32 v42, 31, v41
	v_lshlrev_b64 v[47:48], 2, v[45:46]
	v_lshlrev_b64 v[45:46], 4, v[45:46]
	v_lshlrev_b64 v[41:42], 4, v[41:42]
	v_add_co_u32 v41, s0, s22, v41
	v_add_co_ci_u32_e64 v42, null, s23, v42, s0
	v_add_co_u32 v47, s0, s24, v47
	v_add_co_ci_u32_e64 v48, null, s25, v48, s0
	global_load_dwordx4 v[41:44], v[41:42], off
	v_add_co_u32 v45, s0, s20, v45
	v_add_co_ci_u32_e64 v46, null, s21, v46, s0
	global_store_dword v[47:48], v34, off
	s_waitcnt vmcnt(0)
	global_store_dwordx4 v[45:46], v[41:44], off
	s_or_b32 exec_lo, exec_lo, s19
	s_and_saveexec_b32 s19, s74
	s_cbranch_execz .LBB272_63
.LBB272_126:                            ;   in Loop: Header=BB272_21 Depth=1
	v_add3_u32 v41, v14, s35, 32
	v_add3_u32 v42, v9, s35, 0xa0
	;; [unrolled: 1-line block ×3, first 2 shown]
	v_cndmask_b32_e32 v41, v42, v41, vcc_lo
	v_ashrrev_i32_e32 v46, 31, v45
	v_ashrrev_i32_e32 v42, 31, v41
	v_lshlrev_b64 v[47:48], 2, v[45:46]
	v_lshlrev_b64 v[45:46], 4, v[45:46]
	;; [unrolled: 1-line block ×3, first 2 shown]
	v_add_co_u32 v41, s0, s22, v41
	v_add_co_ci_u32_e64 v42, null, s23, v42, s0
	v_add_co_u32 v47, s0, s24, v47
	v_add_co_ci_u32_e64 v48, null, s25, v48, s0
	global_load_dwordx4 v[41:44], v[41:42], off
	v_add_co_u32 v45, s0, s20, v45
	v_add_co_ci_u32_e64 v46, null, s21, v46, s0
	global_store_dword v[47:48], v33, off
	s_waitcnt vmcnt(0)
	global_store_dwordx4 v[45:46], v[41:44], off
	s_or_b32 exec_lo, exec_lo, s19
	s_and_saveexec_b32 s19, s75
	s_cbranch_execz .LBB272_64
.LBB272_127:                            ;   in Loop: Header=BB272_21 Depth=1
	v_add3_u32 v41, v14, s35, 64
	v_add3_u32 v42, v8, s35, 0xa0
	;; [unrolled: 1-line block ×3, first 2 shown]
	v_cndmask_b32_e32 v41, v42, v41, vcc_lo
	v_ashrrev_i32_e32 v46, 31, v45
	v_ashrrev_i32_e32 v42, 31, v41
	v_lshlrev_b64 v[47:48], 2, v[45:46]
	v_lshlrev_b64 v[45:46], 4, v[45:46]
	;; [unrolled: 1-line block ×3, first 2 shown]
	v_add_co_u32 v41, s0, s22, v41
	v_add_co_ci_u32_e64 v42, null, s23, v42, s0
	v_add_co_u32 v47, s0, s24, v47
	v_add_co_ci_u32_e64 v48, null, s25, v48, s0
	global_load_dwordx4 v[41:44], v[41:42], off
	v_add_co_u32 v45, s0, s20, v45
	v_add_co_ci_u32_e64 v46, null, s21, v46, s0
	global_store_dword v[47:48], v35, off
	s_waitcnt vmcnt(0)
	global_store_dwordx4 v[45:46], v[41:44], off
	s_or_b32 exec_lo, exec_lo, s19
	s_and_saveexec_b32 s19, s76
	s_cbranch_execz .LBB272_65
.LBB272_128:                            ;   in Loop: Header=BB272_21 Depth=1
	v_add3_u32 v41, v14, s35, 0x60
	v_add3_u32 v42, v7, s35, 0xa0
	;; [unrolled: 1-line block ×3, first 2 shown]
	v_cndmask_b32_e32 v41, v42, v41, vcc_lo
	v_ashrrev_i32_e32 v46, 31, v45
	v_ashrrev_i32_e32 v42, 31, v41
	v_lshlrev_b64 v[47:48], 2, v[45:46]
	v_lshlrev_b64 v[45:46], 4, v[45:46]
	;; [unrolled: 1-line block ×3, first 2 shown]
	v_add_co_u32 v41, s0, s22, v41
	v_add_co_ci_u32_e64 v42, null, s23, v42, s0
	v_add_co_u32 v47, s0, s24, v47
	v_add_co_ci_u32_e64 v48, null, s25, v48, s0
	global_load_dwordx4 v[41:44], v[41:42], off
	v_add_co_u32 v45, s0, s20, v45
	v_add_co_ci_u32_e64 v46, null, s21, v46, s0
	global_store_dword v[47:48], v36, off
	s_waitcnt vmcnt(0)
	global_store_dwordx4 v[45:46], v[41:44], off
	s_or_b32 exec_lo, exec_lo, s19
	s_and_saveexec_b32 s19, s77
	s_cbranch_execz .LBB272_66
.LBB272_129:                            ;   in Loop: Header=BB272_21 Depth=1
	v_add3_u32 v41, v14, s35, 0x80
	v_add3_u32 v42, v6, s35, 0xa0
	;; [unrolled: 1-line block ×3, first 2 shown]
	v_cndmask_b32_e32 v41, v42, v41, vcc_lo
	v_ashrrev_i32_e32 v46, 31, v45
	v_ashrrev_i32_e32 v42, 31, v41
	v_lshlrev_b64 v[47:48], 2, v[45:46]
	v_lshlrev_b64 v[45:46], 4, v[45:46]
	;; [unrolled: 1-line block ×3, first 2 shown]
	v_add_co_u32 v41, s0, s22, v41
	v_add_co_ci_u32_e64 v42, null, s23, v42, s0
	v_add_co_u32 v47, s0, s24, v47
	v_add_co_ci_u32_e64 v48, null, s25, v48, s0
	global_load_dwordx4 v[41:44], v[41:42], off
	v_add_co_u32 v45, s0, s20, v45
	v_add_co_ci_u32_e64 v46, null, s21, v46, s0
	global_store_dword v[47:48], v37, off
	s_waitcnt vmcnt(0)
	global_store_dwordx4 v[45:46], v[41:44], off
	s_or_b32 exec_lo, exec_lo, s19
	s_and_saveexec_b32 s19, s78
	s_cbranch_execz .LBB272_67
.LBB272_130:                            ;   in Loop: Header=BB272_21 Depth=1
	v_cndmask_b32_e32 v41, v5, v14, vcc_lo
	v_add3_u32 v45, v0, v26, 0xa0
	v_add3_u32 v41, v41, s35, 0xa0
	v_ashrrev_i32_e32 v46, 31, v45
	v_ashrrev_i32_e32 v42, 31, v41
	v_lshlrev_b64 v[47:48], 2, v[45:46]
	v_lshlrev_b64 v[45:46], 4, v[45:46]
	;; [unrolled: 1-line block ×3, first 2 shown]
	v_add_co_u32 v41, s0, s22, v41
	v_add_co_ci_u32_e64 v42, null, s23, v42, s0
	v_add_co_u32 v47, s0, s24, v47
	v_add_co_ci_u32_e64 v48, null, s25, v48, s0
	global_load_dwordx4 v[41:44], v[41:42], off
	v_add_co_u32 v45, s0, s20, v45
	v_add_co_ci_u32_e64 v46, null, s21, v46, s0
	global_store_dword v[47:48], v38, off
	s_waitcnt vmcnt(0)
	global_store_dwordx4 v[45:46], v[41:44], off
	s_or_b32 exec_lo, exec_lo, s19
	s_and_saveexec_b32 s19, s79
	s_cbranch_execz .LBB272_68
.LBB272_131:                            ;   in Loop: Header=BB272_21 Depth=1
	v_add3_u32 v41, v14, s35, 0xc0
	v_add3_u32 v42, v4, s35, 0xa0
	;; [unrolled: 1-line block ×3, first 2 shown]
	v_cndmask_b32_e32 v41, v42, v41, vcc_lo
	v_ashrrev_i32_e32 v46, 31, v45
	v_ashrrev_i32_e32 v42, 31, v41
	v_lshlrev_b64 v[47:48], 2, v[45:46]
	v_lshlrev_b64 v[45:46], 4, v[45:46]
	;; [unrolled: 1-line block ×3, first 2 shown]
	v_add_co_u32 v41, s0, s22, v41
	v_add_co_ci_u32_e64 v42, null, s23, v42, s0
	v_add_co_u32 v47, s0, s24, v47
	v_add_co_ci_u32_e64 v48, null, s25, v48, s0
	global_load_dwordx4 v[41:44], v[41:42], off
	v_add_co_u32 v45, s0, s20, v45
	v_add_co_ci_u32_e64 v46, null, s21, v46, s0
	global_store_dword v[47:48], v39, off
	s_waitcnt vmcnt(0)
	global_store_dwordx4 v[45:46], v[41:44], off
	s_or_b32 exec_lo, exec_lo, s19
	s_and_saveexec_b32 s19, s8
	s_cbranch_execz .LBB272_69
.LBB272_132:                            ;   in Loop: Header=BB272_21 Depth=1
	v_add3_u32 v41, v14, s35, 0xe0
	v_add3_u32 v42, v3, s35, 0xa0
	;; [unrolled: 1-line block ×3, first 2 shown]
	v_cndmask_b32_e32 v41, v42, v41, vcc_lo
	v_ashrrev_i32_e32 v46, 31, v45
	v_ashrrev_i32_e32 v42, 31, v41
	v_lshlrev_b64 v[47:48], 2, v[45:46]
	v_lshlrev_b64 v[45:46], 4, v[45:46]
	v_lshlrev_b64 v[41:42], 4, v[41:42]
	v_add_co_u32 v41, s0, s22, v41
	v_add_co_ci_u32_e64 v42, null, s23, v42, s0
	v_add_co_u32 v47, s0, s24, v47
	v_add_co_ci_u32_e64 v48, null, s25, v48, s0
	global_load_dwordx4 v[41:44], v[41:42], off
	v_add_co_u32 v45, s0, s20, v45
	v_add_co_ci_u32_e64 v46, null, s21, v46, s0
	global_store_dword v[47:48], v40, off
	s_waitcnt vmcnt(0)
	global_store_dwordx4 v[45:46], v[41:44], off
	s_or_b32 exec_lo, exec_lo, s19
	s_and_saveexec_b32 s19, s80
	s_cbranch_execz .LBB272_70
.LBB272_133:                            ;   in Loop: Header=BB272_21 Depth=1
	v_add_nc_u32_e32 v41, s35, v15
	v_add3_u32 v42, v2, s35, 0xc0
	v_add_nc_u32_e32 v45, v0, v25
	v_cndmask_b32_e32 v41, v42, v41, vcc_lo
	v_ashrrev_i32_e32 v46, 31, v45
	v_ashrrev_i32_e32 v42, 31, v41
	v_lshlrev_b64 v[47:48], 2, v[45:46]
	v_lshlrev_b64 v[45:46], 4, v[45:46]
	;; [unrolled: 1-line block ×3, first 2 shown]
	v_add_co_u32 v41, s0, s22, v41
	v_add_co_ci_u32_e64 v42, null, s23, v42, s0
	v_add_co_u32 v47, s0, s24, v47
	v_add_co_ci_u32_e64 v48, null, s25, v48, s0
	global_load_dwordx4 v[41:44], v[41:42], off
	v_add_co_u32 v45, s0, s20, v45
	v_add_co_ci_u32_e64 v46, null, s21, v46, s0
	global_store_dword v[47:48], v34, off
	s_waitcnt vmcnt(0)
	global_store_dwordx4 v[45:46], v[41:44], off
	s_or_b32 exec_lo, exec_lo, s19
	s_and_saveexec_b32 s19, s81
	s_cbranch_execz .LBB272_71
.LBB272_134:                            ;   in Loop: Header=BB272_21 Depth=1
	v_add3_u32 v41, v15, s35, 32
	v_add3_u32 v42, v9, s35, 0xc0
	;; [unrolled: 1-line block ×3, first 2 shown]
	v_cndmask_b32_e32 v41, v42, v41, vcc_lo
	v_ashrrev_i32_e32 v46, 31, v45
	v_ashrrev_i32_e32 v42, 31, v41
	v_lshlrev_b64 v[47:48], 2, v[45:46]
	v_lshlrev_b64 v[45:46], 4, v[45:46]
	;; [unrolled: 1-line block ×3, first 2 shown]
	v_add_co_u32 v41, s0, s22, v41
	v_add_co_ci_u32_e64 v42, null, s23, v42, s0
	v_add_co_u32 v47, s0, s24, v47
	v_add_co_ci_u32_e64 v48, null, s25, v48, s0
	global_load_dwordx4 v[41:44], v[41:42], off
	v_add_co_u32 v45, s0, s20, v45
	v_add_co_ci_u32_e64 v46, null, s21, v46, s0
	global_store_dword v[47:48], v33, off
	s_waitcnt vmcnt(0)
	global_store_dwordx4 v[45:46], v[41:44], off
	s_or_b32 exec_lo, exec_lo, s19
	s_and_saveexec_b32 s19, s82
	s_cbranch_execz .LBB272_72
.LBB272_135:                            ;   in Loop: Header=BB272_21 Depth=1
	v_add3_u32 v41, v15, s35, 64
	v_add3_u32 v42, v8, s35, 0xc0
	;; [unrolled: 1-line block ×3, first 2 shown]
	v_cndmask_b32_e32 v41, v42, v41, vcc_lo
	v_ashrrev_i32_e32 v46, 31, v45
	v_ashrrev_i32_e32 v42, 31, v41
	v_lshlrev_b64 v[47:48], 2, v[45:46]
	v_lshlrev_b64 v[45:46], 4, v[45:46]
	;; [unrolled: 1-line block ×3, first 2 shown]
	v_add_co_u32 v41, s0, s22, v41
	v_add_co_ci_u32_e64 v42, null, s23, v42, s0
	v_add_co_u32 v47, s0, s24, v47
	v_add_co_ci_u32_e64 v48, null, s25, v48, s0
	global_load_dwordx4 v[41:44], v[41:42], off
	v_add_co_u32 v45, s0, s20, v45
	v_add_co_ci_u32_e64 v46, null, s21, v46, s0
	global_store_dword v[47:48], v35, off
	s_waitcnt vmcnt(0)
	global_store_dwordx4 v[45:46], v[41:44], off
	s_or_b32 exec_lo, exec_lo, s19
	s_and_saveexec_b32 s19, s83
	s_cbranch_execz .LBB272_73
.LBB272_136:                            ;   in Loop: Header=BB272_21 Depth=1
	v_add3_u32 v41, v15, s35, 0x60
	v_add3_u32 v42, v7, s35, 0xc0
	;; [unrolled: 1-line block ×3, first 2 shown]
	v_cndmask_b32_e32 v41, v42, v41, vcc_lo
	v_ashrrev_i32_e32 v46, 31, v45
	v_ashrrev_i32_e32 v42, 31, v41
	v_lshlrev_b64 v[47:48], 2, v[45:46]
	v_lshlrev_b64 v[45:46], 4, v[45:46]
	;; [unrolled: 1-line block ×3, first 2 shown]
	v_add_co_u32 v41, s0, s22, v41
	v_add_co_ci_u32_e64 v42, null, s23, v42, s0
	v_add_co_u32 v47, s0, s24, v47
	v_add_co_ci_u32_e64 v48, null, s25, v48, s0
	global_load_dwordx4 v[41:44], v[41:42], off
	v_add_co_u32 v45, s0, s20, v45
	v_add_co_ci_u32_e64 v46, null, s21, v46, s0
	global_store_dword v[47:48], v36, off
	s_waitcnt vmcnt(0)
	global_store_dwordx4 v[45:46], v[41:44], off
	s_or_b32 exec_lo, exec_lo, s19
	s_and_saveexec_b32 s19, s84
	s_cbranch_execz .LBB272_74
.LBB272_137:                            ;   in Loop: Header=BB272_21 Depth=1
	v_add3_u32 v41, v15, s35, 0x80
	v_add3_u32 v42, v6, s35, 0xc0
	;; [unrolled: 1-line block ×3, first 2 shown]
	v_cndmask_b32_e32 v41, v42, v41, vcc_lo
	v_ashrrev_i32_e32 v46, 31, v45
	v_ashrrev_i32_e32 v42, 31, v41
	v_lshlrev_b64 v[47:48], 2, v[45:46]
	v_lshlrev_b64 v[45:46], 4, v[45:46]
	v_lshlrev_b64 v[41:42], 4, v[41:42]
	v_add_co_u32 v41, s0, s22, v41
	v_add_co_ci_u32_e64 v42, null, s23, v42, s0
	v_add_co_u32 v47, s0, s24, v47
	v_add_co_ci_u32_e64 v48, null, s25, v48, s0
	global_load_dwordx4 v[41:44], v[41:42], off
	v_add_co_u32 v45, s0, s20, v45
	v_add_co_ci_u32_e64 v46, null, s21, v46, s0
	global_store_dword v[47:48], v37, off
	s_waitcnt vmcnt(0)
	global_store_dwordx4 v[45:46], v[41:44], off
	s_or_b32 exec_lo, exec_lo, s19
	s_and_saveexec_b32 s19, s85
	s_cbranch_execz .LBB272_75
.LBB272_138:                            ;   in Loop: Header=BB272_21 Depth=1
	v_add3_u32 v41, v15, s35, 0xa0
	v_add3_u32 v42, v5, s35, 0xc0
	;; [unrolled: 1-line block ×3, first 2 shown]
	v_cndmask_b32_e32 v41, v42, v41, vcc_lo
	v_ashrrev_i32_e32 v46, 31, v45
	v_ashrrev_i32_e32 v42, 31, v41
	v_lshlrev_b64 v[47:48], 2, v[45:46]
	v_lshlrev_b64 v[45:46], 4, v[45:46]
	;; [unrolled: 1-line block ×3, first 2 shown]
	v_add_co_u32 v41, s0, s22, v41
	v_add_co_ci_u32_e64 v42, null, s23, v42, s0
	v_add_co_u32 v47, s0, s24, v47
	v_add_co_ci_u32_e64 v48, null, s25, v48, s0
	global_load_dwordx4 v[41:44], v[41:42], off
	v_add_co_u32 v45, s0, s20, v45
	v_add_co_ci_u32_e64 v46, null, s21, v46, s0
	global_store_dword v[47:48], v38, off
	s_waitcnt vmcnt(0)
	global_store_dwordx4 v[45:46], v[41:44], off
	s_or_b32 exec_lo, exec_lo, s19
	s_and_saveexec_b32 s19, s86
	s_cbranch_execz .LBB272_76
.LBB272_139:                            ;   in Loop: Header=BB272_21 Depth=1
	v_cndmask_b32_e32 v41, v4, v15, vcc_lo
	v_add3_u32 v45, v0, v25, 0xc0
	v_add3_u32 v41, v41, s35, 0xc0
	v_ashrrev_i32_e32 v46, 31, v45
	v_ashrrev_i32_e32 v42, 31, v41
	v_lshlrev_b64 v[47:48], 2, v[45:46]
	v_lshlrev_b64 v[45:46], 4, v[45:46]
	;; [unrolled: 1-line block ×3, first 2 shown]
	v_add_co_u32 v41, s0, s22, v41
	v_add_co_ci_u32_e64 v42, null, s23, v42, s0
	v_add_co_u32 v47, s0, s24, v47
	v_add_co_ci_u32_e64 v48, null, s25, v48, s0
	global_load_dwordx4 v[41:44], v[41:42], off
	v_add_co_u32 v45, s0, s20, v45
	v_add_co_ci_u32_e64 v46, null, s21, v46, s0
	global_store_dword v[47:48], v39, off
	s_waitcnt vmcnt(0)
	global_store_dwordx4 v[45:46], v[41:44], off
	s_or_b32 exec_lo, exec_lo, s19
	s_and_saveexec_b32 s19, s9
	s_cbranch_execz .LBB272_77
.LBB272_140:                            ;   in Loop: Header=BB272_21 Depth=1
	v_add3_u32 v41, v15, s35, 0xe0
	v_add3_u32 v42, v3, s35, 0xc0
	;; [unrolled: 1-line block ×3, first 2 shown]
	v_cndmask_b32_e32 v41, v42, v41, vcc_lo
	v_ashrrev_i32_e32 v46, 31, v45
	v_ashrrev_i32_e32 v42, 31, v41
	v_lshlrev_b64 v[47:48], 2, v[45:46]
	v_lshlrev_b64 v[45:46], 4, v[45:46]
	;; [unrolled: 1-line block ×3, first 2 shown]
	v_add_co_u32 v41, s0, s22, v41
	v_add_co_ci_u32_e64 v42, null, s23, v42, s0
	v_add_co_u32 v47, s0, s24, v47
	v_add_co_ci_u32_e64 v48, null, s25, v48, s0
	global_load_dwordx4 v[41:44], v[41:42], off
	v_add_co_u32 v45, s0, s20, v45
	v_add_co_ci_u32_e64 v46, null, s21, v46, s0
	global_store_dword v[47:48], v40, off
	s_waitcnt vmcnt(0)
	global_store_dwordx4 v[45:46], v[41:44], off
	s_or_b32 exec_lo, exec_lo, s19
	s_and_saveexec_b32 s19, s4
	s_cbranch_execz .LBB272_78
.LBB272_141:                            ;   in Loop: Header=BB272_21 Depth=1
	v_add_nc_u32_e32 v41, s35, v16
	v_add3_u32 v42, v2, s35, 0xe0
	v_add_nc_u32_e32 v45, v0, v17
	v_cndmask_b32_e32 v41, v42, v41, vcc_lo
	v_ashrrev_i32_e32 v46, 31, v45
	v_ashrrev_i32_e32 v42, 31, v41
	v_lshlrev_b64 v[47:48], 2, v[45:46]
	v_lshlrev_b64 v[45:46], 4, v[45:46]
	;; [unrolled: 1-line block ×3, first 2 shown]
	v_add_co_u32 v41, s0, s22, v41
	v_add_co_ci_u32_e64 v42, null, s23, v42, s0
	v_add_co_u32 v47, s0, s24, v47
	v_add_co_ci_u32_e64 v48, null, s25, v48, s0
	global_load_dwordx4 v[41:44], v[41:42], off
	v_add_co_u32 v45, s0, s20, v45
	v_add_co_ci_u32_e64 v46, null, s21, v46, s0
	global_store_dword v[47:48], v34, off
	s_waitcnt vmcnt(0)
	global_store_dwordx4 v[45:46], v[41:44], off
	s_or_b32 exec_lo, exec_lo, s19
	s_and_saveexec_b32 s19, s5
	s_cbranch_execz .LBB272_79
.LBB272_142:                            ;   in Loop: Header=BB272_21 Depth=1
	v_add3_u32 v34, v16, s35, 32
	v_add3_u32 v41, v9, s35, 0xe0
	;; [unrolled: 1-line block ×3, first 2 shown]
	v_cndmask_b32_e32 v41, v41, v34, vcc_lo
	v_ashrrev_i32_e32 v46, 31, v45
	v_ashrrev_i32_e32 v42, 31, v41
	v_lshlrev_b64 v[47:48], 2, v[45:46]
	v_lshlrev_b64 v[45:46], 4, v[45:46]
	v_lshlrev_b64 v[41:42], 4, v[41:42]
	v_add_co_u32 v41, s0, s22, v41
	v_add_co_ci_u32_e64 v42, null, s23, v42, s0
	v_add_co_u32 v47, s0, s24, v47
	v_add_co_ci_u32_e64 v48, null, s25, v48, s0
	global_load_dwordx4 v[41:44], v[41:42], off
	v_add_co_u32 v45, s0, s20, v45
	v_add_co_ci_u32_e64 v46, null, s21, v46, s0
	global_store_dword v[47:48], v33, off
	s_waitcnt vmcnt(0)
	global_store_dwordx4 v[45:46], v[41:44], off
	s_or_b32 exec_lo, exec_lo, s19
	s_and_saveexec_b32 s19, s10
	s_cbranch_execz .LBB272_80
.LBB272_143:                            ;   in Loop: Header=BB272_21 Depth=1
	v_add3_u32 v33, v16, s35, 64
	v_add3_u32 v34, v8, s35, 0xe0
	v_cndmask_b32_e32 v33, v34, v33, vcc_lo
	v_ashrrev_i32_e32 v34, 31, v33
	v_lshlrev_b64 v[33:34], 4, v[33:34]
	v_add_co_u32 v33, s0, s22, v33
	v_add_co_ci_u32_e64 v34, null, s23, v34, s0
	global_load_dwordx4 v[41:44], v[33:34], off
	v_add3_u32 v33, v0, v17, 64
	v_ashrrev_i32_e32 v34, 31, v33
	v_lshlrev_b64 v[45:46], 2, v[33:34]
	v_lshlrev_b64 v[33:34], 4, v[33:34]
	v_add_co_u32 v45, s0, s24, v45
	v_add_co_ci_u32_e64 v46, null, s25, v46, s0
	v_add_co_u32 v33, s0, s20, v33
	v_add_co_ci_u32_e64 v34, null, s21, v34, s0
	global_store_dword v[45:46], v35, off
	s_waitcnt vmcnt(0)
	global_store_dwordx4 v[33:34], v[41:44], off
	s_or_b32 exec_lo, exec_lo, s19
	s_and_saveexec_b32 s19, s11
	s_cbranch_execz .LBB272_81
.LBB272_144:                            ;   in Loop: Header=BB272_21 Depth=1
	v_add3_u32 v33, v16, s35, 0x60
	v_add3_u32 v34, v7, s35, 0xe0
	v_cndmask_b32_e32 v33, v34, v33, vcc_lo
	v_ashrrev_i32_e32 v34, 31, v33
	v_lshlrev_b64 v[33:34], 4, v[33:34]
	v_add_co_u32 v33, s0, s22, v33
	v_add_co_ci_u32_e64 v34, null, s23, v34, s0
	global_load_dwordx4 v[41:44], v[33:34], off
	v_add3_u32 v33, v0, v17, 0x60
	v_ashrrev_i32_e32 v34, 31, v33
	v_lshlrev_b64 v[45:46], 2, v[33:34]
	v_lshlrev_b64 v[33:34], 4, v[33:34]
	v_add_co_u32 v45, s0, s24, v45
	v_add_co_ci_u32_e64 v46, null, s25, v46, s0
	v_add_co_u32 v33, s0, s20, v33
	v_add_co_ci_u32_e64 v34, null, s21, v34, s0
	global_store_dword v[45:46], v36, off
	s_waitcnt vmcnt(0)
	global_store_dwordx4 v[33:34], v[41:44], off
	s_or_b32 exec_lo, exec_lo, s19
	s_and_saveexec_b32 s19, s12
	s_cbranch_execz .LBB272_82
.LBB272_145:                            ;   in Loop: Header=BB272_21 Depth=1
	v_add3_u32 v33, v16, s35, 0x80
	v_add3_u32 v34, v6, s35, 0xe0
	;; [unrolled: 1-line block ×3, first 2 shown]
	v_cndmask_b32_e32 v33, v34, v33, vcc_lo
	v_ashrrev_i32_e32 v42, 31, v41
	v_ashrrev_i32_e32 v34, 31, v33
	v_lshlrev_b64 v[43:44], 2, v[41:42]
	v_lshlrev_b64 v[41:42], 4, v[41:42]
	v_lshlrev_b64 v[33:34], 4, v[33:34]
	v_add_co_u32 v33, s0, s22, v33
	v_add_co_ci_u32_e64 v34, null, s23, v34, s0
	v_add_co_u32 v43, s0, s24, v43
	v_add_co_ci_u32_e64 v44, null, s25, v44, s0
	global_load_dwordx4 v[33:36], v[33:34], off
	v_add_co_u32 v41, s0, s20, v41
	v_add_co_ci_u32_e64 v42, null, s21, v42, s0
	global_store_dword v[43:44], v37, off
	s_waitcnt vmcnt(0)
	global_store_dwordx4 v[41:42], v[33:36], off
	s_or_b32 exec_lo, exec_lo, s19
	s_and_saveexec_b32 s19, s13
	s_cbranch_execz .LBB272_83
.LBB272_146:                            ;   in Loop: Header=BB272_21 Depth=1
	v_add3_u32 v33, v16, s35, 0xa0
	v_add3_u32 v34, v5, s35, 0xe0
	;; [unrolled: 1-line block ×3, first 2 shown]
	v_cndmask_b32_e32 v33, v34, v33, vcc_lo
	v_ashrrev_i32_e32 v42, 31, v41
	v_ashrrev_i32_e32 v34, 31, v33
	v_lshlrev_b64 v[43:44], 2, v[41:42]
	v_lshlrev_b64 v[41:42], 4, v[41:42]
	;; [unrolled: 1-line block ×3, first 2 shown]
	v_add_co_u32 v33, s0, s22, v33
	v_add_co_ci_u32_e64 v34, null, s23, v34, s0
	v_add_co_u32 v43, s0, s24, v43
	v_add_co_ci_u32_e64 v44, null, s25, v44, s0
	global_load_dwordx4 v[33:36], v[33:34], off
	v_add_co_u32 v41, s0, s20, v41
	v_add_co_ci_u32_e64 v42, null, s21, v42, s0
	global_store_dword v[43:44], v38, off
	s_waitcnt vmcnt(0)
	global_store_dwordx4 v[41:42], v[33:36], off
	s_or_b32 exec_lo, exec_lo, s19
	s_and_saveexec_b32 s19, s14
	s_cbranch_execz .LBB272_84
.LBB272_147:                            ;   in Loop: Header=BB272_21 Depth=1
	v_add3_u32 v33, v16, s35, 0xc0
	v_add3_u32 v34, v4, s35, 0xe0
	;; [unrolled: 1-line block ×3, first 2 shown]
	v_cndmask_b32_e32 v33, v34, v33, vcc_lo
	v_ashrrev_i32_e32 v38, 31, v37
	v_ashrrev_i32_e32 v34, 31, v33
	v_lshlrev_b64 v[41:42], 2, v[37:38]
	v_lshlrev_b64 v[37:38], 4, v[37:38]
	;; [unrolled: 1-line block ×3, first 2 shown]
	v_add_co_u32 v33, s0, s22, v33
	v_add_co_ci_u32_e64 v34, null, s23, v34, s0
	v_add_co_u32 v41, s0, s24, v41
	v_add_co_ci_u32_e64 v42, null, s25, v42, s0
	global_load_dwordx4 v[33:36], v[33:34], off
	v_add_co_u32 v37, s0, s20, v37
	v_add_co_ci_u32_e64 v38, null, s21, v38, s0
	global_store_dword v[41:42], v39, off
	s_waitcnt vmcnt(0)
	global_store_dwordx4 v[37:38], v[33:36], off
	s_or_b32 exec_lo, exec_lo, s19
	s_and_saveexec_b32 s19, s15
	s_cbranch_execz .LBB272_20
.LBB272_148:                            ;   in Loop: Header=BB272_21 Depth=1
	v_cndmask_b32_e32 v33, v3, v16, vcc_lo
	v_add3_u32 v37, v0, v17, 0xe0
	v_add3_u32 v33, v33, s35, 0xe0
	v_ashrrev_i32_e32 v38, 31, v37
	v_ashrrev_i32_e32 v34, 31, v33
	v_lshlrev_b64 v[41:42], 2, v[37:38]
	v_lshlrev_b64 v[37:38], 4, v[37:38]
	v_lshlrev_b64 v[33:34], 4, v[33:34]
	v_add_co_u32 v33, s0, s22, v33
	v_add_co_ci_u32_e64 v34, null, s23, v34, s0
	v_add_co_u32 v41, s0, s24, v41
	v_add_co_ci_u32_e64 v42, null, s25, v42, s0
	global_load_dwordx4 v[33:36], v[33:34], off
	v_add_co_u32 v37, s0, s20, v37
	v_add_co_ci_u32_e64 v38, null, s21, v38, s0
	global_store_dword v[41:42], v40, off
	s_waitcnt vmcnt(0)
	global_store_dwordx4 v[37:38], v[33:36], off
	s_branch .LBB272_20
.LBB272_149:
	s_endpgm
	.section	.rodata,"a",@progbits
	.p2align	6, 0x0
	.amdhsa_kernel _ZN9rocsparseL35bsr2csr_block_per_row_33_256_kernelILj1024ELj256ELj32E21rocsparse_complex_numIdEiiEEv20rocsparse_direction_T4_S4_21rocsparse_index_base_PKT2_PKT3_PKS4_S4_S5_PS6_PS9_PS4_
		.amdhsa_group_segment_fixed_size 0
		.amdhsa_private_segment_fixed_size 0
		.amdhsa_kernarg_size 72
		.amdhsa_user_sgpr_count 6
		.amdhsa_user_sgpr_private_segment_buffer 1
		.amdhsa_user_sgpr_dispatch_ptr 0
		.amdhsa_user_sgpr_queue_ptr 0
		.amdhsa_user_sgpr_kernarg_segment_ptr 1
		.amdhsa_user_sgpr_dispatch_id 0
		.amdhsa_user_sgpr_flat_scratch_init 0
		.amdhsa_user_sgpr_private_segment_size 0
		.amdhsa_wavefront_size32 1
		.amdhsa_uses_dynamic_stack 0
		.amdhsa_system_sgpr_private_segment_wavefront_offset 0
		.amdhsa_system_sgpr_workgroup_id_x 1
		.amdhsa_system_sgpr_workgroup_id_y 0
		.amdhsa_system_sgpr_workgroup_id_z 0
		.amdhsa_system_sgpr_workgroup_info 0
		.amdhsa_system_vgpr_workitem_id 0
		.amdhsa_next_free_vgpr 49
		.amdhsa_next_free_sgpr 87
		.amdhsa_reserve_vcc 1
		.amdhsa_reserve_flat_scratch 0
		.amdhsa_float_round_mode_32 0
		.amdhsa_float_round_mode_16_64 0
		.amdhsa_float_denorm_mode_32 3
		.amdhsa_float_denorm_mode_16_64 3
		.amdhsa_dx10_clamp 1
		.amdhsa_ieee_mode 1
		.amdhsa_fp16_overflow 0
		.amdhsa_workgroup_processor_mode 1
		.amdhsa_memory_ordered 1
		.amdhsa_forward_progress 1
		.amdhsa_shared_vgpr_count 0
		.amdhsa_exception_fp_ieee_invalid_op 0
		.amdhsa_exception_fp_denorm_src 0
		.amdhsa_exception_fp_ieee_div_zero 0
		.amdhsa_exception_fp_ieee_overflow 0
		.amdhsa_exception_fp_ieee_underflow 0
		.amdhsa_exception_fp_ieee_inexact 0
		.amdhsa_exception_int_div_zero 0
	.end_amdhsa_kernel
	.section	.text._ZN9rocsparseL35bsr2csr_block_per_row_33_256_kernelILj1024ELj256ELj32E21rocsparse_complex_numIdEiiEEv20rocsparse_direction_T4_S4_21rocsparse_index_base_PKT2_PKT3_PKS4_S4_S5_PS6_PS9_PS4_,"axG",@progbits,_ZN9rocsparseL35bsr2csr_block_per_row_33_256_kernelILj1024ELj256ELj32E21rocsparse_complex_numIdEiiEEv20rocsparse_direction_T4_S4_21rocsparse_index_base_PKT2_PKT3_PKS4_S4_S5_PS6_PS9_PS4_,comdat
.Lfunc_end272:
	.size	_ZN9rocsparseL35bsr2csr_block_per_row_33_256_kernelILj1024ELj256ELj32E21rocsparse_complex_numIdEiiEEv20rocsparse_direction_T4_S4_21rocsparse_index_base_PKT2_PKT3_PKS4_S4_S5_PS6_PS9_PS4_, .Lfunc_end272-_ZN9rocsparseL35bsr2csr_block_per_row_33_256_kernelILj1024ELj256ELj32E21rocsparse_complex_numIdEiiEEv20rocsparse_direction_T4_S4_21rocsparse_index_base_PKT2_PKT3_PKS4_S4_S5_PS6_PS9_PS4_
                                        ; -- End function
	.set _ZN9rocsparseL35bsr2csr_block_per_row_33_256_kernelILj1024ELj256ELj32E21rocsparse_complex_numIdEiiEEv20rocsparse_direction_T4_S4_21rocsparse_index_base_PKT2_PKT3_PKS4_S4_S5_PS6_PS9_PS4_.num_vgpr, 49
	.set _ZN9rocsparseL35bsr2csr_block_per_row_33_256_kernelILj1024ELj256ELj32E21rocsparse_complex_numIdEiiEEv20rocsparse_direction_T4_S4_21rocsparse_index_base_PKT2_PKT3_PKS4_S4_S5_PS6_PS9_PS4_.num_agpr, 0
	.set _ZN9rocsparseL35bsr2csr_block_per_row_33_256_kernelILj1024ELj256ELj32E21rocsparse_complex_numIdEiiEEv20rocsparse_direction_T4_S4_21rocsparse_index_base_PKT2_PKT3_PKS4_S4_S5_PS6_PS9_PS4_.numbered_sgpr, 87
	.set _ZN9rocsparseL35bsr2csr_block_per_row_33_256_kernelILj1024ELj256ELj32E21rocsparse_complex_numIdEiiEEv20rocsparse_direction_T4_S4_21rocsparse_index_base_PKT2_PKT3_PKS4_S4_S5_PS6_PS9_PS4_.num_named_barrier, 0
	.set _ZN9rocsparseL35bsr2csr_block_per_row_33_256_kernelILj1024ELj256ELj32E21rocsparse_complex_numIdEiiEEv20rocsparse_direction_T4_S4_21rocsparse_index_base_PKT2_PKT3_PKS4_S4_S5_PS6_PS9_PS4_.private_seg_size, 0
	.set _ZN9rocsparseL35bsr2csr_block_per_row_33_256_kernelILj1024ELj256ELj32E21rocsparse_complex_numIdEiiEEv20rocsparse_direction_T4_S4_21rocsparse_index_base_PKT2_PKT3_PKS4_S4_S5_PS6_PS9_PS4_.uses_vcc, 1
	.set _ZN9rocsparseL35bsr2csr_block_per_row_33_256_kernelILj1024ELj256ELj32E21rocsparse_complex_numIdEiiEEv20rocsparse_direction_T4_S4_21rocsparse_index_base_PKT2_PKT3_PKS4_S4_S5_PS6_PS9_PS4_.uses_flat_scratch, 0
	.set _ZN9rocsparseL35bsr2csr_block_per_row_33_256_kernelILj1024ELj256ELj32E21rocsparse_complex_numIdEiiEEv20rocsparse_direction_T4_S4_21rocsparse_index_base_PKT2_PKT3_PKS4_S4_S5_PS6_PS9_PS4_.has_dyn_sized_stack, 0
	.set _ZN9rocsparseL35bsr2csr_block_per_row_33_256_kernelILj1024ELj256ELj32E21rocsparse_complex_numIdEiiEEv20rocsparse_direction_T4_S4_21rocsparse_index_base_PKT2_PKT3_PKS4_S4_S5_PS6_PS9_PS4_.has_recursion, 0
	.set _ZN9rocsparseL35bsr2csr_block_per_row_33_256_kernelILj1024ELj256ELj32E21rocsparse_complex_numIdEiiEEv20rocsparse_direction_T4_S4_21rocsparse_index_base_PKT2_PKT3_PKS4_S4_S5_PS6_PS9_PS4_.has_indirect_call, 0
	.section	.AMDGPU.csdata,"",@progbits
; Kernel info:
; codeLenInByte = 12416
; TotalNumSgprs: 89
; NumVgprs: 49
; ScratchSize: 0
; MemoryBound: 0
; FloatMode: 240
; IeeeMode: 1
; LDSByteSize: 0 bytes/workgroup (compile time only)
; SGPRBlocks: 0
; VGPRBlocks: 6
; NumSGPRsForWavesPerEU: 89
; NumVGPRsForWavesPerEU: 49
; Occupancy: 16
; WaveLimiterHint : 0
; COMPUTE_PGM_RSRC2:SCRATCH_EN: 0
; COMPUTE_PGM_RSRC2:USER_SGPR: 6
; COMPUTE_PGM_RSRC2:TRAP_HANDLER: 0
; COMPUTE_PGM_RSRC2:TGID_X_EN: 1
; COMPUTE_PGM_RSRC2:TGID_Y_EN: 0
; COMPUTE_PGM_RSRC2:TGID_Z_EN: 0
; COMPUTE_PGM_RSRC2:TIDIG_COMP_CNT: 0
	.section	.text._ZN9rocsparseL35bsr2csr_block_dim_equals_one_kernelILj1024E21rocsparse_complex_numIdEliEEvT2_S3_21rocsparse_index_base_PKT0_PKT1_PKS3_S4_PS5_PS8_PS3_,"axG",@progbits,_ZN9rocsparseL35bsr2csr_block_dim_equals_one_kernelILj1024E21rocsparse_complex_numIdEliEEvT2_S3_21rocsparse_index_base_PKT0_PKT1_PKS3_S4_PS5_PS8_PS3_,comdat
	.globl	_ZN9rocsparseL35bsr2csr_block_dim_equals_one_kernelILj1024E21rocsparse_complex_numIdEliEEvT2_S3_21rocsparse_index_base_PKT0_PKT1_PKS3_S4_PS5_PS8_PS3_ ; -- Begin function _ZN9rocsparseL35bsr2csr_block_dim_equals_one_kernelILj1024E21rocsparse_complex_numIdEliEEvT2_S3_21rocsparse_index_base_PKT0_PKT1_PKS3_S4_PS5_PS8_PS3_
	.p2align	8
	.type	_ZN9rocsparseL35bsr2csr_block_dim_equals_one_kernelILj1024E21rocsparse_complex_numIdEliEEvT2_S3_21rocsparse_index_base_PKT0_PKT1_PKS3_S4_PS5_PS8_PS3_,@function
_ZN9rocsparseL35bsr2csr_block_dim_equals_one_kernelILj1024E21rocsparse_complex_numIdEliEEvT2_S3_21rocsparse_index_base_PKT0_PKT1_PKS3_S4_PS5_PS8_PS3_: ; @_ZN9rocsparseL35bsr2csr_block_dim_equals_one_kernelILj1024E21rocsparse_complex_numIdEliEEvT2_S3_21rocsparse_index_base_PKT0_PKT1_PKS3_S4_PS5_PS8_PS3_
; %bb.0:
	s_clause 0x1
	s_load_dword s12, s[4:5], 0x0
	s_load_dwordx2 s[0:1], s[4:5], 0x18
	s_lshl_b32 s18, s6, 10
	s_mov_b32 s2, exec_lo
	v_or_b32_e32 v1, s18, v0
	v_ashrrev_i32_e32 v2, 31, v1
	s_waitcnt lgkmcnt(0)
	v_cmpx_le_i32_e64 s12, v1
	s_xor_b32 s2, exec_lo, s2
	s_or_saveexec_b32 s13, s2
	s_clause 0x5
	s_load_dwordx2 s[2:3], s[4:5], 0x40
	s_load_dwordx2 s[6:7], s[4:5], 0x30
	;; [unrolled: 1-line block ×4, first 2 shown]
	s_load_dword s19, s[4:5], 0x28
	s_load_dword s20, s[4:5], 0x8
	s_xor_b32 exec_lo, exec_lo, s13
	s_cbranch_execz .LBB273_6
; %bb.1:
	s_load_dwordx2 s[14:15], s[4:5], 0x38
	s_mov_b32 s21, exec_lo
                                        ; implicit-def: $sgpr16_sgpr17
	v_cmpx_ne_u32_e32 0, v1
	s_xor_b32 s21, exec_lo, s21
	s_cbranch_execz .LBB273_3
; %bb.2:
	s_waitcnt lgkmcnt(0)
	s_sub_u32 s16, s19, s20
	s_subb_u32 s17, 0, 0
.LBB273_3:
	s_or_saveexec_b32 s21, s21
	v_mov_b32_e32 v3, s16
	v_mov_b32_e32 v4, s17
	s_xor_b32 exec_lo, exec_lo, s21
	s_cbranch_execz .LBB273_5
; %bb.4:
	s_load_dwordx2 s[16:17], s[0:1], 0x0
	s_waitcnt lgkmcnt(0)
	s_sub_u32 s22, s19, s20
	s_subb_u32 s23, 0, 0
	v_mov_b32_e32 v3, s22
	v_mov_b32_e32 v7, 0
	;; [unrolled: 1-line block ×3, first 2 shown]
	s_add_u32 s16, s22, s16
	s_addc_u32 s17, s23, s17
	v_mov_b32_e32 v5, s16
	v_mov_b32_e32 v6, s17
	global_store_dwordx2 v7, v[5:6], s[14:15]
.LBB273_5:
	s_or_b32 exec_lo, exec_lo, s21
	v_lshlrev_b64 v[5:6], 3, v[1:2]
	v_add_co_u32 v7, vcc_lo, s0, v5
	v_add_co_ci_u32_e64 v8, null, s1, v6, vcc_lo
	global_load_dwordx2 v[7:8], v[7:8], off offset:8
	s_waitcnt vmcnt(0)
	v_add_co_u32 v3, vcc_lo, v3, v7
	v_add_co_ci_u32_e64 v4, null, v4, v8, vcc_lo
	s_waitcnt lgkmcnt(0)
	v_add_co_u32 v5, vcc_lo, s14, v5
	v_add_co_ci_u32_e64 v6, null, s15, v6, vcc_lo
	global_store_dwordx2 v[5:6], v[3:4], off offset:8
.LBB273_6:
	s_or_b32 exec_lo, exec_lo, s13
	s_ashr_i32 s13, s12, 31
	s_lshl_b64 s[12:13], s[12:13], 3
	s_add_u32 s12, s0, s12
	s_addc_u32 s13, s1, s13
	s_clause 0x1
	s_load_dwordx2 s[12:13], s[12:13], 0x0
	s_load_dwordx2 s[0:1], s[0:1], 0x0
	s_waitcnt lgkmcnt(0)
	s_sub_u32 s12, s12, s0
	s_subb_u32 s13, s13, s1
	s_mov_b32 s0, exec_lo
	v_cmpx_gt_i64_e64 s[12:13], v[1:2]
	s_cbranch_execz .LBB273_9
; %bb.7:
	s_load_dword s0, s[4:5], 0x48
	s_sub_i32 s4, s19, s20
	s_mov_b32 s5, 0
	s_waitcnt lgkmcnt(0)
	s_lshl_b32 s1, s0, 10
	v_add3_u32 v3, s1, s18, v0
	s_inst_prefetch 0x1
	.p2align	6
.LBB273_8:                              ; =>This Inner Loop Header: Depth=1
	v_lshlrev_b64 v[9:10], 2, v[1:2]
	v_lshlrev_b64 v[11:12], 4, v[1:2]
	v_add_co_u32 v0, vcc_lo, s10, v9
	v_add_co_ci_u32_e64 v1, null, s11, v10, vcc_lo
	v_add_co_u32 v4, vcc_lo, s8, v11
	v_add_co_ci_u32_e64 v5, null, s9, v12, vcc_lo
	global_load_dword v0, v[0:1], off
	global_load_dwordx4 v[5:8], v[4:5], off
	v_ashrrev_i32_e32 v4, 31, v3
	v_add_co_u32 v9, s0, s2, v9
	v_add_co_ci_u32_e64 v10, null, s3, v10, s0
	v_cmp_le_i64_e32 vcc_lo, s[12:13], v[3:4]
	v_add_co_u32 v11, s0, s6, v11
	v_mov_b32_e32 v1, v3
	v_mov_b32_e32 v2, v4
	v_add_co_ci_u32_e64 v12, null, s7, v12, s0
	v_add_nc_u32_e32 v3, s1, v3
	s_or_b32 s5, vcc_lo, s5
	s_waitcnt vmcnt(1)
	v_add_nc_u32_e32 v0, s4, v0
	s_waitcnt vmcnt(0)
	global_store_dwordx4 v[11:12], v[5:8], off
	global_store_dword v[9:10], v0, off
	s_andn2_b32 exec_lo, exec_lo, s5
	s_cbranch_execnz .LBB273_8
.LBB273_9:
	s_inst_prefetch 0x2
	s_endpgm
	.section	.rodata,"a",@progbits
	.p2align	6, 0x0
	.amdhsa_kernel _ZN9rocsparseL35bsr2csr_block_dim_equals_one_kernelILj1024E21rocsparse_complex_numIdEliEEvT2_S3_21rocsparse_index_base_PKT0_PKT1_PKS3_S4_PS5_PS8_PS3_
		.amdhsa_group_segment_fixed_size 0
		.amdhsa_private_segment_fixed_size 0
		.amdhsa_kernarg_size 328
		.amdhsa_user_sgpr_count 6
		.amdhsa_user_sgpr_private_segment_buffer 1
		.amdhsa_user_sgpr_dispatch_ptr 0
		.amdhsa_user_sgpr_queue_ptr 0
		.amdhsa_user_sgpr_kernarg_segment_ptr 1
		.amdhsa_user_sgpr_dispatch_id 0
		.amdhsa_user_sgpr_flat_scratch_init 0
		.amdhsa_user_sgpr_private_segment_size 0
		.amdhsa_wavefront_size32 1
		.amdhsa_uses_dynamic_stack 0
		.amdhsa_system_sgpr_private_segment_wavefront_offset 0
		.amdhsa_system_sgpr_workgroup_id_x 1
		.amdhsa_system_sgpr_workgroup_id_y 0
		.amdhsa_system_sgpr_workgroup_id_z 0
		.amdhsa_system_sgpr_workgroup_info 0
		.amdhsa_system_vgpr_workitem_id 0
		.amdhsa_next_free_vgpr 13
		.amdhsa_next_free_sgpr 24
		.amdhsa_reserve_vcc 1
		.amdhsa_reserve_flat_scratch 0
		.amdhsa_float_round_mode_32 0
		.amdhsa_float_round_mode_16_64 0
		.amdhsa_float_denorm_mode_32 3
		.amdhsa_float_denorm_mode_16_64 3
		.amdhsa_dx10_clamp 1
		.amdhsa_ieee_mode 1
		.amdhsa_fp16_overflow 0
		.amdhsa_workgroup_processor_mode 1
		.amdhsa_memory_ordered 1
		.amdhsa_forward_progress 1
		.amdhsa_shared_vgpr_count 0
		.amdhsa_exception_fp_ieee_invalid_op 0
		.amdhsa_exception_fp_denorm_src 0
		.amdhsa_exception_fp_ieee_div_zero 0
		.amdhsa_exception_fp_ieee_overflow 0
		.amdhsa_exception_fp_ieee_underflow 0
		.amdhsa_exception_fp_ieee_inexact 0
		.amdhsa_exception_int_div_zero 0
	.end_amdhsa_kernel
	.section	.text._ZN9rocsparseL35bsr2csr_block_dim_equals_one_kernelILj1024E21rocsparse_complex_numIdEliEEvT2_S3_21rocsparse_index_base_PKT0_PKT1_PKS3_S4_PS5_PS8_PS3_,"axG",@progbits,_ZN9rocsparseL35bsr2csr_block_dim_equals_one_kernelILj1024E21rocsparse_complex_numIdEliEEvT2_S3_21rocsparse_index_base_PKT0_PKT1_PKS3_S4_PS5_PS8_PS3_,comdat
.Lfunc_end273:
	.size	_ZN9rocsparseL35bsr2csr_block_dim_equals_one_kernelILj1024E21rocsparse_complex_numIdEliEEvT2_S3_21rocsparse_index_base_PKT0_PKT1_PKS3_S4_PS5_PS8_PS3_, .Lfunc_end273-_ZN9rocsparseL35bsr2csr_block_dim_equals_one_kernelILj1024E21rocsparse_complex_numIdEliEEvT2_S3_21rocsparse_index_base_PKT0_PKT1_PKS3_S4_PS5_PS8_PS3_
                                        ; -- End function
	.set _ZN9rocsparseL35bsr2csr_block_dim_equals_one_kernelILj1024E21rocsparse_complex_numIdEliEEvT2_S3_21rocsparse_index_base_PKT0_PKT1_PKS3_S4_PS5_PS8_PS3_.num_vgpr, 13
	.set _ZN9rocsparseL35bsr2csr_block_dim_equals_one_kernelILj1024E21rocsparse_complex_numIdEliEEvT2_S3_21rocsparse_index_base_PKT0_PKT1_PKS3_S4_PS5_PS8_PS3_.num_agpr, 0
	.set _ZN9rocsparseL35bsr2csr_block_dim_equals_one_kernelILj1024E21rocsparse_complex_numIdEliEEvT2_S3_21rocsparse_index_base_PKT0_PKT1_PKS3_S4_PS5_PS8_PS3_.numbered_sgpr, 24
	.set _ZN9rocsparseL35bsr2csr_block_dim_equals_one_kernelILj1024E21rocsparse_complex_numIdEliEEvT2_S3_21rocsparse_index_base_PKT0_PKT1_PKS3_S4_PS5_PS8_PS3_.num_named_barrier, 0
	.set _ZN9rocsparseL35bsr2csr_block_dim_equals_one_kernelILj1024E21rocsparse_complex_numIdEliEEvT2_S3_21rocsparse_index_base_PKT0_PKT1_PKS3_S4_PS5_PS8_PS3_.private_seg_size, 0
	.set _ZN9rocsparseL35bsr2csr_block_dim_equals_one_kernelILj1024E21rocsparse_complex_numIdEliEEvT2_S3_21rocsparse_index_base_PKT0_PKT1_PKS3_S4_PS5_PS8_PS3_.uses_vcc, 1
	.set _ZN9rocsparseL35bsr2csr_block_dim_equals_one_kernelILj1024E21rocsparse_complex_numIdEliEEvT2_S3_21rocsparse_index_base_PKT0_PKT1_PKS3_S4_PS5_PS8_PS3_.uses_flat_scratch, 0
	.set _ZN9rocsparseL35bsr2csr_block_dim_equals_one_kernelILj1024E21rocsparse_complex_numIdEliEEvT2_S3_21rocsparse_index_base_PKT0_PKT1_PKS3_S4_PS5_PS8_PS3_.has_dyn_sized_stack, 0
	.set _ZN9rocsparseL35bsr2csr_block_dim_equals_one_kernelILj1024E21rocsparse_complex_numIdEliEEvT2_S3_21rocsparse_index_base_PKT0_PKT1_PKS3_S4_PS5_PS8_PS3_.has_recursion, 0
	.set _ZN9rocsparseL35bsr2csr_block_dim_equals_one_kernelILj1024E21rocsparse_complex_numIdEliEEvT2_S3_21rocsparse_index_base_PKT0_PKT1_PKS3_S4_PS5_PS8_PS3_.has_indirect_call, 0
	.section	.AMDGPU.csdata,"",@progbits
; Kernel info:
; codeLenInByte = 612
; TotalNumSgprs: 26
; NumVgprs: 13
; ScratchSize: 0
; MemoryBound: 0
; FloatMode: 240
; IeeeMode: 1
; LDSByteSize: 0 bytes/workgroup (compile time only)
; SGPRBlocks: 0
; VGPRBlocks: 1
; NumSGPRsForWavesPerEU: 26
; NumVGPRsForWavesPerEU: 13
; Occupancy: 16
; WaveLimiterHint : 0
; COMPUTE_PGM_RSRC2:SCRATCH_EN: 0
; COMPUTE_PGM_RSRC2:USER_SGPR: 6
; COMPUTE_PGM_RSRC2:TRAP_HANDLER: 0
; COMPUTE_PGM_RSRC2:TGID_X_EN: 1
; COMPUTE_PGM_RSRC2:TGID_Y_EN: 0
; COMPUTE_PGM_RSRC2:TGID_Z_EN: 0
; COMPUTE_PGM_RSRC2:TIDIG_COMP_CNT: 0
	.section	.text._ZN9rocsparseL32bsr2csr_block_per_row_2_7_kernelILj256ELj2E21rocsparse_complex_numIdEliEEv20rocsparse_direction_T3_S4_21rocsparse_index_base_PKT1_PKT2_PKS4_S4_S5_PS6_PS9_PS4_,"axG",@progbits,_ZN9rocsparseL32bsr2csr_block_per_row_2_7_kernelILj256ELj2E21rocsparse_complex_numIdEliEEv20rocsparse_direction_T3_S4_21rocsparse_index_base_PKT1_PKT2_PKS4_S4_S5_PS6_PS9_PS4_,comdat
	.globl	_ZN9rocsparseL32bsr2csr_block_per_row_2_7_kernelILj256ELj2E21rocsparse_complex_numIdEliEEv20rocsparse_direction_T3_S4_21rocsparse_index_base_PKT1_PKT2_PKS4_S4_S5_PS6_PS9_PS4_ ; -- Begin function _ZN9rocsparseL32bsr2csr_block_per_row_2_7_kernelILj256ELj2E21rocsparse_complex_numIdEliEEv20rocsparse_direction_T3_S4_21rocsparse_index_base_PKT1_PKT2_PKS4_S4_S5_PS6_PS9_PS4_
	.p2align	8
	.type	_ZN9rocsparseL32bsr2csr_block_per_row_2_7_kernelILj256ELj2E21rocsparse_complex_numIdEliEEv20rocsparse_direction_T3_S4_21rocsparse_index_base_PKT1_PKT2_PKS4_S4_S5_PS6_PS9_PS4_,@function
_ZN9rocsparseL32bsr2csr_block_per_row_2_7_kernelILj256ELj2E21rocsparse_complex_numIdEliEEv20rocsparse_direction_T3_S4_21rocsparse_index_base_PKT1_PKT2_PKS4_S4_S5_PS6_PS9_PS4_: ; @_ZN9rocsparseL32bsr2csr_block_per_row_2_7_kernelILj256ELj2E21rocsparse_complex_numIdEliEEv20rocsparse_direction_T3_S4_21rocsparse_index_base_PKT1_PKT2_PKS4_S4_S5_PS6_PS9_PS4_
; %bb.0:
	s_load_dwordx2 s[0:1], s[4:5], 0x18
	s_ashr_i32 s7, s6, 31
	s_clause 0x1
	s_load_dword s8, s[4:5], 0x2c
	s_load_dwordx2 s[12:13], s[4:5], 0x38
	s_lshl_b64 s[2:3], s[6:7], 3
	v_or_b32_e32 v1, s6, v0
	s_mov_b32 s11, 0
	s_mov_b32 s7, exec_lo
	s_waitcnt lgkmcnt(0)
	s_add_u32 s0, s0, s2
	s_addc_u32 s1, s1, s3
	s_load_dwordx4 s[0:3], s[0:1], 0x0
	v_cmpx_eq_u32_e32 0, v1
	s_cbranch_execz .LBB274_2
; %bb.1:
	s_mov_b32 s9, s11
	v_mov_b32_e32 v1, s8
	v_mov_b32_e32 v3, 0
	;; [unrolled: 1-line block ×3, first 2 shown]
	global_store_dwordx2 v3, v[1:2], s[12:13]
.LBB274_2:
	s_or_b32 exec_lo, exec_lo, s7
	s_load_dword s10, s[4:5], 0xc
	v_and_b32_e32 v8, 1, v0
	v_mov_b32_e32 v2, 0
	v_lshrrev_b32_e32 v3, 1, v0
	v_lshl_or_b32 v1, s6, 1, v8
	v_add_nc_u32_e32 v1, 1, v1
	v_lshlrev_b64 v[0:1], 3, v[1:2]
	s_waitcnt lgkmcnt(0)
	s_sub_u32 s6, s0, s10
	s_subb_u32 s7, s1, 0
	s_sub_u32 s2, s2, s10
	s_subb_u32 s3, s3, 0
	s_lshl_b64 s[14:15], s[6:7], 2
	s_sub_u32 s16, s2, s6
	s_subb_u32 s17, s3, s7
	v_add_co_u32 v5, vcc_lo, s12, v0
	v_add_co_ci_u32_e64 v6, null, s13, v1, vcc_lo
	s_lshl_b64 s[12:13], s[16:17], 1
	s_lshr_b64 s[16:17], s[16:17], 31
	v_mul_lo_u32 v2, s12, v8
	v_add_co_u32 v0, s6, s6, v3
	v_mul_lo_u32 v4, s16, v8
	v_add_co_ci_u32_e64 v1, null, s7, 0, s6
	s_add_u32 s6, s12, s8
	s_addc_u32 s7, s13, 0
	s_add_u32 s6, s6, s14
	s_addc_u32 s7, s7, s15
	v_add_co_u32 v9, vcc_lo, s6, v2
	v_add_co_ci_u32_e64 v10, null, s7, v4, vcc_lo
	s_mov_b32 s6, exec_lo
	global_store_dwordx2 v[5:6], v[9:10], off
	v_cmpx_gt_i64_e64 s[2:3], v[0:1]
	s_cbranch_execz .LBB274_5
; %bb.3:
	s_clause 0x4
	s_load_dwordx2 s[6:7], s[4:5], 0x20
	s_load_dwordx2 s[12:13], s[4:5], 0x30
	s_load_dword s9, s[4:5], 0x0
	s_load_dwordx2 s[14:15], s[4:5], 0x10
	s_load_dwordx2 s[4:5], s[4:5], 0x40
	v_lshlrev_b32_e32 v3, 1, v3
	v_lshlrev_b64 v[5:6], 2, v[0:1]
	v_lshlrev_b64 v[10:11], 6, v[0:1]
	v_lshlrev_b32_e32 v9, 4, v8
	v_lshlrev_b32_e32 v8, 5, v8
	s_waitcnt lgkmcnt(0)
	s_cmp_eq_u32 s9, 0
	s_cselect_b32 vcc_lo, -1, 0
	s_lshl_b64 s[0:1], s[0:1], 2
	v_add_co_u32 v2, s0, v2, s0
	v_add_co_ci_u32_e64 v4, null, s1, v4, s0
	v_add_co_u32 v2, s0, v2, v3
	v_add_co_ci_u32_e64 v3, null, 0, v4, s0
	s_lshl_b64 s[0:1], s[10:11], 2
	v_sub_co_u32 v12, s0, v2, s0
	v_subrev_co_ci_u32_e64 v13, null, s1, v3, s0
	v_add_co_u32 v2, s0, s6, v5
	v_add_co_ci_u32_e64 v3, null, s7, v6, s0
	v_lshlrev_b64 v[4:5], 2, v[12:13]
	v_lshlrev_b64 v[6:7], 4, v[12:13]
	v_add_co_u32 v10, s0, s14, v10
	v_add_co_ci_u32_e64 v11, null, s15, v11, s0
	v_add_co_u32 v4, s0, s4, v4
	v_add_co_ci_u32_e64 v5, null, s5, v5, s0
	;; [unrolled: 2-line block ×5, first 2 shown]
	s_mov_b32 s4, 0
.LBB274_4:                              ; =>This Inner Loop Header: Depth=1
	v_add_co_u32 v12, s0, v10, v8
	v_add_co_ci_u32_e64 v13, null, 0, v11, s0
	v_add_co_u32 v14, s0, v10, v9
	global_load_dword v20, v[2:3], off
	v_add_co_ci_u32_e64 v15, null, 0, v11, s0
	v_add_co_u32 v16, s0, v12, 16
	v_add_co_ci_u32_e64 v17, null, 0, v13, s0
	v_add_co_u32 v18, s0, v14, 32
	v_add_co_ci_u32_e64 v19, null, 0, v15, s0
	v_cndmask_b32_e32 v13, v15, v13, vcc_lo
	v_cndmask_b32_e32 v12, v14, v12, vcc_lo
	;; [unrolled: 1-line block ×4, first 2 shown]
	global_load_dwordx4 v[12:15], v[12:13], off
	global_load_dwordx4 v[16:19], v[16:17], off
	v_add_co_u32 v0, s0, 0x80, v0
	v_add_co_ci_u32_e64 v1, null, 0, v1, s0
	v_add_co_u32 v2, s0, 0x200, v2
	v_add_co_ci_u32_e64 v3, null, 0, v3, s0
	;; [unrolled: 2-line block ×3, first 2 shown]
	v_cmp_le_i64_e64 s0, s[2:3], v[0:1]
	s_or_b32 s4, s0, s4
	s_waitcnt vmcnt(2)
	v_subrev_nc_u32_e32 v20, s10, v20
	v_lshl_add_u32 v20, v20, 1, s8
	v_add_nc_u32_e32 v21, 1, v20
	s_waitcnt vmcnt(1)
	global_store_dwordx4 v[6:7], v[12:15], off offset:-16
	global_store_dwordx2 v[4:5], v[20:21], off offset:-4
	s_waitcnt vmcnt(0)
	global_store_dwordx4 v[6:7], v[16:19], off
	v_add_co_u32 v4, s1, 0x400, v4
	v_add_co_ci_u32_e64 v5, null, 0, v5, s1
	v_add_co_u32 v6, s1, 0x1000, v6
	v_add_co_ci_u32_e64 v7, null, 0, v7, s1
	s_andn2_b32 exec_lo, exec_lo, s4
	s_cbranch_execnz .LBB274_4
.LBB274_5:
	s_endpgm
	.section	.rodata,"a",@progbits
	.p2align	6, 0x0
	.amdhsa_kernel _ZN9rocsparseL32bsr2csr_block_per_row_2_7_kernelILj256ELj2E21rocsparse_complex_numIdEliEEv20rocsparse_direction_T3_S4_21rocsparse_index_base_PKT1_PKT2_PKS4_S4_S5_PS6_PS9_PS4_
		.amdhsa_group_segment_fixed_size 0
		.amdhsa_private_segment_fixed_size 0
		.amdhsa_kernarg_size 72
		.amdhsa_user_sgpr_count 6
		.amdhsa_user_sgpr_private_segment_buffer 1
		.amdhsa_user_sgpr_dispatch_ptr 0
		.amdhsa_user_sgpr_queue_ptr 0
		.amdhsa_user_sgpr_kernarg_segment_ptr 1
		.amdhsa_user_sgpr_dispatch_id 0
		.amdhsa_user_sgpr_flat_scratch_init 0
		.amdhsa_user_sgpr_private_segment_size 0
		.amdhsa_wavefront_size32 1
		.amdhsa_uses_dynamic_stack 0
		.amdhsa_system_sgpr_private_segment_wavefront_offset 0
		.amdhsa_system_sgpr_workgroup_id_x 1
		.amdhsa_system_sgpr_workgroup_id_y 0
		.amdhsa_system_sgpr_workgroup_id_z 0
		.amdhsa_system_sgpr_workgroup_info 0
		.amdhsa_system_vgpr_workitem_id 0
		.amdhsa_next_free_vgpr 22
		.amdhsa_next_free_sgpr 18
		.amdhsa_reserve_vcc 1
		.amdhsa_reserve_flat_scratch 0
		.amdhsa_float_round_mode_32 0
		.amdhsa_float_round_mode_16_64 0
		.amdhsa_float_denorm_mode_32 3
		.amdhsa_float_denorm_mode_16_64 3
		.amdhsa_dx10_clamp 1
		.amdhsa_ieee_mode 1
		.amdhsa_fp16_overflow 0
		.amdhsa_workgroup_processor_mode 1
		.amdhsa_memory_ordered 1
		.amdhsa_forward_progress 1
		.amdhsa_shared_vgpr_count 0
		.amdhsa_exception_fp_ieee_invalid_op 0
		.amdhsa_exception_fp_denorm_src 0
		.amdhsa_exception_fp_ieee_div_zero 0
		.amdhsa_exception_fp_ieee_overflow 0
		.amdhsa_exception_fp_ieee_underflow 0
		.amdhsa_exception_fp_ieee_inexact 0
		.amdhsa_exception_int_div_zero 0
	.end_amdhsa_kernel
	.section	.text._ZN9rocsparseL32bsr2csr_block_per_row_2_7_kernelILj256ELj2E21rocsparse_complex_numIdEliEEv20rocsparse_direction_T3_S4_21rocsparse_index_base_PKT1_PKT2_PKS4_S4_S5_PS6_PS9_PS4_,"axG",@progbits,_ZN9rocsparseL32bsr2csr_block_per_row_2_7_kernelILj256ELj2E21rocsparse_complex_numIdEliEEv20rocsparse_direction_T3_S4_21rocsparse_index_base_PKT1_PKT2_PKS4_S4_S5_PS6_PS9_PS4_,comdat
.Lfunc_end274:
	.size	_ZN9rocsparseL32bsr2csr_block_per_row_2_7_kernelILj256ELj2E21rocsparse_complex_numIdEliEEv20rocsparse_direction_T3_S4_21rocsparse_index_base_PKT1_PKT2_PKS4_S4_S5_PS6_PS9_PS4_, .Lfunc_end274-_ZN9rocsparseL32bsr2csr_block_per_row_2_7_kernelILj256ELj2E21rocsparse_complex_numIdEliEEv20rocsparse_direction_T3_S4_21rocsparse_index_base_PKT1_PKT2_PKS4_S4_S5_PS6_PS9_PS4_
                                        ; -- End function
	.set _ZN9rocsparseL32bsr2csr_block_per_row_2_7_kernelILj256ELj2E21rocsparse_complex_numIdEliEEv20rocsparse_direction_T3_S4_21rocsparse_index_base_PKT1_PKT2_PKS4_S4_S5_PS6_PS9_PS4_.num_vgpr, 22
	.set _ZN9rocsparseL32bsr2csr_block_per_row_2_7_kernelILj256ELj2E21rocsparse_complex_numIdEliEEv20rocsparse_direction_T3_S4_21rocsparse_index_base_PKT1_PKT2_PKS4_S4_S5_PS6_PS9_PS4_.num_agpr, 0
	.set _ZN9rocsparseL32bsr2csr_block_per_row_2_7_kernelILj256ELj2E21rocsparse_complex_numIdEliEEv20rocsparse_direction_T3_S4_21rocsparse_index_base_PKT1_PKT2_PKS4_S4_S5_PS6_PS9_PS4_.numbered_sgpr, 18
	.set _ZN9rocsparseL32bsr2csr_block_per_row_2_7_kernelILj256ELj2E21rocsparse_complex_numIdEliEEv20rocsparse_direction_T3_S4_21rocsparse_index_base_PKT1_PKT2_PKS4_S4_S5_PS6_PS9_PS4_.num_named_barrier, 0
	.set _ZN9rocsparseL32bsr2csr_block_per_row_2_7_kernelILj256ELj2E21rocsparse_complex_numIdEliEEv20rocsparse_direction_T3_S4_21rocsparse_index_base_PKT1_PKT2_PKS4_S4_S5_PS6_PS9_PS4_.private_seg_size, 0
	.set _ZN9rocsparseL32bsr2csr_block_per_row_2_7_kernelILj256ELj2E21rocsparse_complex_numIdEliEEv20rocsparse_direction_T3_S4_21rocsparse_index_base_PKT1_PKT2_PKS4_S4_S5_PS6_PS9_PS4_.uses_vcc, 1
	.set _ZN9rocsparseL32bsr2csr_block_per_row_2_7_kernelILj256ELj2E21rocsparse_complex_numIdEliEEv20rocsparse_direction_T3_S4_21rocsparse_index_base_PKT1_PKT2_PKS4_S4_S5_PS6_PS9_PS4_.uses_flat_scratch, 0
	.set _ZN9rocsparseL32bsr2csr_block_per_row_2_7_kernelILj256ELj2E21rocsparse_complex_numIdEliEEv20rocsparse_direction_T3_S4_21rocsparse_index_base_PKT1_PKT2_PKS4_S4_S5_PS6_PS9_PS4_.has_dyn_sized_stack, 0
	.set _ZN9rocsparseL32bsr2csr_block_per_row_2_7_kernelILj256ELj2E21rocsparse_complex_numIdEliEEv20rocsparse_direction_T3_S4_21rocsparse_index_base_PKT1_PKT2_PKS4_S4_S5_PS6_PS9_PS4_.has_recursion, 0
	.set _ZN9rocsparseL32bsr2csr_block_per_row_2_7_kernelILj256ELj2E21rocsparse_complex_numIdEliEEv20rocsparse_direction_T3_S4_21rocsparse_index_base_PKT1_PKT2_PKS4_S4_S5_PS6_PS9_PS4_.has_indirect_call, 0
	.section	.AMDGPU.csdata,"",@progbits
; Kernel info:
; codeLenInByte = 824
; TotalNumSgprs: 20
; NumVgprs: 22
; ScratchSize: 0
; MemoryBound: 0
; FloatMode: 240
; IeeeMode: 1
; LDSByteSize: 0 bytes/workgroup (compile time only)
; SGPRBlocks: 0
; VGPRBlocks: 2
; NumSGPRsForWavesPerEU: 20
; NumVGPRsForWavesPerEU: 22
; Occupancy: 16
; WaveLimiterHint : 0
; COMPUTE_PGM_RSRC2:SCRATCH_EN: 0
; COMPUTE_PGM_RSRC2:USER_SGPR: 6
; COMPUTE_PGM_RSRC2:TRAP_HANDLER: 0
; COMPUTE_PGM_RSRC2:TGID_X_EN: 1
; COMPUTE_PGM_RSRC2:TGID_Y_EN: 0
; COMPUTE_PGM_RSRC2:TGID_Z_EN: 0
; COMPUTE_PGM_RSRC2:TIDIG_COMP_CNT: 0
	.section	.text._ZN9rocsparseL32bsr2csr_block_per_row_2_7_kernelILj256ELj3E21rocsparse_complex_numIdEliEEv20rocsparse_direction_T3_S4_21rocsparse_index_base_PKT1_PKT2_PKS4_S4_S5_PS6_PS9_PS4_,"axG",@progbits,_ZN9rocsparseL32bsr2csr_block_per_row_2_7_kernelILj256ELj3E21rocsparse_complex_numIdEliEEv20rocsparse_direction_T3_S4_21rocsparse_index_base_PKT1_PKT2_PKS4_S4_S5_PS6_PS9_PS4_,comdat
	.globl	_ZN9rocsparseL32bsr2csr_block_per_row_2_7_kernelILj256ELj3E21rocsparse_complex_numIdEliEEv20rocsparse_direction_T3_S4_21rocsparse_index_base_PKT1_PKT2_PKS4_S4_S5_PS6_PS9_PS4_ ; -- Begin function _ZN9rocsparseL32bsr2csr_block_per_row_2_7_kernelILj256ELj3E21rocsparse_complex_numIdEliEEv20rocsparse_direction_T3_S4_21rocsparse_index_base_PKT1_PKT2_PKS4_S4_S5_PS6_PS9_PS4_
	.p2align	8
	.type	_ZN9rocsparseL32bsr2csr_block_per_row_2_7_kernelILj256ELj3E21rocsparse_complex_numIdEliEEv20rocsparse_direction_T3_S4_21rocsparse_index_base_PKT1_PKT2_PKS4_S4_S5_PS6_PS9_PS4_,@function
_ZN9rocsparseL32bsr2csr_block_per_row_2_7_kernelILj256ELj3E21rocsparse_complex_numIdEliEEv20rocsparse_direction_T3_S4_21rocsparse_index_base_PKT1_PKT2_PKS4_S4_S5_PS6_PS9_PS4_: ; @_ZN9rocsparseL32bsr2csr_block_per_row_2_7_kernelILj256ELj3E21rocsparse_complex_numIdEliEEv20rocsparse_direction_T3_S4_21rocsparse_index_base_PKT1_PKT2_PKS4_S4_S5_PS6_PS9_PS4_
; %bb.0:
	s_clause 0x2
	s_load_dwordx2 s[0:1], s[4:5], 0x18
	s_load_dword s8, s[4:5], 0x2c
	s_load_dwordx2 s[10:11], s[4:5], 0x38
	s_ashr_i32 s7, s6, 31
	v_or_b32_e32 v1, s6, v0
	s_lshl_b64 s[2:3], s[6:7], 3
	s_waitcnt lgkmcnt(0)
	s_add_u32 s0, s0, s2
	s_addc_u32 s1, s1, s3
	s_mov_b32 s2, exec_lo
	v_cmpx_eq_u32_e32 0, v1
	s_cbranch_execz .LBB275_2
; %bb.1:
	v_mov_b32_e32 v1, s8
	v_mov_b32_e32 v2, 0
	global_store_dwordx2 v2, v[1:2], s[10:11]
.LBB275_2:
	s_or_b32 exec_lo, exec_lo, s2
	v_and_b32_e32 v4, 3, v0
	s_mov_b32 s2, exec_lo
	v_cmpx_ne_u32_e32 3, v4
	s_cbranch_execz .LBB275_6
; %bb.3:
	s_load_dwordx4 s[0:3], s[0:1], 0x0
	s_load_dword s7, s[4:5], 0xc
	s_mul_i32 s6, s6, 3
	v_mov_b32_e32 v2, 0
	v_add3_u32 v1, v4, s6, 1
	v_lshrrev_b32_e32 v5, 2, v0
	v_lshlrev_b64 v[6:7], 3, v[1:2]
	v_add_co_u32 v6, vcc_lo, s10, v6
	v_add_co_ci_u32_e64 v7, null, s11, v7, vcc_lo
	s_waitcnt lgkmcnt(0)
	s_sub_u32 s6, s0, s7
	s_subb_u32 s9, s1, 0
	s_mul_hi_u32 s12, s6, 9
	s_mul_i32 s13, s9, 9
	s_sub_u32 s2, s2, s7
	s_subb_u32 s3, s3, 0
	s_add_i32 s12, s12, s13
	s_sub_u32 s13, s2, s6
	s_subb_u32 s11, s3, s9
	s_mul_i32 s14, s13, 3
	s_mul_hi_u32 s13, s13, 3
	v_mad_u64_u32 v[2:3], null, s14, v4, 0
	s_mul_i32 s11, s11, 3
	s_mul_i32 s10, s6, 9
	s_add_i32 s13, s13, s11
	v_add_co_u32 v0, s6, s6, v5
	v_add_co_ci_u32_e64 v1, null, s9, 0, s6
	v_mad_u64_u32 v[8:9], null, s13, v4, v[3:4]
	s_add_u32 s6, s14, s8
	s_addc_u32 s9, s13, 0
	s_add_u32 s6, s6, s10
	s_addc_u32 s9, s9, s12
	v_add_co_u32 v9, vcc_lo, s6, v2
	v_add_co_ci_u32_e64 v10, null, s9, v8, vcc_lo
	v_cmp_gt_i64_e32 vcc_lo, s[2:3], v[0:1]
	v_mov_b32_e32 v3, v8
	s_mov_b32 s6, 0
	global_store_dwordx2 v[6:7], v[9:10], off
	s_and_b32 exec_lo, exec_lo, vcc_lo
	s_cbranch_execz .LBB275_6
; %bb.4:
	v_mad_u64_u32 v[6:7], null, s0, 9, v[2:3]
	s_clause 0x1
	s_load_dwordx2 s[10:11], s[4:5], 0x30
	s_load_dwordx2 s[12:13], s[4:5], 0x10
	v_mul_u32_u24_e32 v13, 3, v4
	v_lshlrev_b32_e32 v9, 4, v4
	v_mov_b32_e32 v2, v7
	v_mad_u64_u32 v[2:3], null, s1, 9, v[2:3]
	s_clause 0x2
	s_load_dwordx2 s[0:1], s[4:5], 0x20
	s_load_dword s9, s[4:5], 0x0
	s_load_dwordx2 s[4:5], s[4:5], 0x40
	v_mov_b32_e32 v7, v2
	s_waitcnt lgkmcnt(0)
	v_mad_u64_u32 v[2:3], null, 0x90, v0, s[12:13]
	s_mul_i32 s13, s7, 9
	s_mul_hi_u32 s12, s7, 9
	v_mad_u64_u32 v[5:6], null, v5, 3, v[6:7]
	v_lshlrev_b64 v[7:8], 2, v[0:1]
	v_mad_u64_u32 v[10:11], null, 0x90, v1, v[3:4]
	v_sub_co_u32 v5, vcc_lo, v5, s13
	v_subrev_co_ci_u32_e64 v6, null, s12, v6, vcc_lo
	v_add_co_u32 v3, vcc_lo, s0, v7
	v_add_co_ci_u32_e64 v4, null, s1, v8, vcc_lo
	v_lshlrev_b64 v[11:12], 4, v[5:6]
	v_lshlrev_b64 v[5:6], 2, v[5:6]
	s_cmp_eq_u32 s9, 0
	v_add_co_u32 v7, vcc_lo, s10, v11
	v_add_co_ci_u32_e64 v8, null, s11, v12, vcc_lo
	v_add_co_u32 v11, vcc_lo, s4, v5
	v_add_co_ci_u32_e64 v12, null, s5, v6, vcc_lo
	;; [unrolled: 2-line block ×4, first 2 shown]
	v_lshlrev_b32_e32 v11, 4, v13
	s_cselect_b32 vcc_lo, -1, 0
.LBB275_5:                              ; =>This Inner Loop Header: Depth=1
	v_add_co_u32 v12, s0, v2, v11
	v_add_co_ci_u32_e64 v13, null, 0, v10, s0
	v_add_co_u32 v14, s0, v2, v9
	v_add_co_ci_u32_e64 v15, null, 0, v10, s0
	global_load_dword v24, v[3:4], off
	v_add_co_u32 v16, s0, v12, 16
	v_add_co_ci_u32_e64 v17, null, 0, v13, s0
	v_add_co_u32 v18, s0, v14, 48
	v_add_co_ci_u32_e64 v19, null, 0, v15, s0
	;; [unrolled: 2-line block ×4, first 2 shown]
	v_cndmask_b32_e32 v13, v15, v13, vcc_lo
	v_cndmask_b32_e32 v12, v14, v12, vcc_lo
	;; [unrolled: 1-line block ×6, first 2 shown]
	global_load_dwordx4 v[12:15], v[12:13], off
	global_load_dwordx4 v[16:19], v[16:17], off
	;; [unrolled: 1-line block ×3, first 2 shown]
	v_add_co_u32 v0, s0, v0, 64
	v_add_co_ci_u32_e64 v1, null, 0, v1, s0
	v_add_co_u32 v3, s0, 0x100, v3
	v_add_co_ci_u32_e64 v4, null, 0, v4, s0
	v_add_co_u32 v2, s0, 0x2400, v2
	v_add_co_ci_u32_e64 v10, null, 0, v10, s0
	v_cmp_le_i64_e64 s0, s[2:3], v[0:1]
	s_or_b32 s6, s0, s6
	s_waitcnt vmcnt(3)
	v_subrev_nc_u32_e32 v24, s7, v24
	v_mad_u64_u32 v[24:25], null, v24, 3, s[8:9]
	v_add_nc_u32_e32 v25, 1, v24
	v_add_nc_u32_e32 v26, 2, v24
	s_waitcnt vmcnt(2)
	global_store_dwordx4 v[5:6], v[12:15], off offset:-16
	s_waitcnt vmcnt(1)
	global_store_dwordx4 v[5:6], v[16:19], off
	s_waitcnt vmcnt(0)
	global_store_dwordx4 v[5:6], v[20:23], off offset:16
	v_add_co_u32 v5, s1, 0xc00, v5
	v_add_co_ci_u32_e64 v6, null, 0, v6, s1
	global_store_dwordx3 v[7:8], v[24:26], off offset:-4
	v_add_co_u32 v7, s1, 0x300, v7
	v_add_co_ci_u32_e64 v8, null, 0, v8, s1
	s_andn2_b32 exec_lo, exec_lo, s6
	s_cbranch_execnz .LBB275_5
.LBB275_6:
	s_endpgm
	.section	.rodata,"a",@progbits
	.p2align	6, 0x0
	.amdhsa_kernel _ZN9rocsparseL32bsr2csr_block_per_row_2_7_kernelILj256ELj3E21rocsparse_complex_numIdEliEEv20rocsparse_direction_T3_S4_21rocsparse_index_base_PKT1_PKT2_PKS4_S4_S5_PS6_PS9_PS4_
		.amdhsa_group_segment_fixed_size 0
		.amdhsa_private_segment_fixed_size 0
		.amdhsa_kernarg_size 72
		.amdhsa_user_sgpr_count 6
		.amdhsa_user_sgpr_private_segment_buffer 1
		.amdhsa_user_sgpr_dispatch_ptr 0
		.amdhsa_user_sgpr_queue_ptr 0
		.amdhsa_user_sgpr_kernarg_segment_ptr 1
		.amdhsa_user_sgpr_dispatch_id 0
		.amdhsa_user_sgpr_flat_scratch_init 0
		.amdhsa_user_sgpr_private_segment_size 0
		.amdhsa_wavefront_size32 1
		.amdhsa_uses_dynamic_stack 0
		.amdhsa_system_sgpr_private_segment_wavefront_offset 0
		.amdhsa_system_sgpr_workgroup_id_x 1
		.amdhsa_system_sgpr_workgroup_id_y 0
		.amdhsa_system_sgpr_workgroup_id_z 0
		.amdhsa_system_sgpr_workgroup_info 0
		.amdhsa_system_vgpr_workitem_id 0
		.amdhsa_next_free_vgpr 27
		.amdhsa_next_free_sgpr 15
		.amdhsa_reserve_vcc 1
		.amdhsa_reserve_flat_scratch 0
		.amdhsa_float_round_mode_32 0
		.amdhsa_float_round_mode_16_64 0
		.amdhsa_float_denorm_mode_32 3
		.amdhsa_float_denorm_mode_16_64 3
		.amdhsa_dx10_clamp 1
		.amdhsa_ieee_mode 1
		.amdhsa_fp16_overflow 0
		.amdhsa_workgroup_processor_mode 1
		.amdhsa_memory_ordered 1
		.amdhsa_forward_progress 1
		.amdhsa_shared_vgpr_count 0
		.amdhsa_exception_fp_ieee_invalid_op 0
		.amdhsa_exception_fp_denorm_src 0
		.amdhsa_exception_fp_ieee_div_zero 0
		.amdhsa_exception_fp_ieee_overflow 0
		.amdhsa_exception_fp_ieee_underflow 0
		.amdhsa_exception_fp_ieee_inexact 0
		.amdhsa_exception_int_div_zero 0
	.end_amdhsa_kernel
	.section	.text._ZN9rocsparseL32bsr2csr_block_per_row_2_7_kernelILj256ELj3E21rocsparse_complex_numIdEliEEv20rocsparse_direction_T3_S4_21rocsparse_index_base_PKT1_PKT2_PKS4_S4_S5_PS6_PS9_PS4_,"axG",@progbits,_ZN9rocsparseL32bsr2csr_block_per_row_2_7_kernelILj256ELj3E21rocsparse_complex_numIdEliEEv20rocsparse_direction_T3_S4_21rocsparse_index_base_PKT1_PKT2_PKS4_S4_S5_PS6_PS9_PS4_,comdat
.Lfunc_end275:
	.size	_ZN9rocsparseL32bsr2csr_block_per_row_2_7_kernelILj256ELj3E21rocsparse_complex_numIdEliEEv20rocsparse_direction_T3_S4_21rocsparse_index_base_PKT1_PKT2_PKS4_S4_S5_PS6_PS9_PS4_, .Lfunc_end275-_ZN9rocsparseL32bsr2csr_block_per_row_2_7_kernelILj256ELj3E21rocsparse_complex_numIdEliEEv20rocsparse_direction_T3_S4_21rocsparse_index_base_PKT1_PKT2_PKS4_S4_S5_PS6_PS9_PS4_
                                        ; -- End function
	.set _ZN9rocsparseL32bsr2csr_block_per_row_2_7_kernelILj256ELj3E21rocsparse_complex_numIdEliEEv20rocsparse_direction_T3_S4_21rocsparse_index_base_PKT1_PKT2_PKS4_S4_S5_PS6_PS9_PS4_.num_vgpr, 27
	.set _ZN9rocsparseL32bsr2csr_block_per_row_2_7_kernelILj256ELj3E21rocsparse_complex_numIdEliEEv20rocsparse_direction_T3_S4_21rocsparse_index_base_PKT1_PKT2_PKS4_S4_S5_PS6_PS9_PS4_.num_agpr, 0
	.set _ZN9rocsparseL32bsr2csr_block_per_row_2_7_kernelILj256ELj3E21rocsparse_complex_numIdEliEEv20rocsparse_direction_T3_S4_21rocsparse_index_base_PKT1_PKT2_PKS4_S4_S5_PS6_PS9_PS4_.numbered_sgpr, 15
	.set _ZN9rocsparseL32bsr2csr_block_per_row_2_7_kernelILj256ELj3E21rocsparse_complex_numIdEliEEv20rocsparse_direction_T3_S4_21rocsparse_index_base_PKT1_PKT2_PKS4_S4_S5_PS6_PS9_PS4_.num_named_barrier, 0
	.set _ZN9rocsparseL32bsr2csr_block_per_row_2_7_kernelILj256ELj3E21rocsparse_complex_numIdEliEEv20rocsparse_direction_T3_S4_21rocsparse_index_base_PKT1_PKT2_PKS4_S4_S5_PS6_PS9_PS4_.private_seg_size, 0
	.set _ZN9rocsparseL32bsr2csr_block_per_row_2_7_kernelILj256ELj3E21rocsparse_complex_numIdEliEEv20rocsparse_direction_T3_S4_21rocsparse_index_base_PKT1_PKT2_PKS4_S4_S5_PS6_PS9_PS4_.uses_vcc, 1
	.set _ZN9rocsparseL32bsr2csr_block_per_row_2_7_kernelILj256ELj3E21rocsparse_complex_numIdEliEEv20rocsparse_direction_T3_S4_21rocsparse_index_base_PKT1_PKT2_PKS4_S4_S5_PS6_PS9_PS4_.uses_flat_scratch, 0
	.set _ZN9rocsparseL32bsr2csr_block_per_row_2_7_kernelILj256ELj3E21rocsparse_complex_numIdEliEEv20rocsparse_direction_T3_S4_21rocsparse_index_base_PKT1_PKT2_PKS4_S4_S5_PS6_PS9_PS4_.has_dyn_sized_stack, 0
	.set _ZN9rocsparseL32bsr2csr_block_per_row_2_7_kernelILj256ELj3E21rocsparse_complex_numIdEliEEv20rocsparse_direction_T3_S4_21rocsparse_index_base_PKT1_PKT2_PKS4_S4_S5_PS6_PS9_PS4_.has_recursion, 0
	.set _ZN9rocsparseL32bsr2csr_block_per_row_2_7_kernelILj256ELj3E21rocsparse_complex_numIdEliEEv20rocsparse_direction_T3_S4_21rocsparse_index_base_PKT1_PKT2_PKS4_S4_S5_PS6_PS9_PS4_.has_indirect_call, 0
	.section	.AMDGPU.csdata,"",@progbits
; Kernel info:
; codeLenInByte = 912
; TotalNumSgprs: 17
; NumVgprs: 27
; ScratchSize: 0
; MemoryBound: 0
; FloatMode: 240
; IeeeMode: 1
; LDSByteSize: 0 bytes/workgroup (compile time only)
; SGPRBlocks: 0
; VGPRBlocks: 3
; NumSGPRsForWavesPerEU: 17
; NumVGPRsForWavesPerEU: 27
; Occupancy: 16
; WaveLimiterHint : 0
; COMPUTE_PGM_RSRC2:SCRATCH_EN: 0
; COMPUTE_PGM_RSRC2:USER_SGPR: 6
; COMPUTE_PGM_RSRC2:TRAP_HANDLER: 0
; COMPUTE_PGM_RSRC2:TGID_X_EN: 1
; COMPUTE_PGM_RSRC2:TGID_Y_EN: 0
; COMPUTE_PGM_RSRC2:TGID_Z_EN: 0
; COMPUTE_PGM_RSRC2:TIDIG_COMP_CNT: 0
	.section	.text._ZN9rocsparseL32bsr2csr_block_per_row_2_7_kernelILj256ELj4E21rocsparse_complex_numIdEliEEv20rocsparse_direction_T3_S4_21rocsparse_index_base_PKT1_PKT2_PKS4_S4_S5_PS6_PS9_PS4_,"axG",@progbits,_ZN9rocsparseL32bsr2csr_block_per_row_2_7_kernelILj256ELj4E21rocsparse_complex_numIdEliEEv20rocsparse_direction_T3_S4_21rocsparse_index_base_PKT1_PKT2_PKS4_S4_S5_PS6_PS9_PS4_,comdat
	.globl	_ZN9rocsparseL32bsr2csr_block_per_row_2_7_kernelILj256ELj4E21rocsparse_complex_numIdEliEEv20rocsparse_direction_T3_S4_21rocsparse_index_base_PKT1_PKT2_PKS4_S4_S5_PS6_PS9_PS4_ ; -- Begin function _ZN9rocsparseL32bsr2csr_block_per_row_2_7_kernelILj256ELj4E21rocsparse_complex_numIdEliEEv20rocsparse_direction_T3_S4_21rocsparse_index_base_PKT1_PKT2_PKS4_S4_S5_PS6_PS9_PS4_
	.p2align	8
	.type	_ZN9rocsparseL32bsr2csr_block_per_row_2_7_kernelILj256ELj4E21rocsparse_complex_numIdEliEEv20rocsparse_direction_T3_S4_21rocsparse_index_base_PKT1_PKT2_PKS4_S4_S5_PS6_PS9_PS4_,@function
_ZN9rocsparseL32bsr2csr_block_per_row_2_7_kernelILj256ELj4E21rocsparse_complex_numIdEliEEv20rocsparse_direction_T3_S4_21rocsparse_index_base_PKT1_PKT2_PKS4_S4_S5_PS6_PS9_PS4_: ; @_ZN9rocsparseL32bsr2csr_block_per_row_2_7_kernelILj256ELj4E21rocsparse_complex_numIdEliEEv20rocsparse_direction_T3_S4_21rocsparse_index_base_PKT1_PKT2_PKS4_S4_S5_PS6_PS9_PS4_
; %bb.0:
	s_load_dwordx2 s[0:1], s[4:5], 0x18
	s_ashr_i32 s7, s6, 31
	s_clause 0x1
	s_load_dword s8, s[4:5], 0x2c
	s_load_dwordx2 s[12:13], s[4:5], 0x38
	s_lshl_b64 s[2:3], s[6:7], 3
	v_or_b32_e32 v1, s6, v0
	s_mov_b32 s11, 0
	s_mov_b32 s7, exec_lo
	s_waitcnt lgkmcnt(0)
	s_add_u32 s0, s0, s2
	s_addc_u32 s1, s1, s3
	s_load_dwordx4 s[0:3], s[0:1], 0x0
	v_cmpx_eq_u32_e32 0, v1
	s_cbranch_execz .LBB276_2
; %bb.1:
	s_mov_b32 s9, s11
	v_mov_b32_e32 v1, s8
	v_mov_b32_e32 v3, 0
	;; [unrolled: 1-line block ×3, first 2 shown]
	global_store_dwordx2 v3, v[1:2], s[12:13]
.LBB276_2:
	s_or_b32 exec_lo, exec_lo, s7
	s_load_dword s10, s[4:5], 0xc
	v_and_b32_e32 v4, 3, v0
	v_mov_b32_e32 v2, 0
	v_lshrrev_b32_e32 v5, 2, v0
	v_lshl_or_b32 v1, s6, 2, v4
	v_add_nc_u32_e32 v1, 1, v1
	v_lshlrev_b64 v[6:7], 3, v[1:2]
	s_waitcnt lgkmcnt(0)
	s_sub_u32 s6, s0, s10
	s_subb_u32 s7, s1, 0
	s_sub_u32 s2, s2, s10
	s_subb_u32 s3, s3, 0
	s_lshl_b64 s[14:15], s[6:7], 4
	s_sub_u32 s16, s2, s6
	s_subb_u32 s17, s3, s7
	v_add_co_u32 v0, s6, s6, v5
	s_lshl_b64 s[18:19], s[16:17], 2
	v_add_co_ci_u32_e64 v1, null, s7, 0, s6
	v_mad_u64_u32 v[2:3], null, s18, v4, 0
	s_lshr_b64 s[6:7], s[16:17], 30
	v_add_co_u32 v6, vcc_lo, s12, v6
	v_add_co_ci_u32_e64 v7, null, s13, v7, vcc_lo
	v_mad_u64_u32 v[8:9], null, s6, v4, v[3:4]
	s_add_u32 s6, s18, s8
	s_addc_u32 s7, s19, 0
	s_add_u32 s6, s6, s14
	s_addc_u32 s7, s7, s15
	v_add_co_u32 v9, vcc_lo, s6, v2
	v_add_co_ci_u32_e64 v10, null, s7, v8, vcc_lo
	v_mov_b32_e32 v3, v8
	s_mov_b32 s6, exec_lo
	global_store_dwordx2 v[6:7], v[9:10], off
	v_cmpx_gt_i64_e64 s[2:3], v[0:1]
	s_cbranch_execz .LBB276_5
; %bb.3:
	s_clause 0x4
	s_load_dwordx2 s[6:7], s[4:5], 0x20
	s_load_dwordx2 s[12:13], s[4:5], 0x30
	s_load_dword s9, s[4:5], 0x0
	s_load_dwordx2 s[14:15], s[4:5], 0x10
	s_load_dwordx2 s[4:5], s[4:5], 0x40
	v_lshlrev_b32_e32 v5, 2, v5
	v_lshlrev_b64 v[6:7], 2, v[0:1]
	v_lshlrev_b32_e32 v8, 4, v4
	v_lshlrev_b32_e32 v9, 6, v4
	v_lshlrev_b64 v[10:11], 8, v[0:1]
	s_waitcnt lgkmcnt(0)
	s_cmp_eq_u32 s9, 0
	s_cselect_b32 vcc_lo, -1, 0
	s_lshl_b64 s[0:1], s[0:1], 4
	v_add_co_u32 v2, s0, v2, s0
	v_add_co_ci_u32_e64 v3, null, s1, v3, s0
	v_add_co_u32 v2, s0, v2, v5
	v_add_co_ci_u32_e64 v3, null, 0, v3, s0
	s_lshl_b64 s[0:1], s[10:11], 4
	v_sub_co_u32 v4, s0, v2, s0
	v_subrev_co_ci_u32_e64 v5, null, s1, v3, s0
	v_add_co_u32 v2, s0, s6, v6
	v_add_co_ci_u32_e64 v3, null, s7, v7, s0
	v_lshlrev_b64 v[6:7], 2, v[4:5]
	v_lshlrev_b64 v[4:5], 4, v[4:5]
	v_add_co_u32 v10, s0, s14, v10
	v_add_co_ci_u32_e64 v11, null, s15, v11, s0
	v_add_co_u32 v6, s0, s4, v6
	v_add_co_ci_u32_e64 v7, null, s5, v7, s0
	;; [unrolled: 2-line block ×5, first 2 shown]
	s_mov_b32 s4, 0
.LBB276_4:                              ; =>This Inner Loop Header: Depth=1
	v_add_co_u32 v14, s0, v10, v8
	v_add_co_ci_u32_e64 v15, null, 0, v11, s0
	v_add_co_u32 v16, s0, v10, v9
	v_add_co_ci_u32_e64 v17, null, 0, v11, s0
	global_load_dword v28, v[2:3], off
	v_add_co_u32 v18, s0, v16, 16
	v_add_co_ci_u32_e64 v19, null, 0, v17, s0
	v_add_co_u32 v20, s0, v14, 64
	v_add_co_ci_u32_e64 v21, null, 0, v15, s0
	;; [unrolled: 2-line block ×4, first 2 shown]
	v_add_co_u32 v26, s0, v16, 48
	v_cndmask_b32_e32 v12, v14, v16, vcc_lo
	v_add_co_ci_u32_e64 v27, null, 0, v17, s0
	v_add_co_u32 v14, s0, 0xc0, v14
	v_cndmask_b32_e32 v13, v15, v17, vcc_lo
	v_add_co_ci_u32_e64 v15, null, 0, v15, s0
	v_cndmask_b32_e32 v17, v21, v19, vcc_lo
	v_cndmask_b32_e32 v16, v20, v18, vcc_lo
	;; [unrolled: 1-line block ×6, first 2 shown]
	global_load_dwordx4 v[12:15], v[12:13], off
	global_load_dwordx4 v[16:19], v[16:17], off
	;; [unrolled: 1-line block ×4, first 2 shown]
	v_add_co_u32 v0, s0, v0, 64
	v_add_co_ci_u32_e64 v1, null, 0, v1, s0
	v_add_co_u32 v2, s0, 0x100, v2
	v_add_co_ci_u32_e64 v3, null, 0, v3, s0
	;; [unrolled: 2-line block ×3, first 2 shown]
	v_cmp_le_i64_e64 s0, s[2:3], v[0:1]
	s_or_b32 s4, s0, s4
	s_waitcnt vmcnt(4)
	v_subrev_nc_u32_e32 v28, s10, v28
	v_lshl_add_u32 v28, v28, 2, s8
	v_add_nc_u32_e32 v29, 1, v28
	v_add_nc_u32_e32 v30, 2, v28
	;; [unrolled: 1-line block ×3, first 2 shown]
	s_waitcnt vmcnt(3)
	global_store_dwordx4 v[6:7], v[12:15], off offset:-32
	s_waitcnt vmcnt(2)
	global_store_dwordx4 v[6:7], v[16:19], off offset:-16
	s_waitcnt vmcnt(1)
	global_store_dwordx4 v[6:7], v[20:23], off
	global_store_dwordx4 v[4:5], v[28:31], off offset:-8
	s_waitcnt vmcnt(0)
	global_store_dwordx4 v[6:7], v[24:27], off offset:16
	v_add_co_u32 v4, s1, 0x400, v4
	v_add_co_ci_u32_e64 v5, null, 0, v5, s1
	v_add_co_u32 v6, s1, 0x1000, v6
	v_add_co_ci_u32_e64 v7, null, 0, v7, s1
	s_andn2_b32 exec_lo, exec_lo, s4
	s_cbranch_execnz .LBB276_4
.LBB276_5:
	s_endpgm
	.section	.rodata,"a",@progbits
	.p2align	6, 0x0
	.amdhsa_kernel _ZN9rocsparseL32bsr2csr_block_per_row_2_7_kernelILj256ELj4E21rocsparse_complex_numIdEliEEv20rocsparse_direction_T3_S4_21rocsparse_index_base_PKT1_PKT2_PKS4_S4_S5_PS6_PS9_PS4_
		.amdhsa_group_segment_fixed_size 0
		.amdhsa_private_segment_fixed_size 0
		.amdhsa_kernarg_size 72
		.amdhsa_user_sgpr_count 6
		.amdhsa_user_sgpr_private_segment_buffer 1
		.amdhsa_user_sgpr_dispatch_ptr 0
		.amdhsa_user_sgpr_queue_ptr 0
		.amdhsa_user_sgpr_kernarg_segment_ptr 1
		.amdhsa_user_sgpr_dispatch_id 0
		.amdhsa_user_sgpr_flat_scratch_init 0
		.amdhsa_user_sgpr_private_segment_size 0
		.amdhsa_wavefront_size32 1
		.amdhsa_uses_dynamic_stack 0
		.amdhsa_system_sgpr_private_segment_wavefront_offset 0
		.amdhsa_system_sgpr_workgroup_id_x 1
		.amdhsa_system_sgpr_workgroup_id_y 0
		.amdhsa_system_sgpr_workgroup_id_z 0
		.amdhsa_system_sgpr_workgroup_info 0
		.amdhsa_system_vgpr_workitem_id 0
		.amdhsa_next_free_vgpr 32
		.amdhsa_next_free_sgpr 20
		.amdhsa_reserve_vcc 1
		.amdhsa_reserve_flat_scratch 0
		.amdhsa_float_round_mode_32 0
		.amdhsa_float_round_mode_16_64 0
		.amdhsa_float_denorm_mode_32 3
		.amdhsa_float_denorm_mode_16_64 3
		.amdhsa_dx10_clamp 1
		.amdhsa_ieee_mode 1
		.amdhsa_fp16_overflow 0
		.amdhsa_workgroup_processor_mode 1
		.amdhsa_memory_ordered 1
		.amdhsa_forward_progress 1
		.amdhsa_shared_vgpr_count 0
		.amdhsa_exception_fp_ieee_invalid_op 0
		.amdhsa_exception_fp_denorm_src 0
		.amdhsa_exception_fp_ieee_div_zero 0
		.amdhsa_exception_fp_ieee_overflow 0
		.amdhsa_exception_fp_ieee_underflow 0
		.amdhsa_exception_fp_ieee_inexact 0
		.amdhsa_exception_int_div_zero 0
	.end_amdhsa_kernel
	.section	.text._ZN9rocsparseL32bsr2csr_block_per_row_2_7_kernelILj256ELj4E21rocsparse_complex_numIdEliEEv20rocsparse_direction_T3_S4_21rocsparse_index_base_PKT1_PKT2_PKS4_S4_S5_PS6_PS9_PS4_,"axG",@progbits,_ZN9rocsparseL32bsr2csr_block_per_row_2_7_kernelILj256ELj4E21rocsparse_complex_numIdEliEEv20rocsparse_direction_T3_S4_21rocsparse_index_base_PKT1_PKT2_PKS4_S4_S5_PS6_PS9_PS4_,comdat
.Lfunc_end276:
	.size	_ZN9rocsparseL32bsr2csr_block_per_row_2_7_kernelILj256ELj4E21rocsparse_complex_numIdEliEEv20rocsparse_direction_T3_S4_21rocsparse_index_base_PKT1_PKT2_PKS4_S4_S5_PS6_PS9_PS4_, .Lfunc_end276-_ZN9rocsparseL32bsr2csr_block_per_row_2_7_kernelILj256ELj4E21rocsparse_complex_numIdEliEEv20rocsparse_direction_T3_S4_21rocsparse_index_base_PKT1_PKT2_PKS4_S4_S5_PS6_PS9_PS4_
                                        ; -- End function
	.set _ZN9rocsparseL32bsr2csr_block_per_row_2_7_kernelILj256ELj4E21rocsparse_complex_numIdEliEEv20rocsparse_direction_T3_S4_21rocsparse_index_base_PKT1_PKT2_PKS4_S4_S5_PS6_PS9_PS4_.num_vgpr, 32
	.set _ZN9rocsparseL32bsr2csr_block_per_row_2_7_kernelILj256ELj4E21rocsparse_complex_numIdEliEEv20rocsparse_direction_T3_S4_21rocsparse_index_base_PKT1_PKT2_PKS4_S4_S5_PS6_PS9_PS4_.num_agpr, 0
	.set _ZN9rocsparseL32bsr2csr_block_per_row_2_7_kernelILj256ELj4E21rocsparse_complex_numIdEliEEv20rocsparse_direction_T3_S4_21rocsparse_index_base_PKT1_PKT2_PKS4_S4_S5_PS6_PS9_PS4_.numbered_sgpr, 20
	.set _ZN9rocsparseL32bsr2csr_block_per_row_2_7_kernelILj256ELj4E21rocsparse_complex_numIdEliEEv20rocsparse_direction_T3_S4_21rocsparse_index_base_PKT1_PKT2_PKS4_S4_S5_PS6_PS9_PS4_.num_named_barrier, 0
	.set _ZN9rocsparseL32bsr2csr_block_per_row_2_7_kernelILj256ELj4E21rocsparse_complex_numIdEliEEv20rocsparse_direction_T3_S4_21rocsparse_index_base_PKT1_PKT2_PKS4_S4_S5_PS6_PS9_PS4_.private_seg_size, 0
	.set _ZN9rocsparseL32bsr2csr_block_per_row_2_7_kernelILj256ELj4E21rocsparse_complex_numIdEliEEv20rocsparse_direction_T3_S4_21rocsparse_index_base_PKT1_PKT2_PKS4_S4_S5_PS6_PS9_PS4_.uses_vcc, 1
	.set _ZN9rocsparseL32bsr2csr_block_per_row_2_7_kernelILj256ELj4E21rocsparse_complex_numIdEliEEv20rocsparse_direction_T3_S4_21rocsparse_index_base_PKT1_PKT2_PKS4_S4_S5_PS6_PS9_PS4_.uses_flat_scratch, 0
	.set _ZN9rocsparseL32bsr2csr_block_per_row_2_7_kernelILj256ELj4E21rocsparse_complex_numIdEliEEv20rocsparse_direction_T3_S4_21rocsparse_index_base_PKT1_PKT2_PKS4_S4_S5_PS6_PS9_PS4_.has_dyn_sized_stack, 0
	.set _ZN9rocsparseL32bsr2csr_block_per_row_2_7_kernelILj256ELj4E21rocsparse_complex_numIdEliEEv20rocsparse_direction_T3_S4_21rocsparse_index_base_PKT1_PKT2_PKS4_S4_S5_PS6_PS9_PS4_.has_recursion, 0
	.set _ZN9rocsparseL32bsr2csr_block_per_row_2_7_kernelILj256ELj4E21rocsparse_complex_numIdEliEEv20rocsparse_direction_T3_S4_21rocsparse_index_base_PKT1_PKT2_PKS4_S4_S5_PS6_PS9_PS4_.has_indirect_call, 0
	.section	.AMDGPU.csdata,"",@progbits
; Kernel info:
; codeLenInByte = 960
; TotalNumSgprs: 22
; NumVgprs: 32
; ScratchSize: 0
; MemoryBound: 0
; FloatMode: 240
; IeeeMode: 1
; LDSByteSize: 0 bytes/workgroup (compile time only)
; SGPRBlocks: 0
; VGPRBlocks: 3
; NumSGPRsForWavesPerEU: 22
; NumVGPRsForWavesPerEU: 32
; Occupancy: 16
; WaveLimiterHint : 0
; COMPUTE_PGM_RSRC2:SCRATCH_EN: 0
; COMPUTE_PGM_RSRC2:USER_SGPR: 6
; COMPUTE_PGM_RSRC2:TRAP_HANDLER: 0
; COMPUTE_PGM_RSRC2:TGID_X_EN: 1
; COMPUTE_PGM_RSRC2:TGID_Y_EN: 0
; COMPUTE_PGM_RSRC2:TGID_Z_EN: 0
; COMPUTE_PGM_RSRC2:TIDIG_COMP_CNT: 0
	.section	.text._ZN9rocsparseL32bsr2csr_block_per_row_2_7_kernelILj256ELj5E21rocsparse_complex_numIdEliEEv20rocsparse_direction_T3_S4_21rocsparse_index_base_PKT1_PKT2_PKS4_S4_S5_PS6_PS9_PS4_,"axG",@progbits,_ZN9rocsparseL32bsr2csr_block_per_row_2_7_kernelILj256ELj5E21rocsparse_complex_numIdEliEEv20rocsparse_direction_T3_S4_21rocsparse_index_base_PKT1_PKT2_PKS4_S4_S5_PS6_PS9_PS4_,comdat
	.globl	_ZN9rocsparseL32bsr2csr_block_per_row_2_7_kernelILj256ELj5E21rocsparse_complex_numIdEliEEv20rocsparse_direction_T3_S4_21rocsparse_index_base_PKT1_PKT2_PKS4_S4_S5_PS6_PS9_PS4_ ; -- Begin function _ZN9rocsparseL32bsr2csr_block_per_row_2_7_kernelILj256ELj5E21rocsparse_complex_numIdEliEEv20rocsparse_direction_T3_S4_21rocsparse_index_base_PKT1_PKT2_PKS4_S4_S5_PS6_PS9_PS4_
	.p2align	8
	.type	_ZN9rocsparseL32bsr2csr_block_per_row_2_7_kernelILj256ELj5E21rocsparse_complex_numIdEliEEv20rocsparse_direction_T3_S4_21rocsparse_index_base_PKT1_PKT2_PKS4_S4_S5_PS6_PS9_PS4_,@function
_ZN9rocsparseL32bsr2csr_block_per_row_2_7_kernelILj256ELj5E21rocsparse_complex_numIdEliEEv20rocsparse_direction_T3_S4_21rocsparse_index_base_PKT1_PKT2_PKS4_S4_S5_PS6_PS9_PS4_: ; @_ZN9rocsparseL32bsr2csr_block_per_row_2_7_kernelILj256ELj5E21rocsparse_complex_numIdEliEEv20rocsparse_direction_T3_S4_21rocsparse_index_base_PKT1_PKT2_PKS4_S4_S5_PS6_PS9_PS4_
; %bb.0:
	s_clause 0x2
	s_load_dwordx2 s[0:1], s[4:5], 0x18
	s_load_dword s8, s[4:5], 0x2c
	s_load_dwordx2 s[10:11], s[4:5], 0x38
	s_ashr_i32 s7, s6, 31
	v_or_b32_e32 v1, s6, v0
	s_lshl_b64 s[2:3], s[6:7], 3
	s_waitcnt lgkmcnt(0)
	s_add_u32 s0, s0, s2
	s_addc_u32 s1, s1, s3
	s_mov_b32 s2, exec_lo
	v_cmpx_eq_u32_e32 0, v1
	s_cbranch_execz .LBB277_2
; %bb.1:
	v_mov_b32_e32 v1, s8
	v_mov_b32_e32 v2, 0
	global_store_dwordx2 v2, v[1:2], s[10:11]
.LBB277_2:
	s_or_b32 exec_lo, exec_lo, s2
	v_and_b32_e32 v4, 7, v0
	s_mov_b32 s2, exec_lo
	v_cmpx_gt_u32_e32 5, v4
	s_cbranch_execz .LBB277_6
; %bb.3:
	s_load_dwordx4 s[0:3], s[0:1], 0x0
	s_load_dword s7, s[4:5], 0xc
	s_mul_i32 s6, s6, 5
	v_mov_b32_e32 v2, 0
	v_add3_u32 v1, v4, s6, 1
	v_lshrrev_b32_e32 v5, 3, v0
	v_lshlrev_b64 v[6:7], 3, v[1:2]
	v_add_co_u32 v6, vcc_lo, s10, v6
	v_add_co_ci_u32_e64 v7, null, s11, v7, vcc_lo
	s_waitcnt lgkmcnt(0)
	s_sub_u32 s6, s0, s7
	s_subb_u32 s9, s1, 0
	s_mul_hi_u32 s12, s6, 25
	s_mul_i32 s13, s9, 25
	s_sub_u32 s2, s2, s7
	s_subb_u32 s3, s3, 0
	s_add_i32 s12, s12, s13
	s_sub_u32 s13, s2, s6
	s_subb_u32 s11, s3, s9
	s_mul_i32 s14, s13, 5
	s_mul_hi_u32 s13, s13, 5
	v_mad_u64_u32 v[2:3], null, s14, v4, 0
	s_mul_i32 s11, s11, 5
	s_mul_i32 s10, s6, 25
	s_add_i32 s13, s13, s11
	v_add_co_u32 v0, s6, s6, v5
	v_add_co_ci_u32_e64 v1, null, s9, 0, s6
	v_mad_u64_u32 v[8:9], null, s13, v4, v[3:4]
	s_add_u32 s6, s14, s8
	s_addc_u32 s9, s13, 0
	s_add_u32 s6, s6, s10
	s_addc_u32 s9, s9, s12
	v_add_co_u32 v9, vcc_lo, s6, v2
	v_add_co_ci_u32_e64 v10, null, s9, v8, vcc_lo
	v_cmp_gt_i64_e32 vcc_lo, s[2:3], v[0:1]
	v_mov_b32_e32 v3, v8
	s_mov_b32 s6, 0
	global_store_dwordx2 v[6:7], v[9:10], off
	s_and_b32 exec_lo, exec_lo, vcc_lo
	s_cbranch_execz .LBB277_6
; %bb.4:
	v_mad_u64_u32 v[6:7], null, s0, 25, v[2:3]
	s_clause 0x1
	s_load_dwordx2 s[10:11], s[4:5], 0x30
	s_load_dwordx2 s[12:13], s[4:5], 0x10
	v_mul_u32_u24_e32 v10, 5, v4
	v_lshlrev_b32_e32 v9, 4, v4
	v_lshlrev_b32_e32 v10, 4, v10
	v_mov_b32_e32 v2, v7
	v_mad_u64_u32 v[2:3], null, s1, 25, v[2:3]
	s_clause 0x2
	s_load_dwordx2 s[0:1], s[4:5], 0x20
	s_load_dword s9, s[4:5], 0x0
	s_load_dwordx2 s[4:5], s[4:5], 0x40
	v_mov_b32_e32 v7, v2
	s_waitcnt lgkmcnt(0)
	v_mad_u64_u32 v[2:3], null, 0x190, v0, s[12:13]
	s_mul_i32 s13, s7, 25
	s_mul_hi_u32 s12, s7, 25
	v_mad_u64_u32 v[5:6], null, v5, 5, v[6:7]
	v_lshlrev_b64 v[7:8], 2, v[0:1]
	v_mad_u64_u32 v[11:12], null, 0x190, v1, v[3:4]
	v_sub_co_u32 v5, vcc_lo, v5, s13
	v_subrev_co_ci_u32_e64 v6, null, s12, v6, vcc_lo
	v_add_co_u32 v3, vcc_lo, s0, v7
	v_add_co_ci_u32_e64 v4, null, s1, v8, vcc_lo
	v_lshlrev_b64 v[12:13], 4, v[5:6]
	v_lshlrev_b64 v[5:6], 2, v[5:6]
	s_cmp_eq_u32 s9, 0
	v_add_co_u32 v7, vcc_lo, s10, v12
	v_add_co_ci_u32_e64 v8, null, s11, v13, vcc_lo
	v_add_co_u32 v12, vcc_lo, s4, v5
	v_add_co_ci_u32_e64 v13, null, s5, v6, vcc_lo
	;; [unrolled: 2-line block ×4, first 2 shown]
	s_cselect_b32 vcc_lo, -1, 0
.LBB277_5:                              ; =>This Inner Loop Header: Depth=1
	v_add_co_u32 v14, s0, v2, v9
	v_add_co_ci_u32_e64 v15, null, 0, v11, s0
	v_add_co_u32 v16, s0, v2, v10
	v_add_co_ci_u32_e64 v17, null, 0, v11, s0
	global_load_dword v32, v[3:4], off
	v_add_co_u32 v18, s0, v16, 16
	v_add_co_ci_u32_e64 v19, null, 0, v17, s0
	v_add_co_u32 v20, s0, 0x50, v14
	v_add_co_ci_u32_e64 v21, null, 0, v15, s0
	;; [unrolled: 2-line block ×7, first 2 shown]
	v_add_co_u32 v33, s0, 0x140, v14
	v_cndmask_b32_e32 v13, v15, v17, vcc_lo
	v_cndmask_b32_e32 v12, v14, v16, vcc_lo
	v_add_co_ci_u32_e64 v34, null, 0, v15, s0
	v_cndmask_b32_e32 v17, v21, v19, vcc_lo
	v_cndmask_b32_e32 v16, v20, v18, vcc_lo
	v_cndmask_b32_e32 v21, v25, v23, vcc_lo
	v_cndmask_b32_e32 v20, v24, v22, vcc_lo
	v_cndmask_b32_e32 v25, v29, v27, vcc_lo
	v_cndmask_b32_e32 v24, v28, v26, vcc_lo
	global_load_dwordx4 v[12:15], v[12:13], off
	v_cndmask_b32_e32 v29, v34, v31, vcc_lo
	v_cndmask_b32_e32 v28, v33, v30, vcc_lo
	global_load_dwordx4 v[16:19], v[16:17], off
	global_load_dwordx4 v[20:23], v[20:21], off
	;; [unrolled: 1-line block ×4, first 2 shown]
	v_add_co_u32 v0, s0, v0, 32
	v_add_co_ci_u32_e64 v1, null, 0, v1, s0
	v_add_co_u32 v3, s0, 0x80, v3
	v_add_co_ci_u32_e64 v4, null, 0, v4, s0
	;; [unrolled: 2-line block ×3, first 2 shown]
	v_cmp_le_i64_e64 s0, s[2:3], v[0:1]
	s_or_b32 s6, s0, s6
	s_waitcnt vmcnt(5)
	v_subrev_nc_u32_e32 v32, s7, v32
	v_mad_u64_u32 v[32:33], null, v32, 5, s[8:9]
	v_add_nc_u32_e32 v33, 1, v32
	v_add_nc_u32_e32 v34, 2, v32
	;; [unrolled: 1-line block ×3, first 2 shown]
	s_waitcnt vmcnt(4)
	global_store_dwordx4 v[5:6], v[12:15], off offset:-32
	v_add_nc_u32_e32 v12, 4, v32
	s_waitcnt vmcnt(3)
	global_store_dwordx4 v[5:6], v[16:19], off offset:-16
	s_waitcnt vmcnt(2)
	global_store_dwordx4 v[5:6], v[20:23], off
	s_waitcnt vmcnt(1)
	global_store_dwordx4 v[5:6], v[24:27], off offset:16
	s_waitcnt vmcnt(0)
	global_store_dwordx4 v[5:6], v[28:31], off offset:32
	v_add_co_u32 v5, s1, 0xa00, v5
	v_add_co_ci_u32_e64 v6, null, 0, v6, s1
	global_store_dwordx4 v[7:8], v[32:35], off offset:-8
	global_store_dword v[7:8], v12, off offset:8
	v_add_co_u32 v7, s1, 0x280, v7
	v_add_co_ci_u32_e64 v8, null, 0, v8, s1
	s_andn2_b32 exec_lo, exec_lo, s6
	s_cbranch_execnz .LBB277_5
.LBB277_6:
	s_endpgm
	.section	.rodata,"a",@progbits
	.p2align	6, 0x0
	.amdhsa_kernel _ZN9rocsparseL32bsr2csr_block_per_row_2_7_kernelILj256ELj5E21rocsparse_complex_numIdEliEEv20rocsparse_direction_T3_S4_21rocsparse_index_base_PKT1_PKT2_PKS4_S4_S5_PS6_PS9_PS4_
		.amdhsa_group_segment_fixed_size 0
		.amdhsa_private_segment_fixed_size 0
		.amdhsa_kernarg_size 72
		.amdhsa_user_sgpr_count 6
		.amdhsa_user_sgpr_private_segment_buffer 1
		.amdhsa_user_sgpr_dispatch_ptr 0
		.amdhsa_user_sgpr_queue_ptr 0
		.amdhsa_user_sgpr_kernarg_segment_ptr 1
		.amdhsa_user_sgpr_dispatch_id 0
		.amdhsa_user_sgpr_flat_scratch_init 0
		.amdhsa_user_sgpr_private_segment_size 0
		.amdhsa_wavefront_size32 1
		.amdhsa_uses_dynamic_stack 0
		.amdhsa_system_sgpr_private_segment_wavefront_offset 0
		.amdhsa_system_sgpr_workgroup_id_x 1
		.amdhsa_system_sgpr_workgroup_id_y 0
		.amdhsa_system_sgpr_workgroup_id_z 0
		.amdhsa_system_sgpr_workgroup_info 0
		.amdhsa_system_vgpr_workitem_id 0
		.amdhsa_next_free_vgpr 36
		.amdhsa_next_free_sgpr 15
		.amdhsa_reserve_vcc 1
		.amdhsa_reserve_flat_scratch 0
		.amdhsa_float_round_mode_32 0
		.amdhsa_float_round_mode_16_64 0
		.amdhsa_float_denorm_mode_32 3
		.amdhsa_float_denorm_mode_16_64 3
		.amdhsa_dx10_clamp 1
		.amdhsa_ieee_mode 1
		.amdhsa_fp16_overflow 0
		.amdhsa_workgroup_processor_mode 1
		.amdhsa_memory_ordered 1
		.amdhsa_forward_progress 1
		.amdhsa_shared_vgpr_count 0
		.amdhsa_exception_fp_ieee_invalid_op 0
		.amdhsa_exception_fp_denorm_src 0
		.amdhsa_exception_fp_ieee_div_zero 0
		.amdhsa_exception_fp_ieee_overflow 0
		.amdhsa_exception_fp_ieee_underflow 0
		.amdhsa_exception_fp_ieee_inexact 0
		.amdhsa_exception_int_div_zero 0
	.end_amdhsa_kernel
	.section	.text._ZN9rocsparseL32bsr2csr_block_per_row_2_7_kernelILj256ELj5E21rocsparse_complex_numIdEliEEv20rocsparse_direction_T3_S4_21rocsparse_index_base_PKT1_PKT2_PKS4_S4_S5_PS6_PS9_PS4_,"axG",@progbits,_ZN9rocsparseL32bsr2csr_block_per_row_2_7_kernelILj256ELj5E21rocsparse_complex_numIdEliEEv20rocsparse_direction_T3_S4_21rocsparse_index_base_PKT1_PKT2_PKS4_S4_S5_PS6_PS9_PS4_,comdat
.Lfunc_end277:
	.size	_ZN9rocsparseL32bsr2csr_block_per_row_2_7_kernelILj256ELj5E21rocsparse_complex_numIdEliEEv20rocsparse_direction_T3_S4_21rocsparse_index_base_PKT1_PKT2_PKS4_S4_S5_PS6_PS9_PS4_, .Lfunc_end277-_ZN9rocsparseL32bsr2csr_block_per_row_2_7_kernelILj256ELj5E21rocsparse_complex_numIdEliEEv20rocsparse_direction_T3_S4_21rocsparse_index_base_PKT1_PKT2_PKS4_S4_S5_PS6_PS9_PS4_
                                        ; -- End function
	.set _ZN9rocsparseL32bsr2csr_block_per_row_2_7_kernelILj256ELj5E21rocsparse_complex_numIdEliEEv20rocsparse_direction_T3_S4_21rocsparse_index_base_PKT1_PKT2_PKS4_S4_S5_PS6_PS9_PS4_.num_vgpr, 36
	.set _ZN9rocsparseL32bsr2csr_block_per_row_2_7_kernelILj256ELj5E21rocsparse_complex_numIdEliEEv20rocsparse_direction_T3_S4_21rocsparse_index_base_PKT1_PKT2_PKS4_S4_S5_PS6_PS9_PS4_.num_agpr, 0
	.set _ZN9rocsparseL32bsr2csr_block_per_row_2_7_kernelILj256ELj5E21rocsparse_complex_numIdEliEEv20rocsparse_direction_T3_S4_21rocsparse_index_base_PKT1_PKT2_PKS4_S4_S5_PS6_PS9_PS4_.numbered_sgpr, 15
	.set _ZN9rocsparseL32bsr2csr_block_per_row_2_7_kernelILj256ELj5E21rocsparse_complex_numIdEliEEv20rocsparse_direction_T3_S4_21rocsparse_index_base_PKT1_PKT2_PKS4_S4_S5_PS6_PS9_PS4_.num_named_barrier, 0
	.set _ZN9rocsparseL32bsr2csr_block_per_row_2_7_kernelILj256ELj5E21rocsparse_complex_numIdEliEEv20rocsparse_direction_T3_S4_21rocsparse_index_base_PKT1_PKT2_PKS4_S4_S5_PS6_PS9_PS4_.private_seg_size, 0
	.set _ZN9rocsparseL32bsr2csr_block_per_row_2_7_kernelILj256ELj5E21rocsparse_complex_numIdEliEEv20rocsparse_direction_T3_S4_21rocsparse_index_base_PKT1_PKT2_PKS4_S4_S5_PS6_PS9_PS4_.uses_vcc, 1
	.set _ZN9rocsparseL32bsr2csr_block_per_row_2_7_kernelILj256ELj5E21rocsparse_complex_numIdEliEEv20rocsparse_direction_T3_S4_21rocsparse_index_base_PKT1_PKT2_PKS4_S4_S5_PS6_PS9_PS4_.uses_flat_scratch, 0
	.set _ZN9rocsparseL32bsr2csr_block_per_row_2_7_kernelILj256ELj5E21rocsparse_complex_numIdEliEEv20rocsparse_direction_T3_S4_21rocsparse_index_base_PKT1_PKT2_PKS4_S4_S5_PS6_PS9_PS4_.has_dyn_sized_stack, 0
	.set _ZN9rocsparseL32bsr2csr_block_per_row_2_7_kernelILj256ELj5E21rocsparse_complex_numIdEliEEv20rocsparse_direction_T3_S4_21rocsparse_index_base_PKT1_PKT2_PKS4_S4_S5_PS6_PS9_PS4_.has_recursion, 0
	.set _ZN9rocsparseL32bsr2csr_block_per_row_2_7_kernelILj256ELj5E21rocsparse_complex_numIdEliEEv20rocsparse_direction_T3_S4_21rocsparse_index_base_PKT1_PKT2_PKS4_S4_S5_PS6_PS9_PS4_.has_indirect_call, 0
	.section	.AMDGPU.csdata,"",@progbits
; Kernel info:
; codeLenInByte = 1060
; TotalNumSgprs: 17
; NumVgprs: 36
; ScratchSize: 0
; MemoryBound: 0
; FloatMode: 240
; IeeeMode: 1
; LDSByteSize: 0 bytes/workgroup (compile time only)
; SGPRBlocks: 0
; VGPRBlocks: 4
; NumSGPRsForWavesPerEU: 17
; NumVGPRsForWavesPerEU: 36
; Occupancy: 16
; WaveLimiterHint : 0
; COMPUTE_PGM_RSRC2:SCRATCH_EN: 0
; COMPUTE_PGM_RSRC2:USER_SGPR: 6
; COMPUTE_PGM_RSRC2:TRAP_HANDLER: 0
; COMPUTE_PGM_RSRC2:TGID_X_EN: 1
; COMPUTE_PGM_RSRC2:TGID_Y_EN: 0
; COMPUTE_PGM_RSRC2:TGID_Z_EN: 0
; COMPUTE_PGM_RSRC2:TIDIG_COMP_CNT: 0
	.section	.text._ZN9rocsparseL32bsr2csr_block_per_row_2_7_kernelILj256ELj6E21rocsparse_complex_numIdEliEEv20rocsparse_direction_T3_S4_21rocsparse_index_base_PKT1_PKT2_PKS4_S4_S5_PS6_PS9_PS4_,"axG",@progbits,_ZN9rocsparseL32bsr2csr_block_per_row_2_7_kernelILj256ELj6E21rocsparse_complex_numIdEliEEv20rocsparse_direction_T3_S4_21rocsparse_index_base_PKT1_PKT2_PKS4_S4_S5_PS6_PS9_PS4_,comdat
	.globl	_ZN9rocsparseL32bsr2csr_block_per_row_2_7_kernelILj256ELj6E21rocsparse_complex_numIdEliEEv20rocsparse_direction_T3_S4_21rocsparse_index_base_PKT1_PKT2_PKS4_S4_S5_PS6_PS9_PS4_ ; -- Begin function _ZN9rocsparseL32bsr2csr_block_per_row_2_7_kernelILj256ELj6E21rocsparse_complex_numIdEliEEv20rocsparse_direction_T3_S4_21rocsparse_index_base_PKT1_PKT2_PKS4_S4_S5_PS6_PS9_PS4_
	.p2align	8
	.type	_ZN9rocsparseL32bsr2csr_block_per_row_2_7_kernelILj256ELj6E21rocsparse_complex_numIdEliEEv20rocsparse_direction_T3_S4_21rocsparse_index_base_PKT1_PKT2_PKS4_S4_S5_PS6_PS9_PS4_,@function
_ZN9rocsparseL32bsr2csr_block_per_row_2_7_kernelILj256ELj6E21rocsparse_complex_numIdEliEEv20rocsparse_direction_T3_S4_21rocsparse_index_base_PKT1_PKT2_PKS4_S4_S5_PS6_PS9_PS4_: ; @_ZN9rocsparseL32bsr2csr_block_per_row_2_7_kernelILj256ELj6E21rocsparse_complex_numIdEliEEv20rocsparse_direction_T3_S4_21rocsparse_index_base_PKT1_PKT2_PKS4_S4_S5_PS6_PS9_PS4_
; %bb.0:
	s_clause 0x2
	s_load_dwordx2 s[0:1], s[4:5], 0x18
	s_load_dword s8, s[4:5], 0x2c
	s_load_dwordx2 s[10:11], s[4:5], 0x38
	s_ashr_i32 s7, s6, 31
	v_or_b32_e32 v1, s6, v0
	s_lshl_b64 s[2:3], s[6:7], 3
	s_waitcnt lgkmcnt(0)
	s_add_u32 s0, s0, s2
	s_addc_u32 s1, s1, s3
	s_mov_b32 s2, exec_lo
	v_cmpx_eq_u32_e32 0, v1
	s_cbranch_execz .LBB278_2
; %bb.1:
	v_mov_b32_e32 v1, s8
	v_mov_b32_e32 v2, 0
	global_store_dwordx2 v2, v[1:2], s[10:11]
.LBB278_2:
	s_or_b32 exec_lo, exec_lo, s2
	v_and_b32_e32 v4, 7, v0
	s_mov_b32 s2, exec_lo
	v_cmpx_gt_u32_e32 6, v4
	s_cbranch_execz .LBB278_6
; %bb.3:
	s_load_dwordx4 s[0:3], s[0:1], 0x0
	s_load_dword s7, s[4:5], 0xc
	s_mul_i32 s6, s6, 6
	v_mov_b32_e32 v2, 0
	v_add3_u32 v1, v4, s6, 1
	v_lshrrev_b32_e32 v5, 3, v0
	v_lshlrev_b64 v[6:7], 3, v[1:2]
	v_add_co_u32 v6, vcc_lo, s10, v6
	v_add_co_ci_u32_e64 v7, null, s11, v7, vcc_lo
	s_waitcnt lgkmcnt(0)
	s_sub_u32 s6, s0, s7
	s_subb_u32 s9, s1, 0
	s_mul_hi_u32 s12, s6, 36
	s_mul_i32 s13, s9, 36
	s_sub_u32 s2, s2, s7
	s_subb_u32 s3, s3, 0
	s_add_i32 s12, s12, s13
	s_sub_u32 s13, s2, s6
	s_subb_u32 s11, s3, s9
	s_mul_i32 s14, s13, 6
	s_mul_hi_u32 s13, s13, 6
	v_mad_u64_u32 v[2:3], null, s14, v4, 0
	s_mul_i32 s11, s11, 6
	s_mul_i32 s10, s6, 36
	s_add_i32 s13, s13, s11
	v_add_co_u32 v0, s6, s6, v5
	v_add_co_ci_u32_e64 v1, null, s9, 0, s6
	v_mad_u64_u32 v[8:9], null, s13, v4, v[3:4]
	s_add_u32 s6, s14, s8
	s_addc_u32 s9, s13, 0
	s_add_u32 s6, s6, s10
	s_addc_u32 s9, s9, s12
	v_add_co_u32 v9, vcc_lo, s6, v2
	v_add_co_ci_u32_e64 v10, null, s9, v8, vcc_lo
	v_cmp_gt_i64_e32 vcc_lo, s[2:3], v[0:1]
	v_mov_b32_e32 v3, v8
	s_mov_b32 s6, 0
	global_store_dwordx2 v[6:7], v[9:10], off
	s_and_b32 exec_lo, exec_lo, vcc_lo
	s_cbranch_execz .LBB278_6
; %bb.4:
	v_mad_u64_u32 v[6:7], null, s0, 36, v[2:3]
	s_clause 0x1
	s_load_dwordx2 s[10:11], s[4:5], 0x30
	s_load_dwordx2 s[12:13], s[4:5], 0x10
	v_mul_u32_u24_e32 v10, 6, v4
	v_lshlrev_b32_e32 v9, 4, v4
	v_lshlrev_b32_e32 v10, 4, v10
	v_mov_b32_e32 v2, v7
	v_mad_u64_u32 v[2:3], null, s1, 36, v[2:3]
	s_clause 0x2
	s_load_dwordx2 s[0:1], s[4:5], 0x20
	s_load_dword s9, s[4:5], 0x0
	s_load_dwordx2 s[4:5], s[4:5], 0x40
	v_mov_b32_e32 v7, v2
	s_waitcnt lgkmcnt(0)
	v_mad_u64_u32 v[2:3], null, 0x240, v0, s[12:13]
	s_mul_i32 s13, s7, 36
	s_mul_hi_u32 s12, s7, 36
	v_mad_u64_u32 v[5:6], null, v5, 6, v[6:7]
	v_lshlrev_b64 v[7:8], 2, v[0:1]
	v_mad_u64_u32 v[11:12], null, 0x240, v1, v[3:4]
	v_sub_co_u32 v5, vcc_lo, v5, s13
	v_subrev_co_ci_u32_e64 v6, null, s12, v6, vcc_lo
	v_add_co_u32 v3, vcc_lo, s0, v7
	v_add_co_ci_u32_e64 v4, null, s1, v8, vcc_lo
	v_lshlrev_b64 v[12:13], 4, v[5:6]
	v_lshlrev_b64 v[5:6], 2, v[5:6]
	s_cmp_eq_u32 s9, 0
	v_add_co_u32 v7, vcc_lo, s10, v12
	v_add_co_ci_u32_e64 v8, null, s11, v13, vcc_lo
	v_add_co_u32 v12, vcc_lo, s4, v5
	v_add_co_ci_u32_e64 v13, null, s5, v6, vcc_lo
	;; [unrolled: 2-line block ×4, first 2 shown]
	s_cselect_b32 vcc_lo, -1, 0
.LBB278_5:                              ; =>This Inner Loop Header: Depth=1
	v_add_co_u32 v14, s0, v2, v9
	v_add_co_ci_u32_e64 v15, null, 0, v11, s0
	v_add_co_u32 v16, s0, v2, v10
	v_add_co_ci_u32_e64 v17, null, 0, v11, s0
	global_load_dword v36, v[3:4], off
	v_add_co_u32 v18, s0, v16, 16
	v_add_co_ci_u32_e64 v19, null, 0, v17, s0
	v_add_co_u32 v20, s0, 0x60, v14
	v_add_co_ci_u32_e64 v21, null, 0, v15, s0
	v_add_co_u32 v22, s0, v16, 32
	v_add_co_ci_u32_e64 v23, null, 0, v17, s0
	v_add_co_u32 v24, s0, 0xc0, v14
	v_add_co_ci_u32_e64 v25, null, 0, v15, s0
	v_add_co_u32 v26, s0, v16, 48
	v_add_co_ci_u32_e64 v27, null, 0, v17, s0
	v_add_co_u32 v28, s0, 0x120, v14
	v_add_co_ci_u32_e64 v29, null, 0, v15, s0
	v_add_co_u32 v30, s0, v16, 64
	v_add_co_ci_u32_e64 v31, null, 0, v17, s0
	v_add_co_u32 v32, s0, 0x180, v14
	v_add_co_ci_u32_e64 v33, null, 0, v15, s0
	v_add_co_u32 v34, s0, 0x50, v16
	v_add_co_ci_u32_e64 v35, null, 0, v17, s0
	v_add_co_u32 v37, s0, 0x1e0, v14
	v_cndmask_b32_e32 v13, v15, v17, vcc_lo
	v_cndmask_b32_e32 v12, v14, v16, vcc_lo
	v_add_co_ci_u32_e64 v38, null, 0, v15, s0
	v_cndmask_b32_e32 v17, v21, v19, vcc_lo
	v_cndmask_b32_e32 v16, v20, v18, vcc_lo
	;; [unrolled: 1-line block ×6, first 2 shown]
	global_load_dwordx4 v[12:15], v[12:13], off
	v_cndmask_b32_e32 v29, v33, v31, vcc_lo
	v_cndmask_b32_e32 v28, v32, v30, vcc_lo
	;; [unrolled: 1-line block ×4, first 2 shown]
	global_load_dwordx4 v[16:19], v[16:17], off
	global_load_dwordx4 v[20:23], v[20:21], off
	;; [unrolled: 1-line block ×5, first 2 shown]
	v_add_co_u32 v0, s0, v0, 32
	v_add_co_ci_u32_e64 v1, null, 0, v1, s0
	v_add_co_u32 v3, s0, 0x80, v3
	v_add_co_ci_u32_e64 v4, null, 0, v4, s0
	;; [unrolled: 2-line block ×3, first 2 shown]
	v_cmp_le_i64_e64 s0, s[2:3], v[0:1]
	s_or_b32 s6, s0, s6
	s_waitcnt vmcnt(6)
	v_subrev_nc_u32_e32 v36, s7, v36
	v_mad_u64_u32 v[36:37], null, v36, 6, s[8:9]
	v_add_nc_u32_e32 v37, 1, v36
	v_add_nc_u32_e32 v38, 2, v36
	v_add_nc_u32_e32 v39, 3, v36
	s_waitcnt vmcnt(5)
	global_store_dwordx4 v[5:6], v[12:15], off offset:-48
	v_add_nc_u32_e32 v12, 4, v36
	v_add_nc_u32_e32 v13, 5, v36
	s_waitcnt vmcnt(4)
	global_store_dwordx4 v[5:6], v[16:19], off offset:-32
	s_waitcnt vmcnt(3)
	global_store_dwordx4 v[5:6], v[20:23], off offset:-16
	s_waitcnt vmcnt(2)
	global_store_dwordx4 v[5:6], v[24:27], off
	s_waitcnt vmcnt(1)
	global_store_dwordx4 v[5:6], v[28:31], off offset:16
	s_waitcnt vmcnt(0)
	global_store_dwordx4 v[5:6], v[32:35], off offset:32
	v_add_co_u32 v5, s1, 0xc00, v5
	v_add_co_ci_u32_e64 v6, null, 0, v6, s1
	global_store_dwordx4 v[7:8], v[36:39], off offset:-12
	global_store_dwordx2 v[7:8], v[12:13], off offset:4
	v_add_co_u32 v7, s1, 0x300, v7
	v_add_co_ci_u32_e64 v8, null, 0, v8, s1
	s_andn2_b32 exec_lo, exec_lo, s6
	s_cbranch_execnz .LBB278_5
.LBB278_6:
	s_endpgm
	.section	.rodata,"a",@progbits
	.p2align	6, 0x0
	.amdhsa_kernel _ZN9rocsparseL32bsr2csr_block_per_row_2_7_kernelILj256ELj6E21rocsparse_complex_numIdEliEEv20rocsparse_direction_T3_S4_21rocsparse_index_base_PKT1_PKT2_PKS4_S4_S5_PS6_PS9_PS4_
		.amdhsa_group_segment_fixed_size 0
		.amdhsa_private_segment_fixed_size 0
		.amdhsa_kernarg_size 72
		.amdhsa_user_sgpr_count 6
		.amdhsa_user_sgpr_private_segment_buffer 1
		.amdhsa_user_sgpr_dispatch_ptr 0
		.amdhsa_user_sgpr_queue_ptr 0
		.amdhsa_user_sgpr_kernarg_segment_ptr 1
		.amdhsa_user_sgpr_dispatch_id 0
		.amdhsa_user_sgpr_flat_scratch_init 0
		.amdhsa_user_sgpr_private_segment_size 0
		.amdhsa_wavefront_size32 1
		.amdhsa_uses_dynamic_stack 0
		.amdhsa_system_sgpr_private_segment_wavefront_offset 0
		.amdhsa_system_sgpr_workgroup_id_x 1
		.amdhsa_system_sgpr_workgroup_id_y 0
		.amdhsa_system_sgpr_workgroup_id_z 0
		.amdhsa_system_sgpr_workgroup_info 0
		.amdhsa_system_vgpr_workitem_id 0
		.amdhsa_next_free_vgpr 40
		.amdhsa_next_free_sgpr 15
		.amdhsa_reserve_vcc 1
		.amdhsa_reserve_flat_scratch 0
		.amdhsa_float_round_mode_32 0
		.amdhsa_float_round_mode_16_64 0
		.amdhsa_float_denorm_mode_32 3
		.amdhsa_float_denorm_mode_16_64 3
		.amdhsa_dx10_clamp 1
		.amdhsa_ieee_mode 1
		.amdhsa_fp16_overflow 0
		.amdhsa_workgroup_processor_mode 1
		.amdhsa_memory_ordered 1
		.amdhsa_forward_progress 1
		.amdhsa_shared_vgpr_count 0
		.amdhsa_exception_fp_ieee_invalid_op 0
		.amdhsa_exception_fp_denorm_src 0
		.amdhsa_exception_fp_ieee_div_zero 0
		.amdhsa_exception_fp_ieee_overflow 0
		.amdhsa_exception_fp_ieee_underflow 0
		.amdhsa_exception_fp_ieee_inexact 0
		.amdhsa_exception_int_div_zero 0
	.end_amdhsa_kernel
	.section	.text._ZN9rocsparseL32bsr2csr_block_per_row_2_7_kernelILj256ELj6E21rocsparse_complex_numIdEliEEv20rocsparse_direction_T3_S4_21rocsparse_index_base_PKT1_PKT2_PKS4_S4_S5_PS6_PS9_PS4_,"axG",@progbits,_ZN9rocsparseL32bsr2csr_block_per_row_2_7_kernelILj256ELj6E21rocsparse_complex_numIdEliEEv20rocsparse_direction_T3_S4_21rocsparse_index_base_PKT1_PKT2_PKS4_S4_S5_PS6_PS9_PS4_,comdat
.Lfunc_end278:
	.size	_ZN9rocsparseL32bsr2csr_block_per_row_2_7_kernelILj256ELj6E21rocsparse_complex_numIdEliEEv20rocsparse_direction_T3_S4_21rocsparse_index_base_PKT1_PKT2_PKS4_S4_S5_PS6_PS9_PS4_, .Lfunc_end278-_ZN9rocsparseL32bsr2csr_block_per_row_2_7_kernelILj256ELj6E21rocsparse_complex_numIdEliEEv20rocsparse_direction_T3_S4_21rocsparse_index_base_PKT1_PKT2_PKS4_S4_S5_PS6_PS9_PS4_
                                        ; -- End function
	.set _ZN9rocsparseL32bsr2csr_block_per_row_2_7_kernelILj256ELj6E21rocsparse_complex_numIdEliEEv20rocsparse_direction_T3_S4_21rocsparse_index_base_PKT1_PKT2_PKS4_S4_S5_PS6_PS9_PS4_.num_vgpr, 40
	.set _ZN9rocsparseL32bsr2csr_block_per_row_2_7_kernelILj256ELj6E21rocsparse_complex_numIdEliEEv20rocsparse_direction_T3_S4_21rocsparse_index_base_PKT1_PKT2_PKS4_S4_S5_PS6_PS9_PS4_.num_agpr, 0
	.set _ZN9rocsparseL32bsr2csr_block_per_row_2_7_kernelILj256ELj6E21rocsparse_complex_numIdEliEEv20rocsparse_direction_T3_S4_21rocsparse_index_base_PKT1_PKT2_PKS4_S4_S5_PS6_PS9_PS4_.numbered_sgpr, 15
	.set _ZN9rocsparseL32bsr2csr_block_per_row_2_7_kernelILj256ELj6E21rocsparse_complex_numIdEliEEv20rocsparse_direction_T3_S4_21rocsparse_index_base_PKT1_PKT2_PKS4_S4_S5_PS6_PS9_PS4_.num_named_barrier, 0
	.set _ZN9rocsparseL32bsr2csr_block_per_row_2_7_kernelILj256ELj6E21rocsparse_complex_numIdEliEEv20rocsparse_direction_T3_S4_21rocsparse_index_base_PKT1_PKT2_PKS4_S4_S5_PS6_PS9_PS4_.private_seg_size, 0
	.set _ZN9rocsparseL32bsr2csr_block_per_row_2_7_kernelILj256ELj6E21rocsparse_complex_numIdEliEEv20rocsparse_direction_T3_S4_21rocsparse_index_base_PKT1_PKT2_PKS4_S4_S5_PS6_PS9_PS4_.uses_vcc, 1
	.set _ZN9rocsparseL32bsr2csr_block_per_row_2_7_kernelILj256ELj6E21rocsparse_complex_numIdEliEEv20rocsparse_direction_T3_S4_21rocsparse_index_base_PKT1_PKT2_PKS4_S4_S5_PS6_PS9_PS4_.uses_flat_scratch, 0
	.set _ZN9rocsparseL32bsr2csr_block_per_row_2_7_kernelILj256ELj6E21rocsparse_complex_numIdEliEEv20rocsparse_direction_T3_S4_21rocsparse_index_base_PKT1_PKT2_PKS4_S4_S5_PS6_PS9_PS4_.has_dyn_sized_stack, 0
	.set _ZN9rocsparseL32bsr2csr_block_per_row_2_7_kernelILj256ELj6E21rocsparse_complex_numIdEliEEv20rocsparse_direction_T3_S4_21rocsparse_index_base_PKT1_PKT2_PKS4_S4_S5_PS6_PS9_PS4_.has_recursion, 0
	.set _ZN9rocsparseL32bsr2csr_block_per_row_2_7_kernelILj256ELj6E21rocsparse_complex_numIdEliEEv20rocsparse_direction_T3_S4_21rocsparse_index_base_PKT1_PKT2_PKS4_S4_S5_PS6_PS9_PS4_.has_indirect_call, 0
	.section	.AMDGPU.csdata,"",@progbits
; Kernel info:
; codeLenInByte = 1132
; TotalNumSgprs: 17
; NumVgprs: 40
; ScratchSize: 0
; MemoryBound: 0
; FloatMode: 240
; IeeeMode: 1
; LDSByteSize: 0 bytes/workgroup (compile time only)
; SGPRBlocks: 0
; VGPRBlocks: 4
; NumSGPRsForWavesPerEU: 17
; NumVGPRsForWavesPerEU: 40
; Occupancy: 16
; WaveLimiterHint : 0
; COMPUTE_PGM_RSRC2:SCRATCH_EN: 0
; COMPUTE_PGM_RSRC2:USER_SGPR: 6
; COMPUTE_PGM_RSRC2:TRAP_HANDLER: 0
; COMPUTE_PGM_RSRC2:TGID_X_EN: 1
; COMPUTE_PGM_RSRC2:TGID_Y_EN: 0
; COMPUTE_PGM_RSRC2:TGID_Z_EN: 0
; COMPUTE_PGM_RSRC2:TIDIG_COMP_CNT: 0
	.section	.text._ZN9rocsparseL32bsr2csr_block_per_row_2_7_kernelILj256ELj7E21rocsparse_complex_numIdEliEEv20rocsparse_direction_T3_S4_21rocsparse_index_base_PKT1_PKT2_PKS4_S4_S5_PS6_PS9_PS4_,"axG",@progbits,_ZN9rocsparseL32bsr2csr_block_per_row_2_7_kernelILj256ELj7E21rocsparse_complex_numIdEliEEv20rocsparse_direction_T3_S4_21rocsparse_index_base_PKT1_PKT2_PKS4_S4_S5_PS6_PS9_PS4_,comdat
	.globl	_ZN9rocsparseL32bsr2csr_block_per_row_2_7_kernelILj256ELj7E21rocsparse_complex_numIdEliEEv20rocsparse_direction_T3_S4_21rocsparse_index_base_PKT1_PKT2_PKS4_S4_S5_PS6_PS9_PS4_ ; -- Begin function _ZN9rocsparseL32bsr2csr_block_per_row_2_7_kernelILj256ELj7E21rocsparse_complex_numIdEliEEv20rocsparse_direction_T3_S4_21rocsparse_index_base_PKT1_PKT2_PKS4_S4_S5_PS6_PS9_PS4_
	.p2align	8
	.type	_ZN9rocsparseL32bsr2csr_block_per_row_2_7_kernelILj256ELj7E21rocsparse_complex_numIdEliEEv20rocsparse_direction_T3_S4_21rocsparse_index_base_PKT1_PKT2_PKS4_S4_S5_PS6_PS9_PS4_,@function
_ZN9rocsparseL32bsr2csr_block_per_row_2_7_kernelILj256ELj7E21rocsparse_complex_numIdEliEEv20rocsparse_direction_T3_S4_21rocsparse_index_base_PKT1_PKT2_PKS4_S4_S5_PS6_PS9_PS4_: ; @_ZN9rocsparseL32bsr2csr_block_per_row_2_7_kernelILj256ELj7E21rocsparse_complex_numIdEliEEv20rocsparse_direction_T3_S4_21rocsparse_index_base_PKT1_PKT2_PKS4_S4_S5_PS6_PS9_PS4_
; %bb.0:
	s_clause 0x2
	s_load_dwordx2 s[0:1], s[4:5], 0x18
	s_load_dword s8, s[4:5], 0x2c
	s_load_dwordx2 s[10:11], s[4:5], 0x38
	s_ashr_i32 s7, s6, 31
	v_or_b32_e32 v1, s6, v0
	s_lshl_b64 s[2:3], s[6:7], 3
	s_waitcnt lgkmcnt(0)
	s_add_u32 s0, s0, s2
	s_addc_u32 s1, s1, s3
	s_mov_b32 s2, exec_lo
	v_cmpx_eq_u32_e32 0, v1
	s_cbranch_execz .LBB279_2
; %bb.1:
	v_mov_b32_e32 v1, s8
	v_mov_b32_e32 v2, 0
	global_store_dwordx2 v2, v[1:2], s[10:11]
.LBB279_2:
	s_or_b32 exec_lo, exec_lo, s2
	v_and_b32_e32 v4, 7, v0
	s_mov_b32 s2, exec_lo
	v_cmpx_ne_u32_e32 7, v4
	s_cbranch_execz .LBB279_6
; %bb.3:
	s_load_dwordx4 s[0:3], s[0:1], 0x0
	s_load_dword s7, s[4:5], 0xc
	s_mul_i32 s6, s6, 7
	v_mov_b32_e32 v2, 0
	v_add3_u32 v1, v4, s6, 1
	v_lshrrev_b32_e32 v5, 3, v0
	v_lshlrev_b64 v[6:7], 3, v[1:2]
	v_add_co_u32 v6, vcc_lo, s10, v6
	v_add_co_ci_u32_e64 v7, null, s11, v7, vcc_lo
	s_waitcnt lgkmcnt(0)
	s_sub_u32 s6, s0, s7
	s_subb_u32 s9, s1, 0
	s_mul_hi_u32 s12, s6, 49
	s_mul_i32 s13, s9, 49
	s_sub_u32 s2, s2, s7
	s_subb_u32 s3, s3, 0
	s_add_i32 s12, s12, s13
	s_sub_u32 s13, s2, s6
	s_subb_u32 s11, s3, s9
	s_mul_i32 s14, s13, 7
	s_mul_hi_u32 s13, s13, 7
	v_mad_u64_u32 v[2:3], null, s14, v4, 0
	s_mul_i32 s11, s11, 7
	s_mul_i32 s10, s6, 49
	s_add_i32 s13, s13, s11
	v_add_co_u32 v0, s6, s6, v5
	v_add_co_ci_u32_e64 v1, null, s9, 0, s6
	v_mad_u64_u32 v[8:9], null, s13, v4, v[3:4]
	s_add_u32 s6, s14, s8
	s_addc_u32 s9, s13, 0
	s_add_u32 s6, s6, s10
	s_addc_u32 s9, s9, s12
	v_add_co_u32 v9, vcc_lo, s6, v2
	v_add_co_ci_u32_e64 v10, null, s9, v8, vcc_lo
	v_cmp_gt_i64_e32 vcc_lo, s[2:3], v[0:1]
	v_mov_b32_e32 v3, v8
	s_mov_b32 s6, 0
	global_store_dwordx2 v[6:7], v[9:10], off
	s_and_b32 exec_lo, exec_lo, vcc_lo
	s_cbranch_execz .LBB279_6
; %bb.4:
	v_mad_u64_u32 v[6:7], null, s0, 49, v[2:3]
	s_clause 0x1
	s_load_dwordx2 s[10:11], s[4:5], 0x30
	s_load_dwordx2 s[12:13], s[4:5], 0x10
	v_mul_u32_u24_e32 v10, 7, v4
	v_lshlrev_b32_e32 v9, 4, v4
	v_lshlrev_b32_e32 v10, 4, v10
	v_mov_b32_e32 v2, v7
	v_mad_u64_u32 v[2:3], null, s1, 49, v[2:3]
	s_clause 0x2
	s_load_dwordx2 s[0:1], s[4:5], 0x20
	s_load_dword s9, s[4:5], 0x0
	s_load_dwordx2 s[4:5], s[4:5], 0x40
	v_mov_b32_e32 v7, v2
	s_waitcnt lgkmcnt(0)
	v_mad_u64_u32 v[2:3], null, 0x310, v0, s[12:13]
	s_mul_i32 s13, s7, 49
	s_mul_hi_u32 s12, s7, 49
	v_mad_u64_u32 v[5:6], null, v5, 7, v[6:7]
	v_lshlrev_b64 v[7:8], 2, v[0:1]
	v_mad_u64_u32 v[11:12], null, 0x310, v1, v[3:4]
	v_sub_co_u32 v5, vcc_lo, v5, s13
	v_subrev_co_ci_u32_e64 v6, null, s12, v6, vcc_lo
	v_add_co_u32 v3, vcc_lo, s0, v7
	v_add_co_ci_u32_e64 v4, null, s1, v8, vcc_lo
	v_lshlrev_b64 v[12:13], 4, v[5:6]
	v_lshlrev_b64 v[5:6], 2, v[5:6]
	s_cmp_eq_u32 s9, 0
	v_add_co_u32 v7, vcc_lo, s10, v12
	v_add_co_ci_u32_e64 v8, null, s11, v13, vcc_lo
	v_add_co_u32 v12, vcc_lo, s4, v5
	v_add_co_ci_u32_e64 v13, null, s5, v6, vcc_lo
	;; [unrolled: 2-line block ×4, first 2 shown]
	s_cselect_b32 vcc_lo, -1, 0
.LBB279_5:                              ; =>This Inner Loop Header: Depth=1
	v_add_co_u32 v14, s0, v2, v9
	v_add_co_ci_u32_e64 v15, null, 0, v11, s0
	v_add_co_u32 v16, s0, v2, v10
	v_add_co_ci_u32_e64 v17, null, 0, v11, s0
	global_load_dword v40, v[3:4], off
	v_add_co_u32 v18, s0, v16, 16
	v_add_co_ci_u32_e64 v19, null, 0, v17, s0
	v_add_co_u32 v20, s0, 0x70, v14
	v_add_co_ci_u32_e64 v21, null, 0, v15, s0
	;; [unrolled: 2-line block ×11, first 2 shown]
	v_add_co_u32 v41, s0, 0x2a0, v14
	v_cndmask_b32_e32 v13, v15, v17, vcc_lo
	v_cndmask_b32_e32 v12, v14, v16, vcc_lo
	v_add_co_ci_u32_e64 v42, null, 0, v15, s0
	v_cndmask_b32_e32 v17, v21, v19, vcc_lo
	v_cndmask_b32_e32 v16, v20, v18, vcc_lo
	;; [unrolled: 1-line block ×6, first 2 shown]
	global_load_dwordx4 v[12:15], v[12:13], off
	v_cndmask_b32_e32 v29, v33, v31, vcc_lo
	v_cndmask_b32_e32 v28, v32, v30, vcc_lo
	;; [unrolled: 1-line block ×6, first 2 shown]
	global_load_dwordx4 v[16:19], v[16:17], off
	global_load_dwordx4 v[20:23], v[20:21], off
	;; [unrolled: 1-line block ×6, first 2 shown]
	v_add_co_u32 v0, s0, v0, 32
	v_add_co_ci_u32_e64 v1, null, 0, v1, s0
	v_add_co_u32 v3, s0, 0x80, v3
	v_add_co_ci_u32_e64 v4, null, 0, v4, s0
	;; [unrolled: 2-line block ×3, first 2 shown]
	v_cmp_le_i64_e64 s0, s[2:3], v[0:1]
	s_or_b32 s6, s0, s6
	s_waitcnt vmcnt(7)
	v_subrev_nc_u32_e32 v40, s7, v40
	v_mad_u64_u32 v[40:41], null, v40, 7, s[8:9]
	v_add_nc_u32_e32 v41, 1, v40
	v_add_nc_u32_e32 v42, 2, v40
	;; [unrolled: 1-line block ×3, first 2 shown]
	s_waitcnt vmcnt(6)
	global_store_dwordx4 v[5:6], v[12:15], off offset:-48
	v_add_nc_u32_e32 v12, 4, v40
	v_add_nc_u32_e32 v13, 5, v40
	;; [unrolled: 1-line block ×3, first 2 shown]
	s_waitcnt vmcnt(5)
	global_store_dwordx4 v[5:6], v[16:19], off offset:-32
	s_waitcnt vmcnt(4)
	global_store_dwordx4 v[5:6], v[20:23], off offset:-16
	s_waitcnt vmcnt(3)
	global_store_dwordx4 v[5:6], v[24:27], off
	s_waitcnt vmcnt(2)
	global_store_dwordx4 v[5:6], v[28:31], off offset:16
	s_waitcnt vmcnt(1)
	global_store_dwordx4 v[5:6], v[32:35], off offset:32
	;; [unrolled: 2-line block ×3, first 2 shown]
	v_add_co_u32 v5, s1, 0xe00, v5
	v_add_co_ci_u32_e64 v6, null, 0, v6, s1
	global_store_dwordx4 v[7:8], v[40:43], off offset:-12
	global_store_dwordx3 v[7:8], v[12:14], off offset:4
	v_add_co_u32 v7, s1, 0x380, v7
	v_add_co_ci_u32_e64 v8, null, 0, v8, s1
	s_andn2_b32 exec_lo, exec_lo, s6
	s_cbranch_execnz .LBB279_5
.LBB279_6:
	s_endpgm
	.section	.rodata,"a",@progbits
	.p2align	6, 0x0
	.amdhsa_kernel _ZN9rocsparseL32bsr2csr_block_per_row_2_7_kernelILj256ELj7E21rocsparse_complex_numIdEliEEv20rocsparse_direction_T3_S4_21rocsparse_index_base_PKT1_PKT2_PKS4_S4_S5_PS6_PS9_PS4_
		.amdhsa_group_segment_fixed_size 0
		.amdhsa_private_segment_fixed_size 0
		.amdhsa_kernarg_size 72
		.amdhsa_user_sgpr_count 6
		.amdhsa_user_sgpr_private_segment_buffer 1
		.amdhsa_user_sgpr_dispatch_ptr 0
		.amdhsa_user_sgpr_queue_ptr 0
		.amdhsa_user_sgpr_kernarg_segment_ptr 1
		.amdhsa_user_sgpr_dispatch_id 0
		.amdhsa_user_sgpr_flat_scratch_init 0
		.amdhsa_user_sgpr_private_segment_size 0
		.amdhsa_wavefront_size32 1
		.amdhsa_uses_dynamic_stack 0
		.amdhsa_system_sgpr_private_segment_wavefront_offset 0
		.amdhsa_system_sgpr_workgroup_id_x 1
		.amdhsa_system_sgpr_workgroup_id_y 0
		.amdhsa_system_sgpr_workgroup_id_z 0
		.amdhsa_system_sgpr_workgroup_info 0
		.amdhsa_system_vgpr_workitem_id 0
		.amdhsa_next_free_vgpr 44
		.amdhsa_next_free_sgpr 15
		.amdhsa_reserve_vcc 1
		.amdhsa_reserve_flat_scratch 0
		.amdhsa_float_round_mode_32 0
		.amdhsa_float_round_mode_16_64 0
		.amdhsa_float_denorm_mode_32 3
		.amdhsa_float_denorm_mode_16_64 3
		.amdhsa_dx10_clamp 1
		.amdhsa_ieee_mode 1
		.amdhsa_fp16_overflow 0
		.amdhsa_workgroup_processor_mode 1
		.amdhsa_memory_ordered 1
		.amdhsa_forward_progress 1
		.amdhsa_shared_vgpr_count 0
		.amdhsa_exception_fp_ieee_invalid_op 0
		.amdhsa_exception_fp_denorm_src 0
		.amdhsa_exception_fp_ieee_div_zero 0
		.amdhsa_exception_fp_ieee_overflow 0
		.amdhsa_exception_fp_ieee_underflow 0
		.amdhsa_exception_fp_ieee_inexact 0
		.amdhsa_exception_int_div_zero 0
	.end_amdhsa_kernel
	.section	.text._ZN9rocsparseL32bsr2csr_block_per_row_2_7_kernelILj256ELj7E21rocsparse_complex_numIdEliEEv20rocsparse_direction_T3_S4_21rocsparse_index_base_PKT1_PKT2_PKS4_S4_S5_PS6_PS9_PS4_,"axG",@progbits,_ZN9rocsparseL32bsr2csr_block_per_row_2_7_kernelILj256ELj7E21rocsparse_complex_numIdEliEEv20rocsparse_direction_T3_S4_21rocsparse_index_base_PKT1_PKT2_PKS4_S4_S5_PS6_PS9_PS4_,comdat
.Lfunc_end279:
	.size	_ZN9rocsparseL32bsr2csr_block_per_row_2_7_kernelILj256ELj7E21rocsparse_complex_numIdEliEEv20rocsparse_direction_T3_S4_21rocsparse_index_base_PKT1_PKT2_PKS4_S4_S5_PS6_PS9_PS4_, .Lfunc_end279-_ZN9rocsparseL32bsr2csr_block_per_row_2_7_kernelILj256ELj7E21rocsparse_complex_numIdEliEEv20rocsparse_direction_T3_S4_21rocsparse_index_base_PKT1_PKT2_PKS4_S4_S5_PS6_PS9_PS4_
                                        ; -- End function
	.set _ZN9rocsparseL32bsr2csr_block_per_row_2_7_kernelILj256ELj7E21rocsparse_complex_numIdEliEEv20rocsparse_direction_T3_S4_21rocsparse_index_base_PKT1_PKT2_PKS4_S4_S5_PS6_PS9_PS4_.num_vgpr, 44
	.set _ZN9rocsparseL32bsr2csr_block_per_row_2_7_kernelILj256ELj7E21rocsparse_complex_numIdEliEEv20rocsparse_direction_T3_S4_21rocsparse_index_base_PKT1_PKT2_PKS4_S4_S5_PS6_PS9_PS4_.num_agpr, 0
	.set _ZN9rocsparseL32bsr2csr_block_per_row_2_7_kernelILj256ELj7E21rocsparse_complex_numIdEliEEv20rocsparse_direction_T3_S4_21rocsparse_index_base_PKT1_PKT2_PKS4_S4_S5_PS6_PS9_PS4_.numbered_sgpr, 15
	.set _ZN9rocsparseL32bsr2csr_block_per_row_2_7_kernelILj256ELj7E21rocsparse_complex_numIdEliEEv20rocsparse_direction_T3_S4_21rocsparse_index_base_PKT1_PKT2_PKS4_S4_S5_PS6_PS9_PS4_.num_named_barrier, 0
	.set _ZN9rocsparseL32bsr2csr_block_per_row_2_7_kernelILj256ELj7E21rocsparse_complex_numIdEliEEv20rocsparse_direction_T3_S4_21rocsparse_index_base_PKT1_PKT2_PKS4_S4_S5_PS6_PS9_PS4_.private_seg_size, 0
	.set _ZN9rocsparseL32bsr2csr_block_per_row_2_7_kernelILj256ELj7E21rocsparse_complex_numIdEliEEv20rocsparse_direction_T3_S4_21rocsparse_index_base_PKT1_PKT2_PKS4_S4_S5_PS6_PS9_PS4_.uses_vcc, 1
	.set _ZN9rocsparseL32bsr2csr_block_per_row_2_7_kernelILj256ELj7E21rocsparse_complex_numIdEliEEv20rocsparse_direction_T3_S4_21rocsparse_index_base_PKT1_PKT2_PKS4_S4_S5_PS6_PS9_PS4_.uses_flat_scratch, 0
	.set _ZN9rocsparseL32bsr2csr_block_per_row_2_7_kernelILj256ELj7E21rocsparse_complex_numIdEliEEv20rocsparse_direction_T3_S4_21rocsparse_index_base_PKT1_PKT2_PKS4_S4_S5_PS6_PS9_PS4_.has_dyn_sized_stack, 0
	.set _ZN9rocsparseL32bsr2csr_block_per_row_2_7_kernelILj256ELj7E21rocsparse_complex_numIdEliEEv20rocsparse_direction_T3_S4_21rocsparse_index_base_PKT1_PKT2_PKS4_S4_S5_PS6_PS9_PS4_.has_recursion, 0
	.set _ZN9rocsparseL32bsr2csr_block_per_row_2_7_kernelILj256ELj7E21rocsparse_complex_numIdEliEEv20rocsparse_direction_T3_S4_21rocsparse_index_base_PKT1_PKT2_PKS4_S4_S5_PS6_PS9_PS4_.has_indirect_call, 0
	.section	.AMDGPU.csdata,"",@progbits
; Kernel info:
; codeLenInByte = 1204
; TotalNumSgprs: 17
; NumVgprs: 44
; ScratchSize: 0
; MemoryBound: 0
; FloatMode: 240
; IeeeMode: 1
; LDSByteSize: 0 bytes/workgroup (compile time only)
; SGPRBlocks: 0
; VGPRBlocks: 5
; NumSGPRsForWavesPerEU: 17
; NumVGPRsForWavesPerEU: 44
; Occupancy: 16
; WaveLimiterHint : 0
; COMPUTE_PGM_RSRC2:SCRATCH_EN: 0
; COMPUTE_PGM_RSRC2:USER_SGPR: 6
; COMPUTE_PGM_RSRC2:TRAP_HANDLER: 0
; COMPUTE_PGM_RSRC2:TGID_X_EN: 1
; COMPUTE_PGM_RSRC2:TGID_Y_EN: 0
; COMPUTE_PGM_RSRC2:TGID_Z_EN: 0
; COMPUTE_PGM_RSRC2:TIDIG_COMP_CNT: 0
	.section	.text._ZN9rocsparseL33bsr2csr_block_per_row_8_32_kernelILj1024ELj8E21rocsparse_complex_numIdEliEEv20rocsparse_direction_T3_S4_21rocsparse_index_base_PKT1_PKT2_PKS4_S4_S5_PS6_PS9_PS4_,"axG",@progbits,_ZN9rocsparseL33bsr2csr_block_per_row_8_32_kernelILj1024ELj8E21rocsparse_complex_numIdEliEEv20rocsparse_direction_T3_S4_21rocsparse_index_base_PKT1_PKT2_PKS4_S4_S5_PS6_PS9_PS4_,comdat
	.globl	_ZN9rocsparseL33bsr2csr_block_per_row_8_32_kernelILj1024ELj8E21rocsparse_complex_numIdEliEEv20rocsparse_direction_T3_S4_21rocsparse_index_base_PKT1_PKT2_PKS4_S4_S5_PS6_PS9_PS4_ ; -- Begin function _ZN9rocsparseL33bsr2csr_block_per_row_8_32_kernelILj1024ELj8E21rocsparse_complex_numIdEliEEv20rocsparse_direction_T3_S4_21rocsparse_index_base_PKT1_PKT2_PKS4_S4_S5_PS6_PS9_PS4_
	.p2align	8
	.type	_ZN9rocsparseL33bsr2csr_block_per_row_8_32_kernelILj1024ELj8E21rocsparse_complex_numIdEliEEv20rocsparse_direction_T3_S4_21rocsparse_index_base_PKT1_PKT2_PKS4_S4_S5_PS6_PS9_PS4_,@function
_ZN9rocsparseL33bsr2csr_block_per_row_8_32_kernelILj1024ELj8E21rocsparse_complex_numIdEliEEv20rocsparse_direction_T3_S4_21rocsparse_index_base_PKT1_PKT2_PKS4_S4_S5_PS6_PS9_PS4_: ; @_ZN9rocsparseL33bsr2csr_block_per_row_8_32_kernelILj1024ELj8E21rocsparse_complex_numIdEliEEv20rocsparse_direction_T3_S4_21rocsparse_index_base_PKT1_PKT2_PKS4_S4_S5_PS6_PS9_PS4_
; %bb.0:
	s_clause 0x2
	s_load_dwordx2 s[8:9], s[4:5], 0x18
	s_load_dwordx2 s[2:3], s[4:5], 0x28
	;; [unrolled: 1-line block ×3, first 2 shown]
	s_ashr_i32 s7, s6, 31
	v_or_b32_e32 v1, s6, v0
	s_lshl_b64 s[10:11], s[6:7], 3
	s_mov_b32 s7, exec_lo
	s_waitcnt lgkmcnt(0)
	s_add_u32 s8, s8, s10
	s_addc_u32 s9, s9, s11
	v_cmpx_eq_u32_e32 0, v1
	s_cbranch_execz .LBB280_2
; %bb.1:
	v_mov_b32_e32 v1, s3
	v_mov_b32_e32 v2, 0
	global_store_dwordx2 v2, v[1:2], s[0:1]
.LBB280_2:
	s_or_b32 exec_lo, exec_lo, s7
	v_and_b32_e32 v5, 7, v0
	v_bfe_u32 v2, v0, 3, 3
	s_mov_b32 s7, exec_lo
	v_max_i32_e32 v1, v2, v5
	v_cmpx_gt_i32_e64 s2, v1
	s_cbranch_execz .LBB280_6
; %bb.3:
	s_load_dwordx4 s[16:19], s[8:9], 0x0
	s_load_dword s14, s[4:5], 0xc
	s_mul_i32 s8, s2, s2
	v_mad_u64_u32 v[6:7], null, s2, s6, v[2:3]
	v_lshrrev_b32_e32 v3, 6, v0
	v_mov_b32_e32 v4, 0
	v_ashrrev_i32_e32 v7, 31, v6
	v_lshlrev_b64 v[6:7], 3, v[6:7]
	s_waitcnt lgkmcnt(0)
	s_sub_u32 s9, s16, s14
	s_subb_u32 s15, s17, 0
	s_mul_hi_u32 s11, s9, s8
	s_mul_i32 s12, s15, s8
	s_sub_u32 s6, s18, s14
	s_subb_u32 s7, s19, 0
	s_add_i32 s11, s11, s12
	s_sub_u32 s13, s6, s9
	s_subb_u32 s12, s7, s15
	s_mul_hi_u32 s16, s13, s2
	s_mul_i32 s17, s12, s2
	s_mul_i32 s18, s13, s2
	s_add_i32 s19, s16, s17
	s_mul_i32 s10, s9, s8
	s_add_u32 s16, s18, s3
	s_addc_u32 s17, s19, 0
	s_add_u32 s16, s16, s10
	s_addc_u32 s17, s17, s11
	v_add_co_u32 v0, s9, s9, v3
	v_mad_u64_u32 v[8:9], null, s18, v2, s[16:17]
	v_add_co_u32 v6, vcc_lo, s0, v6
	v_add_co_ci_u32_e64 v7, null, s1, v7, vcc_lo
	v_mov_b32_e32 v1, v9
	v_mad_u64_u32 v[9:10], null, s19, v2, v[1:2]
	v_add_co_ci_u32_e64 v1, null, s15, 0, s9
	s_mov_b32 s9, 0
	v_cmp_gt_i64_e32 vcc_lo, s[6:7], v[0:1]
	global_store_dwordx2 v[6:7], v[8:9], off offset:8
	s_and_b32 exec_lo, exec_lo, vcc_lo
	s_cbranch_execz .LBB280_6
; %bb.4:
	s_clause 0x3
	s_load_dwordx2 s[0:1], s[4:5], 0x10
	s_load_dwordx2 s[16:17], s[4:5], 0x20
	;; [unrolled: 1-line block ×3, first 2 shown]
	s_load_dword s15, s[4:5], 0x0
	v_mul_lo_u32 v6, s2, v5
	v_mov_b32_e32 v7, v4
	v_mul_lo_u32 v8, s2, v2
	v_mov_b32_e32 v9, v4
	v_mad_u64_u32 v[3:4], null, s13, v2, v[3:4]
	v_lshlrev_b32_e32 v12, 4, v2
	v_mad_u64_u32 v[10:11], null, v0, s8, 0
	v_lshlrev_b64 v[6:7], 4, v[6:7]
	v_lshlrev_b64 v[8:9], 4, v[8:9]
	s_mov_b32 s20, s2
	s_load_dwordx2 s[4:5], s[4:5], 0x40
	s_mov_b32 s21, s9
	s_waitcnt lgkmcnt(0)
	v_add_co_u32 v6, vcc_lo, s0, v6
	v_add_co_ci_u32_e64 v7, null, s1, v7, vcc_lo
	s_cmp_eq_u32 s15, 0
	v_add_co_u32 v12, vcc_lo, v6, v12
	v_add_co_ci_u32_e64 v13, null, 0, v7, vcc_lo
	v_mad_u64_u32 v[6:7], null, v3, s20, s[10:11]
	v_mov_b32_e32 v3, v11
	v_add_co_u32 v14, vcc_lo, s0, v8
	v_add_co_ci_u32_e64 v15, null, s1, v9, vcc_lo
	v_mad_u64_u32 v[8:9], null, s12, v2, v[4:5]
	v_mad_u64_u32 v[2:3], null, v1, s8, v[3:4]
	v_mov_b32_e32 v3, v7
	v_lshlrev_b32_e32 v11, 4, v5
	v_add_co_u32 v6, s0, v6, v5
	v_mad_u64_u32 v[3:4], null, v8, s20, v[3:4]
	v_add_co_u32 v9, vcc_lo, v14, v11
	v_add_co_ci_u32_e64 v7, null, 0, v15, vcc_lo
	v_mov_b32_e32 v11, v2
	s_cselect_b32 vcc_lo, -1, 0
	v_add_nc_u32_e32 v2, s3, v5
	v_cndmask_b32_e32 v13, v13, v7, vcc_lo
	v_add_co_ci_u32_e64 v7, null, 0, v3, s0
	v_lshlrev_b64 v[3:4], 4, v[10:11]
	v_cndmask_b32_e32 v10, v12, v9, vcc_lo
	s_lshl_b64 s[10:11], s[20:21], 6
	v_lshlrev_b64 v[8:9], 2, v[6:7]
	s_lshl_b64 s[12:13], s[20:21], 8
	v_add_co_u32 v3, vcc_lo, v10, v3
	v_lshlrev_b64 v[10:11], 4, v[6:7]
	v_add_co_ci_u32_e64 v4, null, v13, v4, vcc_lo
	v_lshlrev_b64 v[12:13], 2, v[0:1]
	v_add_co_u32 v5, vcc_lo, s4, v8
	v_add_co_ci_u32_e64 v6, null, s5, v9, vcc_lo
	v_add_co_u32 v7, vcc_lo, s18, v10
	v_add_co_ci_u32_e64 v8, null, s19, v11, vcc_lo
	;; [unrolled: 2-line block ×3, first 2 shown]
	s_lshl_b64 s[4:5], s[8:9], 8
	s_inst_prefetch 0x1
	.p2align	6
.LBB280_5:                              ; =>This Inner Loop Header: Depth=1
	global_load_dword v15, v[9:10], off
	global_load_dwordx4 v[11:14], v[3:4], off
	v_add_co_u32 v0, vcc_lo, v0, 16
	v_add_co_ci_u32_e64 v1, null, 0, v1, vcc_lo
	v_add_co_u32 v3, vcc_lo, v3, s4
	v_add_co_ci_u32_e64 v4, null, s5, v4, vcc_lo
	;; [unrolled: 2-line block ×3, first 2 shown]
	v_cmp_le_i64_e32 vcc_lo, s[6:7], v[0:1]
	s_or_b32 s9, vcc_lo, s9
	s_waitcnt vmcnt(1)
	v_subrev_nc_u32_e32 v15, s14, v15
	s_waitcnt vmcnt(0)
	global_store_dwordx4 v[7:8], v[11:14], off
	v_add_co_u32 v7, s0, v7, s12
	v_add_co_ci_u32_e64 v8, null, s13, v8, s0
	v_mad_u64_u32 v[11:12], null, v15, s2, v[2:3]
	global_store_dword v[5:6], v11, off
	v_add_co_u32 v5, s0, v5, s10
	v_add_co_ci_u32_e64 v6, null, s11, v6, s0
	s_andn2_b32 exec_lo, exec_lo, s9
	s_cbranch_execnz .LBB280_5
.LBB280_6:
	s_inst_prefetch 0x2
	s_endpgm
	.section	.rodata,"a",@progbits
	.p2align	6, 0x0
	.amdhsa_kernel _ZN9rocsparseL33bsr2csr_block_per_row_8_32_kernelILj1024ELj8E21rocsparse_complex_numIdEliEEv20rocsparse_direction_T3_S4_21rocsparse_index_base_PKT1_PKT2_PKS4_S4_S5_PS6_PS9_PS4_
		.amdhsa_group_segment_fixed_size 0
		.amdhsa_private_segment_fixed_size 0
		.amdhsa_kernarg_size 72
		.amdhsa_user_sgpr_count 6
		.amdhsa_user_sgpr_private_segment_buffer 1
		.amdhsa_user_sgpr_dispatch_ptr 0
		.amdhsa_user_sgpr_queue_ptr 0
		.amdhsa_user_sgpr_kernarg_segment_ptr 1
		.amdhsa_user_sgpr_dispatch_id 0
		.amdhsa_user_sgpr_flat_scratch_init 0
		.amdhsa_user_sgpr_private_segment_size 0
		.amdhsa_wavefront_size32 1
		.amdhsa_uses_dynamic_stack 0
		.amdhsa_system_sgpr_private_segment_wavefront_offset 0
		.amdhsa_system_sgpr_workgroup_id_x 1
		.amdhsa_system_sgpr_workgroup_id_y 0
		.amdhsa_system_sgpr_workgroup_id_z 0
		.amdhsa_system_sgpr_workgroup_info 0
		.amdhsa_system_vgpr_workitem_id 0
		.amdhsa_next_free_vgpr 16
		.amdhsa_next_free_sgpr 22
		.amdhsa_reserve_vcc 1
		.amdhsa_reserve_flat_scratch 0
		.amdhsa_float_round_mode_32 0
		.amdhsa_float_round_mode_16_64 0
		.amdhsa_float_denorm_mode_32 3
		.amdhsa_float_denorm_mode_16_64 3
		.amdhsa_dx10_clamp 1
		.amdhsa_ieee_mode 1
		.amdhsa_fp16_overflow 0
		.amdhsa_workgroup_processor_mode 1
		.amdhsa_memory_ordered 1
		.amdhsa_forward_progress 1
		.amdhsa_shared_vgpr_count 0
		.amdhsa_exception_fp_ieee_invalid_op 0
		.amdhsa_exception_fp_denorm_src 0
		.amdhsa_exception_fp_ieee_div_zero 0
		.amdhsa_exception_fp_ieee_overflow 0
		.amdhsa_exception_fp_ieee_underflow 0
		.amdhsa_exception_fp_ieee_inexact 0
		.amdhsa_exception_int_div_zero 0
	.end_amdhsa_kernel
	.section	.text._ZN9rocsparseL33bsr2csr_block_per_row_8_32_kernelILj1024ELj8E21rocsparse_complex_numIdEliEEv20rocsparse_direction_T3_S4_21rocsparse_index_base_PKT1_PKT2_PKS4_S4_S5_PS6_PS9_PS4_,"axG",@progbits,_ZN9rocsparseL33bsr2csr_block_per_row_8_32_kernelILj1024ELj8E21rocsparse_complex_numIdEliEEv20rocsparse_direction_T3_S4_21rocsparse_index_base_PKT1_PKT2_PKS4_S4_S5_PS6_PS9_PS4_,comdat
.Lfunc_end280:
	.size	_ZN9rocsparseL33bsr2csr_block_per_row_8_32_kernelILj1024ELj8E21rocsparse_complex_numIdEliEEv20rocsparse_direction_T3_S4_21rocsparse_index_base_PKT1_PKT2_PKS4_S4_S5_PS6_PS9_PS4_, .Lfunc_end280-_ZN9rocsparseL33bsr2csr_block_per_row_8_32_kernelILj1024ELj8E21rocsparse_complex_numIdEliEEv20rocsparse_direction_T3_S4_21rocsparse_index_base_PKT1_PKT2_PKS4_S4_S5_PS6_PS9_PS4_
                                        ; -- End function
	.set _ZN9rocsparseL33bsr2csr_block_per_row_8_32_kernelILj1024ELj8E21rocsparse_complex_numIdEliEEv20rocsparse_direction_T3_S4_21rocsparse_index_base_PKT1_PKT2_PKS4_S4_S5_PS6_PS9_PS4_.num_vgpr, 16
	.set _ZN9rocsparseL33bsr2csr_block_per_row_8_32_kernelILj1024ELj8E21rocsparse_complex_numIdEliEEv20rocsparse_direction_T3_S4_21rocsparse_index_base_PKT1_PKT2_PKS4_S4_S5_PS6_PS9_PS4_.num_agpr, 0
	.set _ZN9rocsparseL33bsr2csr_block_per_row_8_32_kernelILj1024ELj8E21rocsparse_complex_numIdEliEEv20rocsparse_direction_T3_S4_21rocsparse_index_base_PKT1_PKT2_PKS4_S4_S5_PS6_PS9_PS4_.numbered_sgpr, 22
	.set _ZN9rocsparseL33bsr2csr_block_per_row_8_32_kernelILj1024ELj8E21rocsparse_complex_numIdEliEEv20rocsparse_direction_T3_S4_21rocsparse_index_base_PKT1_PKT2_PKS4_S4_S5_PS6_PS9_PS4_.num_named_barrier, 0
	.set _ZN9rocsparseL33bsr2csr_block_per_row_8_32_kernelILj1024ELj8E21rocsparse_complex_numIdEliEEv20rocsparse_direction_T3_S4_21rocsparse_index_base_PKT1_PKT2_PKS4_S4_S5_PS6_PS9_PS4_.private_seg_size, 0
	.set _ZN9rocsparseL33bsr2csr_block_per_row_8_32_kernelILj1024ELj8E21rocsparse_complex_numIdEliEEv20rocsparse_direction_T3_S4_21rocsparse_index_base_PKT1_PKT2_PKS4_S4_S5_PS6_PS9_PS4_.uses_vcc, 1
	.set _ZN9rocsparseL33bsr2csr_block_per_row_8_32_kernelILj1024ELj8E21rocsparse_complex_numIdEliEEv20rocsparse_direction_T3_S4_21rocsparse_index_base_PKT1_PKT2_PKS4_S4_S5_PS6_PS9_PS4_.uses_flat_scratch, 0
	.set _ZN9rocsparseL33bsr2csr_block_per_row_8_32_kernelILj1024ELj8E21rocsparse_complex_numIdEliEEv20rocsparse_direction_T3_S4_21rocsparse_index_base_PKT1_PKT2_PKS4_S4_S5_PS6_PS9_PS4_.has_dyn_sized_stack, 0
	.set _ZN9rocsparseL33bsr2csr_block_per_row_8_32_kernelILj1024ELj8E21rocsparse_complex_numIdEliEEv20rocsparse_direction_T3_S4_21rocsparse_index_base_PKT1_PKT2_PKS4_S4_S5_PS6_PS9_PS4_.has_recursion, 0
	.set _ZN9rocsparseL33bsr2csr_block_per_row_8_32_kernelILj1024ELj8E21rocsparse_complex_numIdEliEEv20rocsparse_direction_T3_S4_21rocsparse_index_base_PKT1_PKT2_PKS4_S4_S5_PS6_PS9_PS4_.has_indirect_call, 0
	.section	.AMDGPU.csdata,"",@progbits
; Kernel info:
; codeLenInByte = 860
; TotalNumSgprs: 24
; NumVgprs: 16
; ScratchSize: 0
; MemoryBound: 0
; FloatMode: 240
; IeeeMode: 1
; LDSByteSize: 0 bytes/workgroup (compile time only)
; SGPRBlocks: 0
; VGPRBlocks: 1
; NumSGPRsForWavesPerEU: 24
; NumVGPRsForWavesPerEU: 16
; Occupancy: 16
; WaveLimiterHint : 0
; COMPUTE_PGM_RSRC2:SCRATCH_EN: 0
; COMPUTE_PGM_RSRC2:USER_SGPR: 6
; COMPUTE_PGM_RSRC2:TRAP_HANDLER: 0
; COMPUTE_PGM_RSRC2:TGID_X_EN: 1
; COMPUTE_PGM_RSRC2:TGID_Y_EN: 0
; COMPUTE_PGM_RSRC2:TGID_Z_EN: 0
; COMPUTE_PGM_RSRC2:TIDIG_COMP_CNT: 0
	.section	.text._ZN9rocsparseL33bsr2csr_block_per_row_8_32_kernelILj1024ELj16E21rocsparse_complex_numIdEliEEv20rocsparse_direction_T3_S4_21rocsparse_index_base_PKT1_PKT2_PKS4_S4_S5_PS6_PS9_PS4_,"axG",@progbits,_ZN9rocsparseL33bsr2csr_block_per_row_8_32_kernelILj1024ELj16E21rocsparse_complex_numIdEliEEv20rocsparse_direction_T3_S4_21rocsparse_index_base_PKT1_PKT2_PKS4_S4_S5_PS6_PS9_PS4_,comdat
	.globl	_ZN9rocsparseL33bsr2csr_block_per_row_8_32_kernelILj1024ELj16E21rocsparse_complex_numIdEliEEv20rocsparse_direction_T3_S4_21rocsparse_index_base_PKT1_PKT2_PKS4_S4_S5_PS6_PS9_PS4_ ; -- Begin function _ZN9rocsparseL33bsr2csr_block_per_row_8_32_kernelILj1024ELj16E21rocsparse_complex_numIdEliEEv20rocsparse_direction_T3_S4_21rocsparse_index_base_PKT1_PKT2_PKS4_S4_S5_PS6_PS9_PS4_
	.p2align	8
	.type	_ZN9rocsparseL33bsr2csr_block_per_row_8_32_kernelILj1024ELj16E21rocsparse_complex_numIdEliEEv20rocsparse_direction_T3_S4_21rocsparse_index_base_PKT1_PKT2_PKS4_S4_S5_PS6_PS9_PS4_,@function
_ZN9rocsparseL33bsr2csr_block_per_row_8_32_kernelILj1024ELj16E21rocsparse_complex_numIdEliEEv20rocsparse_direction_T3_S4_21rocsparse_index_base_PKT1_PKT2_PKS4_S4_S5_PS6_PS9_PS4_: ; @_ZN9rocsparseL33bsr2csr_block_per_row_8_32_kernelILj1024ELj16E21rocsparse_complex_numIdEliEEv20rocsparse_direction_T3_S4_21rocsparse_index_base_PKT1_PKT2_PKS4_S4_S5_PS6_PS9_PS4_
; %bb.0:
	s_clause 0x2
	s_load_dwordx2 s[8:9], s[4:5], 0x18
	s_load_dwordx2 s[2:3], s[4:5], 0x28
	;; [unrolled: 1-line block ×3, first 2 shown]
	s_ashr_i32 s7, s6, 31
	v_or_b32_e32 v1, s6, v0
	s_lshl_b64 s[10:11], s[6:7], 3
	s_mov_b32 s7, exec_lo
	s_waitcnt lgkmcnt(0)
	s_add_u32 s8, s8, s10
	s_addc_u32 s9, s9, s11
	v_cmpx_eq_u32_e32 0, v1
	s_cbranch_execz .LBB281_2
; %bb.1:
	v_mov_b32_e32 v1, s3
	v_mov_b32_e32 v2, 0
	global_store_dwordx2 v2, v[1:2], s[0:1]
.LBB281_2:
	s_or_b32 exec_lo, exec_lo, s7
	v_and_b32_e32 v5, 15, v0
	v_bfe_u32 v2, v0, 4, 4
	s_mov_b32 s7, exec_lo
	v_max_i32_e32 v1, v2, v5
	v_cmpx_gt_i32_e64 s2, v1
	s_cbranch_execz .LBB281_6
; %bb.3:
	s_load_dwordx4 s[16:19], s[8:9], 0x0
	s_load_dword s14, s[4:5], 0xc
	s_mul_i32 s8, s2, s2
	v_mad_u64_u32 v[6:7], null, s2, s6, v[2:3]
	v_lshrrev_b32_e32 v3, 8, v0
	v_mov_b32_e32 v4, 0
	v_ashrrev_i32_e32 v7, 31, v6
	v_lshlrev_b64 v[6:7], 3, v[6:7]
	s_waitcnt lgkmcnt(0)
	s_sub_u32 s9, s16, s14
	s_subb_u32 s15, s17, 0
	s_mul_hi_u32 s11, s9, s8
	s_mul_i32 s12, s15, s8
	s_sub_u32 s6, s18, s14
	s_subb_u32 s7, s19, 0
	s_add_i32 s11, s11, s12
	s_sub_u32 s13, s6, s9
	s_subb_u32 s12, s7, s15
	s_mul_hi_u32 s16, s13, s2
	s_mul_i32 s17, s12, s2
	s_mul_i32 s18, s13, s2
	s_add_i32 s19, s16, s17
	s_mul_i32 s10, s9, s8
	s_add_u32 s16, s18, s3
	s_addc_u32 s17, s19, 0
	s_add_u32 s16, s16, s10
	s_addc_u32 s17, s17, s11
	v_add_co_u32 v0, s9, s9, v3
	v_mad_u64_u32 v[8:9], null, s18, v2, s[16:17]
	v_add_co_u32 v6, vcc_lo, s0, v6
	v_add_co_ci_u32_e64 v7, null, s1, v7, vcc_lo
	v_mov_b32_e32 v1, v9
	v_mad_u64_u32 v[9:10], null, s19, v2, v[1:2]
	v_add_co_ci_u32_e64 v1, null, s15, 0, s9
	s_mov_b32 s9, 0
	v_cmp_gt_i64_e32 vcc_lo, s[6:7], v[0:1]
	global_store_dwordx2 v[6:7], v[8:9], off offset:8
	s_and_b32 exec_lo, exec_lo, vcc_lo
	s_cbranch_execz .LBB281_6
; %bb.4:
	s_clause 0x3
	s_load_dwordx2 s[0:1], s[4:5], 0x10
	s_load_dwordx2 s[16:17], s[4:5], 0x20
	s_load_dwordx2 s[18:19], s[4:5], 0x30
	s_load_dword s15, s[4:5], 0x0
	v_mul_lo_u32 v6, s2, v5
	v_mov_b32_e32 v7, v4
	v_mul_lo_u32 v8, s2, v2
	v_mov_b32_e32 v9, v4
	v_mad_u64_u32 v[3:4], null, s13, v2, v[3:4]
	v_lshlrev_b32_e32 v12, 4, v2
	v_mad_u64_u32 v[10:11], null, v0, s8, 0
	v_lshlrev_b64 v[6:7], 4, v[6:7]
	v_lshlrev_b64 v[8:9], 4, v[8:9]
	s_mov_b32 s20, s2
	s_load_dwordx2 s[4:5], s[4:5], 0x40
	s_mov_b32 s21, s9
	s_waitcnt lgkmcnt(0)
	v_add_co_u32 v6, vcc_lo, s0, v6
	v_add_co_ci_u32_e64 v7, null, s1, v7, vcc_lo
	s_cmp_eq_u32 s15, 0
	v_add_co_u32 v12, vcc_lo, v6, v12
	v_add_co_ci_u32_e64 v13, null, 0, v7, vcc_lo
	v_mad_u64_u32 v[6:7], null, v3, s20, s[10:11]
	v_mov_b32_e32 v3, v11
	v_add_co_u32 v14, vcc_lo, s0, v8
	v_add_co_ci_u32_e64 v15, null, s1, v9, vcc_lo
	v_mad_u64_u32 v[8:9], null, s12, v2, v[4:5]
	v_mad_u64_u32 v[2:3], null, v1, s8, v[3:4]
	v_mov_b32_e32 v3, v7
	v_lshlrev_b32_e32 v11, 4, v5
	v_add_co_u32 v6, s0, v6, v5
	v_mad_u64_u32 v[3:4], null, v8, s20, v[3:4]
	v_add_co_u32 v9, vcc_lo, v14, v11
	v_add_co_ci_u32_e64 v7, null, 0, v15, vcc_lo
	v_mov_b32_e32 v11, v2
	s_cselect_b32 vcc_lo, -1, 0
	v_add_nc_u32_e32 v2, s3, v5
	v_cndmask_b32_e32 v13, v13, v7, vcc_lo
	v_add_co_ci_u32_e64 v7, null, 0, v3, s0
	v_lshlrev_b64 v[3:4], 4, v[10:11]
	v_cndmask_b32_e32 v10, v12, v9, vcc_lo
	s_lshl_b64 s[10:11], s[20:21], 4
	v_lshlrev_b64 v[8:9], 2, v[6:7]
	s_lshl_b64 s[12:13], s[20:21], 6
	v_add_co_u32 v3, vcc_lo, v10, v3
	v_lshlrev_b64 v[10:11], 4, v[6:7]
	v_add_co_ci_u32_e64 v4, null, v13, v4, vcc_lo
	v_lshlrev_b64 v[12:13], 2, v[0:1]
	v_add_co_u32 v5, vcc_lo, s4, v8
	v_add_co_ci_u32_e64 v6, null, s5, v9, vcc_lo
	v_add_co_u32 v7, vcc_lo, s18, v10
	v_add_co_ci_u32_e64 v8, null, s19, v11, vcc_lo
	;; [unrolled: 2-line block ×3, first 2 shown]
	s_lshl_b64 s[4:5], s[8:9], 6
	s_inst_prefetch 0x1
	.p2align	6
.LBB281_5:                              ; =>This Inner Loop Header: Depth=1
	global_load_dword v15, v[9:10], off
	global_load_dwordx4 v[11:14], v[3:4], off
	v_add_co_u32 v0, vcc_lo, v0, 4
	v_add_co_ci_u32_e64 v1, null, 0, v1, vcc_lo
	v_add_co_u32 v3, vcc_lo, v3, s4
	v_add_co_ci_u32_e64 v4, null, s5, v4, vcc_lo
	;; [unrolled: 2-line block ×3, first 2 shown]
	v_cmp_le_i64_e32 vcc_lo, s[6:7], v[0:1]
	s_or_b32 s9, vcc_lo, s9
	s_waitcnt vmcnt(1)
	v_subrev_nc_u32_e32 v15, s14, v15
	s_waitcnt vmcnt(0)
	global_store_dwordx4 v[7:8], v[11:14], off
	v_add_co_u32 v7, s0, v7, s12
	v_add_co_ci_u32_e64 v8, null, s13, v8, s0
	v_mad_u64_u32 v[11:12], null, v15, s2, v[2:3]
	global_store_dword v[5:6], v11, off
	v_add_co_u32 v5, s0, v5, s10
	v_add_co_ci_u32_e64 v6, null, s11, v6, s0
	s_andn2_b32 exec_lo, exec_lo, s9
	s_cbranch_execnz .LBB281_5
.LBB281_6:
	s_inst_prefetch 0x2
	s_endpgm
	.section	.rodata,"a",@progbits
	.p2align	6, 0x0
	.amdhsa_kernel _ZN9rocsparseL33bsr2csr_block_per_row_8_32_kernelILj1024ELj16E21rocsparse_complex_numIdEliEEv20rocsparse_direction_T3_S4_21rocsparse_index_base_PKT1_PKT2_PKS4_S4_S5_PS6_PS9_PS4_
		.amdhsa_group_segment_fixed_size 0
		.amdhsa_private_segment_fixed_size 0
		.amdhsa_kernarg_size 72
		.amdhsa_user_sgpr_count 6
		.amdhsa_user_sgpr_private_segment_buffer 1
		.amdhsa_user_sgpr_dispatch_ptr 0
		.amdhsa_user_sgpr_queue_ptr 0
		.amdhsa_user_sgpr_kernarg_segment_ptr 1
		.amdhsa_user_sgpr_dispatch_id 0
		.amdhsa_user_sgpr_flat_scratch_init 0
		.amdhsa_user_sgpr_private_segment_size 0
		.amdhsa_wavefront_size32 1
		.amdhsa_uses_dynamic_stack 0
		.amdhsa_system_sgpr_private_segment_wavefront_offset 0
		.amdhsa_system_sgpr_workgroup_id_x 1
		.amdhsa_system_sgpr_workgroup_id_y 0
		.amdhsa_system_sgpr_workgroup_id_z 0
		.amdhsa_system_sgpr_workgroup_info 0
		.amdhsa_system_vgpr_workitem_id 0
		.amdhsa_next_free_vgpr 16
		.amdhsa_next_free_sgpr 22
		.amdhsa_reserve_vcc 1
		.amdhsa_reserve_flat_scratch 0
		.amdhsa_float_round_mode_32 0
		.amdhsa_float_round_mode_16_64 0
		.amdhsa_float_denorm_mode_32 3
		.amdhsa_float_denorm_mode_16_64 3
		.amdhsa_dx10_clamp 1
		.amdhsa_ieee_mode 1
		.amdhsa_fp16_overflow 0
		.amdhsa_workgroup_processor_mode 1
		.amdhsa_memory_ordered 1
		.amdhsa_forward_progress 1
		.amdhsa_shared_vgpr_count 0
		.amdhsa_exception_fp_ieee_invalid_op 0
		.amdhsa_exception_fp_denorm_src 0
		.amdhsa_exception_fp_ieee_div_zero 0
		.amdhsa_exception_fp_ieee_overflow 0
		.amdhsa_exception_fp_ieee_underflow 0
		.amdhsa_exception_fp_ieee_inexact 0
		.amdhsa_exception_int_div_zero 0
	.end_amdhsa_kernel
	.section	.text._ZN9rocsparseL33bsr2csr_block_per_row_8_32_kernelILj1024ELj16E21rocsparse_complex_numIdEliEEv20rocsparse_direction_T3_S4_21rocsparse_index_base_PKT1_PKT2_PKS4_S4_S5_PS6_PS9_PS4_,"axG",@progbits,_ZN9rocsparseL33bsr2csr_block_per_row_8_32_kernelILj1024ELj16E21rocsparse_complex_numIdEliEEv20rocsparse_direction_T3_S4_21rocsparse_index_base_PKT1_PKT2_PKS4_S4_S5_PS6_PS9_PS4_,comdat
.Lfunc_end281:
	.size	_ZN9rocsparseL33bsr2csr_block_per_row_8_32_kernelILj1024ELj16E21rocsparse_complex_numIdEliEEv20rocsparse_direction_T3_S4_21rocsparse_index_base_PKT1_PKT2_PKS4_S4_S5_PS6_PS9_PS4_, .Lfunc_end281-_ZN9rocsparseL33bsr2csr_block_per_row_8_32_kernelILj1024ELj16E21rocsparse_complex_numIdEliEEv20rocsparse_direction_T3_S4_21rocsparse_index_base_PKT1_PKT2_PKS4_S4_S5_PS6_PS9_PS4_
                                        ; -- End function
	.set _ZN9rocsparseL33bsr2csr_block_per_row_8_32_kernelILj1024ELj16E21rocsparse_complex_numIdEliEEv20rocsparse_direction_T3_S4_21rocsparse_index_base_PKT1_PKT2_PKS4_S4_S5_PS6_PS9_PS4_.num_vgpr, 16
	.set _ZN9rocsparseL33bsr2csr_block_per_row_8_32_kernelILj1024ELj16E21rocsparse_complex_numIdEliEEv20rocsparse_direction_T3_S4_21rocsparse_index_base_PKT1_PKT2_PKS4_S4_S5_PS6_PS9_PS4_.num_agpr, 0
	.set _ZN9rocsparseL33bsr2csr_block_per_row_8_32_kernelILj1024ELj16E21rocsparse_complex_numIdEliEEv20rocsparse_direction_T3_S4_21rocsparse_index_base_PKT1_PKT2_PKS4_S4_S5_PS6_PS9_PS4_.numbered_sgpr, 22
	.set _ZN9rocsparseL33bsr2csr_block_per_row_8_32_kernelILj1024ELj16E21rocsparse_complex_numIdEliEEv20rocsparse_direction_T3_S4_21rocsparse_index_base_PKT1_PKT2_PKS4_S4_S5_PS6_PS9_PS4_.num_named_barrier, 0
	.set _ZN9rocsparseL33bsr2csr_block_per_row_8_32_kernelILj1024ELj16E21rocsparse_complex_numIdEliEEv20rocsparse_direction_T3_S4_21rocsparse_index_base_PKT1_PKT2_PKS4_S4_S5_PS6_PS9_PS4_.private_seg_size, 0
	.set _ZN9rocsparseL33bsr2csr_block_per_row_8_32_kernelILj1024ELj16E21rocsparse_complex_numIdEliEEv20rocsparse_direction_T3_S4_21rocsparse_index_base_PKT1_PKT2_PKS4_S4_S5_PS6_PS9_PS4_.uses_vcc, 1
	.set _ZN9rocsparseL33bsr2csr_block_per_row_8_32_kernelILj1024ELj16E21rocsparse_complex_numIdEliEEv20rocsparse_direction_T3_S4_21rocsparse_index_base_PKT1_PKT2_PKS4_S4_S5_PS6_PS9_PS4_.uses_flat_scratch, 0
	.set _ZN9rocsparseL33bsr2csr_block_per_row_8_32_kernelILj1024ELj16E21rocsparse_complex_numIdEliEEv20rocsparse_direction_T3_S4_21rocsparse_index_base_PKT1_PKT2_PKS4_S4_S5_PS6_PS9_PS4_.has_dyn_sized_stack, 0
	.set _ZN9rocsparseL33bsr2csr_block_per_row_8_32_kernelILj1024ELj16E21rocsparse_complex_numIdEliEEv20rocsparse_direction_T3_S4_21rocsparse_index_base_PKT1_PKT2_PKS4_S4_S5_PS6_PS9_PS4_.has_recursion, 0
	.set _ZN9rocsparseL33bsr2csr_block_per_row_8_32_kernelILj1024ELj16E21rocsparse_complex_numIdEliEEv20rocsparse_direction_T3_S4_21rocsparse_index_base_PKT1_PKT2_PKS4_S4_S5_PS6_PS9_PS4_.has_indirect_call, 0
	.section	.AMDGPU.csdata,"",@progbits
; Kernel info:
; codeLenInByte = 860
; TotalNumSgprs: 24
; NumVgprs: 16
; ScratchSize: 0
; MemoryBound: 0
; FloatMode: 240
; IeeeMode: 1
; LDSByteSize: 0 bytes/workgroup (compile time only)
; SGPRBlocks: 0
; VGPRBlocks: 1
; NumSGPRsForWavesPerEU: 24
; NumVGPRsForWavesPerEU: 16
; Occupancy: 16
; WaveLimiterHint : 0
; COMPUTE_PGM_RSRC2:SCRATCH_EN: 0
; COMPUTE_PGM_RSRC2:USER_SGPR: 6
; COMPUTE_PGM_RSRC2:TRAP_HANDLER: 0
; COMPUTE_PGM_RSRC2:TGID_X_EN: 1
; COMPUTE_PGM_RSRC2:TGID_Y_EN: 0
; COMPUTE_PGM_RSRC2:TGID_Z_EN: 0
; COMPUTE_PGM_RSRC2:TIDIG_COMP_CNT: 0
	.section	.text._ZN9rocsparseL33bsr2csr_block_per_row_8_32_kernelILj1024ELj32E21rocsparse_complex_numIdEliEEv20rocsparse_direction_T3_S4_21rocsparse_index_base_PKT1_PKT2_PKS4_S4_S5_PS6_PS9_PS4_,"axG",@progbits,_ZN9rocsparseL33bsr2csr_block_per_row_8_32_kernelILj1024ELj32E21rocsparse_complex_numIdEliEEv20rocsparse_direction_T3_S4_21rocsparse_index_base_PKT1_PKT2_PKS4_S4_S5_PS6_PS9_PS4_,comdat
	.globl	_ZN9rocsparseL33bsr2csr_block_per_row_8_32_kernelILj1024ELj32E21rocsparse_complex_numIdEliEEv20rocsparse_direction_T3_S4_21rocsparse_index_base_PKT1_PKT2_PKS4_S4_S5_PS6_PS9_PS4_ ; -- Begin function _ZN9rocsparseL33bsr2csr_block_per_row_8_32_kernelILj1024ELj32E21rocsparse_complex_numIdEliEEv20rocsparse_direction_T3_S4_21rocsparse_index_base_PKT1_PKT2_PKS4_S4_S5_PS6_PS9_PS4_
	.p2align	8
	.type	_ZN9rocsparseL33bsr2csr_block_per_row_8_32_kernelILj1024ELj32E21rocsparse_complex_numIdEliEEv20rocsparse_direction_T3_S4_21rocsparse_index_base_PKT1_PKT2_PKS4_S4_S5_PS6_PS9_PS4_,@function
_ZN9rocsparseL33bsr2csr_block_per_row_8_32_kernelILj1024ELj32E21rocsparse_complex_numIdEliEEv20rocsparse_direction_T3_S4_21rocsparse_index_base_PKT1_PKT2_PKS4_S4_S5_PS6_PS9_PS4_: ; @_ZN9rocsparseL33bsr2csr_block_per_row_8_32_kernelILj1024ELj32E21rocsparse_complex_numIdEliEEv20rocsparse_direction_T3_S4_21rocsparse_index_base_PKT1_PKT2_PKS4_S4_S5_PS6_PS9_PS4_
; %bb.0:
	s_clause 0x2
	s_load_dwordx2 s[0:1], s[4:5], 0x18
	s_load_dwordx2 s[8:9], s[4:5], 0x28
	;; [unrolled: 1-line block ×3, first 2 shown]
	s_ashr_i32 s7, s6, 31
	v_or_b32_e32 v1, s6, v0
	s_lshl_b64 s[2:3], s[6:7], 3
	s_waitcnt lgkmcnt(0)
	s_add_u32 s0, s0, s2
	s_addc_u32 s1, s1, s3
	s_mov_b32 s2, exec_lo
	v_cmpx_eq_u32_e32 0, v1
	s_cbranch_execz .LBB282_2
; %bb.1:
	v_mov_b32_e32 v1, s9
	v_mov_b32_e32 v2, 0
	global_store_dwordx2 v2, v[1:2], s[16:17]
.LBB282_2:
	s_or_b32 exec_lo, exec_lo, s2
	v_and_b32_e32 v3, 31, v0
	v_lshrrev_b32_e32 v0, 5, v0
	s_mov_b32 s2, exec_lo
	v_max_i32_e32 v1, v0, v3
	v_cmpx_gt_i32_e64 s8, v1
	s_cbranch_execz .LBB282_6
; %bb.3:
	s_load_dwordx4 s[0:3], s[0:1], 0x0
	s_load_dword s10, s[4:5], 0xc
	v_mad_u64_u32 v[4:5], null, s8, s6, v[0:1]
	s_mul_i32 s14, s8, s8
	v_ashrrev_i32_e32 v5, 31, v4
	v_lshlrev_b64 v[4:5], 3, v[4:5]
	v_add_co_u32 v4, vcc_lo, s16, v4
	s_waitcnt lgkmcnt(0)
	s_sub_u32 s6, s0, s10
	s_subb_u32 s7, s1, 0
	s_mul_hi_u32 s11, s6, s14
	s_mul_i32 s15, s7, s14
	s_sub_u32 s12, s2, s10
	s_subb_u32 s13, s3, 0
	s_add_i32 s19, s11, s15
	s_sub_u32 s11, s12, s6
	s_mul_i32 s18, s6, s14
	s_mul_i32 s15, s11, s8
	s_subb_u32 s20, s13, s7
	v_mad_u64_u32 v[1:2], null, s15, v0, s[18:19]
	s_mul_hi_u32 s11, s11, s8
	s_mul_i32 s20, s20, s8
	v_cmp_ge_i64_e64 s2, s[0:1], s[2:3]
	s_add_i32 s11, s11, s20
	s_add_u32 s3, s15, s9
	v_add_co_ci_u32_e64 v5, null, s17, v5, vcc_lo
	v_mad_u64_u32 v[6:7], null, s11, v0, v[2:3]
	s_addc_u32 s11, s11, 0
	v_add_co_u32 v7, vcc_lo, s3, v1
	v_add_co_ci_u32_e64 v8, null, s11, v6, vcc_lo
	s_mov_b32 s11, 0
	s_and_b32 vcc_lo, exec_lo, s2
	global_store_dwordx2 v[4:5], v[7:8], off offset:8
	s_cbranch_vccnz .LBB282_6
; %bb.4:
	s_clause 0x3
	s_load_dwordx2 s[16:17], s[4:5], 0x20
	s_load_dwordx2 s[20:21], s[4:5], 0x30
	s_load_dword s24, s[4:5], 0x0
	s_load_dwordx2 s[2:3], s[4:5], 0x10
	v_mul_lo_u32 v4, s8, v3
	v_mov_b32_e32 v5, 0
	v_mov_b32_e32 v2, v6
	s_load_dwordx2 s[4:5], s[4:5], 0x40
	v_lshlrev_b32_e32 v8, 4, v3
	s_mov_b32 s15, s11
	s_mov_b32 s22, s8
	s_mov_b32 s23, s11
	v_lshlrev_b64 v[6:7], 4, v[4:5]
	v_mul_lo_u32 v4, s8, v0
	v_lshlrev_b32_e32 v0, 4, v0
	v_lshlrev_b64 v[4:5], 4, v[4:5]
	s_waitcnt lgkmcnt(0)
	s_cmp_eq_u32 s24, 0
	v_add_co_u32 v6, vcc_lo, s2, v6
	v_add_co_ci_u32_e64 v7, null, s3, v7, vcc_lo
	v_add_co_u32 v4, vcc_lo, s2, v4
	v_add_co_ci_u32_e64 v5, null, s3, v5, vcc_lo
	;; [unrolled: 2-line block ×5, first 2 shown]
	s_cselect_b32 vcc_lo, -1, 0
	s_lshl_b64 s[2:3], s[18:19], 4
	v_cndmask_b32_e32 v1, v0, v7, vcc_lo
	v_cndmask_b32_e32 v2, v6, v8, vcc_lo
	v_lshlrev_b64 v[6:7], 2, v[4:5]
	v_lshlrev_b64 v[8:9], 4, v[4:5]
	v_add_nc_u32_e32 v0, s9, v3
	v_add_co_u32 v1, vcc_lo, v1, s2
	v_add_co_ci_u32_e64 v2, null, s3, v2, vcc_lo
	v_add_co_u32 v3, vcc_lo, s4, v6
	v_add_co_ci_u32_e64 v4, null, s5, v7, vcc_lo
	v_add_co_u32 v5, vcc_lo, s20, v8
	s_lshl_b64 s[0:1], s[0:1], 2
	s_lshl_b64 s[18:19], s[10:11], 2
	;; [unrolled: 1-line block ×5, first 2 shown]
	v_add_co_ci_u32_e64 v6, null, s21, v9, vcc_lo
	s_sub_u32 s0, s0, s18
	s_subb_u32 s1, s1, s19
	s_add_u32 s16, s16, s0
	s_addc_u32 s17, s17, s1
	.p2align	6
.LBB282_5:                              ; =>This Inner Loop Header: Depth=1
	global_load_dwordx4 v[7:10], v[1:2], off
	s_load_dword s0, s[16:17], 0x0
	v_add_co_u32 v1, vcc_lo, v1, s2
	v_add_co_ci_u32_e64 v2, null, s3, v2, vcc_lo
	s_waitcnt lgkmcnt(0)
	s_sub_i32 s0, s0, s10
	s_add_u32 s6, s6, 1
	v_mad_u64_u32 v[11:12], null, s0, s8, v[0:1]
	s_addc_u32 s7, s7, 0
	s_add_u32 s16, s16, 4
	v_cmp_lt_i64_e64 s0, s[6:7], s[12:13]
	s_addc_u32 s17, s17, 0
	global_store_dword v[3:4], v11, off
	v_add_co_u32 v3, vcc_lo, v3, s4
	v_add_co_ci_u32_e64 v4, null, s5, v4, vcc_lo
	s_and_b32 vcc_lo, exec_lo, s0
	s_waitcnt vmcnt(0)
	global_store_dwordx4 v[5:6], v[7:10], off
	v_add_co_u32 v5, s0, v5, s14
	v_add_co_ci_u32_e64 v6, null, s15, v6, s0
	s_cbranch_vccnz .LBB282_5
.LBB282_6:
	s_endpgm
	.section	.rodata,"a",@progbits
	.p2align	6, 0x0
	.amdhsa_kernel _ZN9rocsparseL33bsr2csr_block_per_row_8_32_kernelILj1024ELj32E21rocsparse_complex_numIdEliEEv20rocsparse_direction_T3_S4_21rocsparse_index_base_PKT1_PKT2_PKS4_S4_S5_PS6_PS9_PS4_
		.amdhsa_group_segment_fixed_size 0
		.amdhsa_private_segment_fixed_size 0
		.amdhsa_kernarg_size 72
		.amdhsa_user_sgpr_count 6
		.amdhsa_user_sgpr_private_segment_buffer 1
		.amdhsa_user_sgpr_dispatch_ptr 0
		.amdhsa_user_sgpr_queue_ptr 0
		.amdhsa_user_sgpr_kernarg_segment_ptr 1
		.amdhsa_user_sgpr_dispatch_id 0
		.amdhsa_user_sgpr_flat_scratch_init 0
		.amdhsa_user_sgpr_private_segment_size 0
		.amdhsa_wavefront_size32 1
		.amdhsa_uses_dynamic_stack 0
		.amdhsa_system_sgpr_private_segment_wavefront_offset 0
		.amdhsa_system_sgpr_workgroup_id_x 1
		.amdhsa_system_sgpr_workgroup_id_y 0
		.amdhsa_system_sgpr_workgroup_id_z 0
		.amdhsa_system_sgpr_workgroup_info 0
		.amdhsa_system_vgpr_workitem_id 0
		.amdhsa_next_free_vgpr 13
		.amdhsa_next_free_sgpr 25
		.amdhsa_reserve_vcc 1
		.amdhsa_reserve_flat_scratch 0
		.amdhsa_float_round_mode_32 0
		.amdhsa_float_round_mode_16_64 0
		.amdhsa_float_denorm_mode_32 3
		.amdhsa_float_denorm_mode_16_64 3
		.amdhsa_dx10_clamp 1
		.amdhsa_ieee_mode 1
		.amdhsa_fp16_overflow 0
		.amdhsa_workgroup_processor_mode 1
		.amdhsa_memory_ordered 1
		.amdhsa_forward_progress 1
		.amdhsa_shared_vgpr_count 0
		.amdhsa_exception_fp_ieee_invalid_op 0
		.amdhsa_exception_fp_denorm_src 0
		.amdhsa_exception_fp_ieee_div_zero 0
		.amdhsa_exception_fp_ieee_overflow 0
		.amdhsa_exception_fp_ieee_underflow 0
		.amdhsa_exception_fp_ieee_inexact 0
		.amdhsa_exception_int_div_zero 0
	.end_amdhsa_kernel
	.section	.text._ZN9rocsparseL33bsr2csr_block_per_row_8_32_kernelILj1024ELj32E21rocsparse_complex_numIdEliEEv20rocsparse_direction_T3_S4_21rocsparse_index_base_PKT1_PKT2_PKS4_S4_S5_PS6_PS9_PS4_,"axG",@progbits,_ZN9rocsparseL33bsr2csr_block_per_row_8_32_kernelILj1024ELj32E21rocsparse_complex_numIdEliEEv20rocsparse_direction_T3_S4_21rocsparse_index_base_PKT1_PKT2_PKS4_S4_S5_PS6_PS9_PS4_,comdat
.Lfunc_end282:
	.size	_ZN9rocsparseL33bsr2csr_block_per_row_8_32_kernelILj1024ELj32E21rocsparse_complex_numIdEliEEv20rocsparse_direction_T3_S4_21rocsparse_index_base_PKT1_PKT2_PKS4_S4_S5_PS6_PS9_PS4_, .Lfunc_end282-_ZN9rocsparseL33bsr2csr_block_per_row_8_32_kernelILj1024ELj32E21rocsparse_complex_numIdEliEEv20rocsparse_direction_T3_S4_21rocsparse_index_base_PKT1_PKT2_PKS4_S4_S5_PS6_PS9_PS4_
                                        ; -- End function
	.set _ZN9rocsparseL33bsr2csr_block_per_row_8_32_kernelILj1024ELj32E21rocsparse_complex_numIdEliEEv20rocsparse_direction_T3_S4_21rocsparse_index_base_PKT1_PKT2_PKS4_S4_S5_PS6_PS9_PS4_.num_vgpr, 13
	.set _ZN9rocsparseL33bsr2csr_block_per_row_8_32_kernelILj1024ELj32E21rocsparse_complex_numIdEliEEv20rocsparse_direction_T3_S4_21rocsparse_index_base_PKT1_PKT2_PKS4_S4_S5_PS6_PS9_PS4_.num_agpr, 0
	.set _ZN9rocsparseL33bsr2csr_block_per_row_8_32_kernelILj1024ELj32E21rocsparse_complex_numIdEliEEv20rocsparse_direction_T3_S4_21rocsparse_index_base_PKT1_PKT2_PKS4_S4_S5_PS6_PS9_PS4_.numbered_sgpr, 25
	.set _ZN9rocsparseL33bsr2csr_block_per_row_8_32_kernelILj1024ELj32E21rocsparse_complex_numIdEliEEv20rocsparse_direction_T3_S4_21rocsparse_index_base_PKT1_PKT2_PKS4_S4_S5_PS6_PS9_PS4_.num_named_barrier, 0
	.set _ZN9rocsparseL33bsr2csr_block_per_row_8_32_kernelILj1024ELj32E21rocsparse_complex_numIdEliEEv20rocsparse_direction_T3_S4_21rocsparse_index_base_PKT1_PKT2_PKS4_S4_S5_PS6_PS9_PS4_.private_seg_size, 0
	.set _ZN9rocsparseL33bsr2csr_block_per_row_8_32_kernelILj1024ELj32E21rocsparse_complex_numIdEliEEv20rocsparse_direction_T3_S4_21rocsparse_index_base_PKT1_PKT2_PKS4_S4_S5_PS6_PS9_PS4_.uses_vcc, 1
	.set _ZN9rocsparseL33bsr2csr_block_per_row_8_32_kernelILj1024ELj32E21rocsparse_complex_numIdEliEEv20rocsparse_direction_T3_S4_21rocsparse_index_base_PKT1_PKT2_PKS4_S4_S5_PS6_PS9_PS4_.uses_flat_scratch, 0
	.set _ZN9rocsparseL33bsr2csr_block_per_row_8_32_kernelILj1024ELj32E21rocsparse_complex_numIdEliEEv20rocsparse_direction_T3_S4_21rocsparse_index_base_PKT1_PKT2_PKS4_S4_S5_PS6_PS9_PS4_.has_dyn_sized_stack, 0
	.set _ZN9rocsparseL33bsr2csr_block_per_row_8_32_kernelILj1024ELj32E21rocsparse_complex_numIdEliEEv20rocsparse_direction_T3_S4_21rocsparse_index_base_PKT1_PKT2_PKS4_S4_S5_PS6_PS9_PS4_.has_recursion, 0
	.set _ZN9rocsparseL33bsr2csr_block_per_row_8_32_kernelILj1024ELj32E21rocsparse_complex_numIdEliEEv20rocsparse_direction_T3_S4_21rocsparse_index_base_PKT1_PKT2_PKS4_S4_S5_PS6_PS9_PS4_.has_indirect_call, 0
	.section	.AMDGPU.csdata,"",@progbits
; Kernel info:
; codeLenInByte = 776
; TotalNumSgprs: 27
; NumVgprs: 13
; ScratchSize: 0
; MemoryBound: 0
; FloatMode: 240
; IeeeMode: 1
; LDSByteSize: 0 bytes/workgroup (compile time only)
; SGPRBlocks: 0
; VGPRBlocks: 1
; NumSGPRsForWavesPerEU: 27
; NumVGPRsForWavesPerEU: 13
; Occupancy: 16
; WaveLimiterHint : 0
; COMPUTE_PGM_RSRC2:SCRATCH_EN: 0
; COMPUTE_PGM_RSRC2:USER_SGPR: 6
; COMPUTE_PGM_RSRC2:TRAP_HANDLER: 0
; COMPUTE_PGM_RSRC2:TGID_X_EN: 1
; COMPUTE_PGM_RSRC2:TGID_Y_EN: 0
; COMPUTE_PGM_RSRC2:TGID_Z_EN: 0
; COMPUTE_PGM_RSRC2:TIDIG_COMP_CNT: 0
	.section	.text._ZN9rocsparseL35bsr2csr_block_per_row_33_256_kernelILj1024ELj64ELj32E21rocsparse_complex_numIdEliEEv20rocsparse_direction_T4_S4_21rocsparse_index_base_PKT2_PKT3_PKS4_S4_S5_PS6_PS9_PS4_,"axG",@progbits,_ZN9rocsparseL35bsr2csr_block_per_row_33_256_kernelILj1024ELj64ELj32E21rocsparse_complex_numIdEliEEv20rocsparse_direction_T4_S4_21rocsparse_index_base_PKT2_PKT3_PKS4_S4_S5_PS6_PS9_PS4_,comdat
	.globl	_ZN9rocsparseL35bsr2csr_block_per_row_33_256_kernelILj1024ELj64ELj32E21rocsparse_complex_numIdEliEEv20rocsparse_direction_T4_S4_21rocsparse_index_base_PKT2_PKT3_PKS4_S4_S5_PS6_PS9_PS4_ ; -- Begin function _ZN9rocsparseL35bsr2csr_block_per_row_33_256_kernelILj1024ELj64ELj32E21rocsparse_complex_numIdEliEEv20rocsparse_direction_T4_S4_21rocsparse_index_base_PKT2_PKT3_PKS4_S4_S5_PS6_PS9_PS4_
	.p2align	8
	.type	_ZN9rocsparseL35bsr2csr_block_per_row_33_256_kernelILj1024ELj64ELj32E21rocsparse_complex_numIdEliEEv20rocsparse_direction_T4_S4_21rocsparse_index_base_PKT2_PKT3_PKS4_S4_S5_PS6_PS9_PS4_,@function
_ZN9rocsparseL35bsr2csr_block_per_row_33_256_kernelILj1024ELj64ELj32E21rocsparse_complex_numIdEliEEv20rocsparse_direction_T4_S4_21rocsparse_index_base_PKT2_PKT3_PKS4_S4_S5_PS6_PS9_PS4_: ; @_ZN9rocsparseL35bsr2csr_block_per_row_33_256_kernelILj1024ELj64ELj32E21rocsparse_complex_numIdEliEEv20rocsparse_direction_T4_S4_21rocsparse_index_base_PKT2_PKT3_PKS4_S4_S5_PS6_PS9_PS4_
; %bb.0:
	s_load_dwordx2 s[0:1], s[4:5], 0x18
	s_ashr_i32 s7, s6, 31
	s_clause 0x1
	s_load_dwordx2 s[12:13], s[4:5], 0x28
	s_load_dwordx2 s[22:23], s[4:5], 0x38
	s_lshl_b64 s[2:3], s[6:7], 3
	v_or_b32_e32 v1, s6, v0
	s_mov_b32 s15, 0
	s_waitcnt lgkmcnt(0)
	s_add_u32 s0, s0, s2
	s_addc_u32 s1, s1, s3
	s_load_dwordx4 s[8:11], s[0:1], 0x0
	s_mov_b32 s0, exec_lo
	v_cmpx_eq_u32_e32 0, v1
	s_cbranch_execz .LBB283_2
; %bb.1:
	s_mov_b32 s14, s13
	v_mov_b32_e32 v3, 0
	v_mov_b32_e32 v1, s14
	;; [unrolled: 1-line block ×3, first 2 shown]
	global_store_dwordx2 v3, v[1:2], s[22:23]
.LBB283_2:
	s_or_b32 exec_lo, exec_lo, s0
	s_load_dword s14, s[4:5], 0xc
	s_mul_i32 s26, s12, s12
	v_lshrrev_b32_e32 v1, 5, v0
	v_cmp_gt_i32_e64 s1, s12, v1
	s_waitcnt lgkmcnt(0)
	s_sub_u32 s16, s8, s14
	s_subb_u32 s17, s9, 0
	s_mul_hi_u32 s0, s16, s26
	s_mul_i32 s2, s17, s26
	s_sub_u32 s18, s10, s14
	s_subb_u32 s19, s11, 0
	s_add_i32 s21, s0, s2
	s_sub_u32 s35, s18, s16
	s_subb_u32 s34, s19, s17
	s_mul_hi_u32 s0, s35, s12
	s_mul_i32 s2, s34, s12
	s_mul_i32 s20, s16, s26
	s_add_i32 s0, s0, s2
	s_mul_i32 s7, s35, s12
	s_add_u32 s2, s20, s13
	s_addc_u32 s3, s21, 0
	s_add_u32 s24, s2, s7
	s_addc_u32 s25, s3, s0
	s_mul_i32 s3, s12, s6
	s_and_saveexec_b32 s2, s1
	s_cbranch_execz .LBB283_4
; %bb.3:
	v_add_nc_u32_e32 v4, s3, v1
	v_mad_u64_u32 v[2:3], null, s7, v1, s[24:25]
	v_ashrrev_i32_e32 v5, 31, v4
	v_mad_u64_u32 v[6:7], null, s0, v1, v[3:4]
	v_lshlrev_b64 v[4:5], 3, v[4:5]
	v_add_co_u32 v4, vcc_lo, s22, v4
	v_mov_b32_e32 v3, v6
	v_add_co_ci_u32_e64 v5, null, s23, v5, vcc_lo
	global_store_dwordx2 v[4:5], v[2:3], off offset:8
.LBB283_4:
	s_or_b32 exec_lo, exec_lo, s2
	v_or_b32_e32 v12, 32, v1
	v_cmp_gt_i32_e64 s2, s12, v12
	s_and_saveexec_b32 s6, s2
	s_cbranch_execz .LBB283_6
; %bb.5:
	v_mad_u64_u32 v[2:3], null, s7, v12, s[24:25]
	s_ashr_i32 s7, s3, 31
	v_add_co_u32 v4, s3, v1, s3
	v_add_co_ci_u32_e64 v5, null, 0, s7, s3
	v_mad_u64_u32 v[6:7], null, s0, v12, v[3:4]
	v_lshlrev_b64 v[4:5], 3, v[4:5]
	v_add_co_u32 v4, vcc_lo, s22, v4
	v_mov_b32_e32 v3, v6
	v_add_co_ci_u32_e64 v5, null, s23, v5, vcc_lo
	global_store_dwordx2 v[4:5], v[2:3], off offset:264
.LBB283_6:
	s_or_b32 exec_lo, exec_lo, s6
	v_cmp_lt_i64_e64 s0, s[8:9], s[10:11]
	s_and_b32 vcc_lo, exec_lo, s0
	s_cbranch_vccz .LBB283_17
; %bb.7:
	s_clause 0x4
	s_load_dwordx2 s[6:7], s[4:5], 0x20
	s_load_dwordx2 s[22:23], s[4:5], 0x30
	s_load_dword s0, s[4:5], 0x0
	s_load_dwordx2 s[28:29], s[4:5], 0x10
	s_load_dwordx2 s[24:25], s[4:5], 0x40
	v_mul_lo_u32 v4, v1, s12
	v_mov_b32_e32 v5, 0
	v_and_b32_e32 v2, 31, v0
	v_mad_u64_u32 v[13:14], null, v1, s35, 0
	s_mov_b32 s10, s12
	v_mov_b32_e32 v7, v5
	v_mov_b32_e32 v11, v5
	;; [unrolled: 1-line block ×3, first 2 shown]
	v_cmp_gt_i32_e32 vcc_lo, s12, v2
	v_lshlrev_b32_e32 v22, 4, v2
	v_mul_lo_u32 v6, v2, s12
	v_mad_u64_u32 v[16:17], null, v13, s10, 0
	v_lshlrev_b32_e32 v18, 4, v1
	v_or_b32_e32 v3, 32, v2
	s_mov_b32 s27, s15
	s_waitcnt lgkmcnt(0)
	s_cmp_eq_u32 s0, 0
	s_mov_b32 s11, s15
	s_cselect_b32 s0, -1, 0
	s_lshl_b32 s4, s12, 5
	s_and_b32 s30, s1, vcc_lo
	v_add_nc_u32_e32 v8, s4, v4
	v_lshlrev_b64 v[4:5], 4, v[4:5]
	s_and_b32 s31, s2, vcc_lo
	v_add_nc_u32_e32 v10, s4, v6
	v_cmp_gt_i32_e64 s3, s12, v3
	v_lshlrev_b64 v[8:9], 4, v[8:9]
	s_lshl_b64 s[4:5], s[26:27], 4
	v_add_co_u32 v0, vcc_lo, v4, v22
	v_add_co_ci_u32_e64 v5, null, 0, v5, vcc_lo
	v_lshlrev_b64 v[10:11], 4, v[10:11]
	v_add_co_u32 v4, vcc_lo, s28, v0
	v_add_co_ci_u32_e64 v5, null, s29, v5, vcc_lo
	v_add_co_u32 v0, vcc_lo, v8, v22
	v_add_co_ci_u32_e64 v15, null, 0, v9, vcc_lo
	v_lshlrev_b64 v[8:9], 4, v[6:7]
	v_add_co_u32 v6, vcc_lo, s28, v0
	v_mov_b32_e32 v0, v14
	v_mad_u64_u32 v[13:14], null, s35, v12, 0
	v_add_co_ci_u32_e64 v7, null, s29, v15, vcc_lo
	v_mad_u64_u32 v[0:1], null, v1, s34, v[0:1]
	v_mov_b32_e32 v1, v17
	v_add_co_u32 v8, vcc_lo, v18, v8
	v_add_co_ci_u32_e64 v9, null, 0, v9, vcc_lo
	s_lshl_b64 s[8:9], s[8:9], 2
	v_mad_u64_u32 v[0:1], null, v0, s10, v[1:2]
	v_add_co_u32 v8, vcc_lo, s28, v8
	v_add_co_ci_u32_e64 v9, null, s29, v9, vcc_lo
	v_add_co_u32 v10, vcc_lo, v18, v10
	v_mov_b32_e32 v1, v14
	v_mad_u64_u32 v[18:19], null, v13, s10, 0
	v_mov_b32_e32 v17, v0
	v_add_co_ci_u32_e64 v11, null, 0, v11, vcc_lo
	v_mad_u64_u32 v[0:1], null, s34, v12, v[1:2]
	v_lshlrev_b64 v[12:13], 2, v[16:17]
	v_mov_b32_e32 v1, v19
	v_add_co_u32 v10, vcc_lo, s28, v10
	v_add_co_ci_u32_e64 v11, null, s29, v11, vcc_lo
	v_mad_u64_u32 v[0:1], null, v0, s10, v[1:2]
	v_add_co_u32 v1, vcc_lo, s24, v12
	v_add_co_ci_u32_e64 v13, null, s25, v13, vcc_lo
	v_add_co_u32 v12, vcc_lo, v18, s20
	v_add_co_ci_u32_e64 v15, null, s21, v0, vcc_lo
	s_lshl_b64 s[26:27], s[14:15], 2
	v_add_co_u32 v14, vcc_lo, v12, v2
	v_add_co_ci_u32_e64 v15, null, 0, v15, vcc_lo
	s_and_b32 s1, s1, s3
	s_and_b32 s33, s2, s3
	s_lshl_b64 s[2:3], s[20:21], 4
	s_sub_u32 s8, s8, s26
	v_lshlrev_b32_e32 v19, 2, v2
	v_lshlrev_b64 v[20:21], 4, v[14:15]
	s_subb_u32 s9, s9, s27
	s_add_u32 s6, s6, s8
	s_addc_u32 s7, s7, s9
	s_lshl_b64 s[8:9], s[20:21], 2
	v_add_co_u32 v12, vcc_lo, 0x80, v1
	v_add_co_u32 v14, s8, s8, v19
	v_mov_b32_e32 v19, v0
	v_add_co_ci_u32_e64 v13, null, 0, v13, vcc_lo
	v_add_co_u32 v0, vcc_lo, s22, v20
	v_lshlrev_b64 v[16:17], 4, v[16:17]
	v_add_co_ci_u32_e64 v1, null, s23, v21, vcc_lo
	v_lshlrev_b64 v[18:19], 2, v[18:19]
	v_add_co_u32 v0, vcc_lo, 0x200, v0
	v_add_co_ci_u32_e64 v1, null, 0, v1, vcc_lo
	v_add_co_u32 v20, vcc_lo, v16, v22
	v_add_co_ci_u32_e64 v21, null, 0, v17, vcc_lo
	;; [unrolled: 2-line block ×3, first 2 shown]
	v_add_co_u32 v18, vcc_lo, s2, v20
	v_add_co_ci_u32_e64 v15, null, s9, 0, s8
	v_add_co_ci_u32_e64 v19, null, s3, v21, vcc_lo
	s_lshl_b64 s[8:9], s[10:11], 2
	s_lshl_b64 s[10:11], s[10:11], 4
	s_add_u32 s15, s22, 0x200
	s_addc_u32 s20, s23, 0
	s_branch .LBB283_9
.LBB283_8:                              ;   in Loop: Header=BB283_9 Depth=1
	s_or_b32 exec_lo, exec_lo, s21
	v_add_co_u32 v4, vcc_lo, v4, s4
	v_add_co_ci_u32_e64 v5, null, s5, v5, vcc_lo
	v_add_co_u32 v6, vcc_lo, v6, s4
	v_add_co_ci_u32_e64 v7, null, s5, v7, vcc_lo
	v_add_co_u32 v8, vcc_lo, v8, s4
	s_add_u32 s16, s16, 1
	v_add_co_ci_u32_e64 v9, null, s5, v9, vcc_lo
	v_add_co_u32 v10, vcc_lo, v10, s4
	s_addc_u32 s17, s17, 0
	v_add_co_ci_u32_e64 v11, null, s5, v11, vcc_lo
	v_add_co_u32 v14, vcc_lo, v14, s8
	v_cmp_ge_i64_e64 s21, s[16:17], s[18:19]
	v_add_co_ci_u32_e64 v15, null, s9, v15, vcc_lo
	v_add_co_u32 v0, vcc_lo, v0, s10
	s_add_u32 s6, s6, 4
	v_add_co_ci_u32_e64 v1, null, s11, v1, vcc_lo
	s_addc_u32 s7, s7, 0
	s_add_u32 s15, s15, s10
	s_addc_u32 s20, s20, s11
	s_and_b32 vcc_lo, exec_lo, s21
	s_cbranch_vccnz .LBB283_17
.LBB283_9:                              ; =>This Inner Loop Header: Depth=1
	s_load_dword s21, s[6:7], 0x0
	s_waitcnt lgkmcnt(0)
	s_sub_i32 s21, s21, s14
	s_mul_i32 s21, s21, s12
	s_add_i32 s21, s21, s13
	v_add_nc_u32_e32 v20, s21, v2
	s_and_saveexec_b32 s22, s30
	s_cbranch_execnz .LBB283_13
; %bb.10:                               ;   in Loop: Header=BB283_9 Depth=1
	s_or_b32 exec_lo, exec_lo, s22
	v_add_nc_u32_e32 v21, s21, v3
	s_and_saveexec_b32 s21, s1
	s_cbranch_execnz .LBB283_14
.LBB283_11:                             ;   in Loop: Header=BB283_9 Depth=1
	s_or_b32 exec_lo, exec_lo, s21
	s_and_saveexec_b32 s21, s31
	s_cbranch_execnz .LBB283_15
.LBB283_12:                             ;   in Loop: Header=BB283_9 Depth=1
	s_or_b32 exec_lo, exec_lo, s21
	s_and_saveexec_b32 s21, s33
	s_cbranch_execz .LBB283_8
	s_branch .LBB283_16
.LBB283_13:                             ;   in Loop: Header=BB283_9 Depth=1
	v_add_co_u32 v21, vcc_lo, v4, s2
	v_add_co_ci_u32_e64 v22, null, s3, v5, vcc_lo
	v_add_co_u32 v23, vcc_lo, v8, s2
	v_add_co_ci_u32_e64 v24, null, s3, v9, vcc_lo
	v_add_co_u32 v25, vcc_lo, v12, v14
	v_cndmask_b32_e64 v21, v23, v21, s0
	v_cndmask_b32_e64 v22, v24, v22, s0
	v_add_co_ci_u32_e64 v26, null, v13, v15, vcc_lo
	v_add_co_u32 v27, vcc_lo, s15, v18
	global_load_dwordx4 v[21:24], v[21:22], off
	v_add_co_ci_u32_e64 v28, null, s20, v19, vcc_lo
	global_store_dword v[25:26], v20, off offset:-128
	s_waitcnt vmcnt(0)
	global_store_dwordx4 v[27:28], v[21:24], off offset:-512
	s_or_b32 exec_lo, exec_lo, s22
	v_add_nc_u32_e32 v21, s21, v3
	s_and_saveexec_b32 s21, s1
	s_cbranch_execz .LBB283_11
.LBB283_14:                             ;   in Loop: Header=BB283_9 Depth=1
	v_add_co_u32 v22, vcc_lo, v4, s2
	v_add_co_ci_u32_e64 v23, null, s3, v5, vcc_lo
	v_add_co_u32 v22, vcc_lo, 0x200, v22
	v_add_co_ci_u32_e64 v23, null, 0, v23, vcc_lo
	;; [unrolled: 2-line block ×3, first 2 shown]
	v_add_co_u32 v26, vcc_lo, v12, v14
	v_cndmask_b32_e64 v22, v24, v22, s0
	v_cndmask_b32_e64 v23, v25, v23, s0
	v_add_co_ci_u32_e64 v27, null, v13, v15, vcc_lo
	v_add_co_u32 v28, vcc_lo, s15, v18
	global_load_dwordx4 v[22:25], v[22:23], off
	v_add_co_ci_u32_e64 v29, null, s20, v19, vcc_lo
	global_store_dword v[26:27], v21, off
	s_waitcnt vmcnt(0)
	global_store_dwordx4 v[28:29], v[22:25], off
	s_or_b32 exec_lo, exec_lo, s21
	s_and_saveexec_b32 s21, s31
	s_cbranch_execz .LBB283_12
.LBB283_15:                             ;   in Loop: Header=BB283_9 Depth=1
	v_add_co_u32 v22, vcc_lo, v8, s2
	v_add_co_ci_u32_e64 v23, null, s3, v9, vcc_lo
	v_add_co_u32 v24, vcc_lo, v6, s2
	v_add_co_ci_u32_e64 v25, null, s3, v7, vcc_lo
	;; [unrolled: 2-line block ×3, first 2 shown]
	v_add_co_u32 v26, vcc_lo, v16, v14
	v_cndmask_b32_e64 v22, v22, v24, s0
	v_cndmask_b32_e64 v23, v23, v25, s0
	v_add_co_ci_u32_e64 v27, null, v17, v15, vcc_lo
	global_load_dwordx4 v[22:25], v[22:23], off
	global_store_dword v[26:27], v20, off
	s_waitcnt vmcnt(0)
	global_store_dwordx4 v[0:1], v[22:25], off offset:-512
	s_or_b32 exec_lo, exec_lo, s21
	s_and_saveexec_b32 s21, s33
	s_cbranch_execz .LBB283_8
.LBB283_16:                             ;   in Loop: Header=BB283_9 Depth=1
	v_add_co_u32 v20, vcc_lo, v6, s2
	v_add_co_ci_u32_e64 v22, null, s3, v7, vcc_lo
	v_add_co_u32 v23, vcc_lo, v10, s2
	v_add_co_ci_u32_e64 v24, null, s3, v11, vcc_lo
	;; [unrolled: 2-line block ×5, first 2 shown]
	v_cndmask_b32_e64 v23, v23, v22, s0
	v_cndmask_b32_e64 v22, v25, v20, s0
	global_load_dwordx4 v[22:25], v[22:23], off
	global_store_dword v[26:27], v21, off offset:128
	s_waitcnt vmcnt(0)
	global_store_dwordx4 v[0:1], v[22:25], off
	s_branch .LBB283_8
.LBB283_17:
	s_endpgm
	.section	.rodata,"a",@progbits
	.p2align	6, 0x0
	.amdhsa_kernel _ZN9rocsparseL35bsr2csr_block_per_row_33_256_kernelILj1024ELj64ELj32E21rocsparse_complex_numIdEliEEv20rocsparse_direction_T4_S4_21rocsparse_index_base_PKT2_PKT3_PKS4_S4_S5_PS6_PS9_PS4_
		.amdhsa_group_segment_fixed_size 0
		.amdhsa_private_segment_fixed_size 0
		.amdhsa_kernarg_size 72
		.amdhsa_user_sgpr_count 6
		.amdhsa_user_sgpr_private_segment_buffer 1
		.amdhsa_user_sgpr_dispatch_ptr 0
		.amdhsa_user_sgpr_queue_ptr 0
		.amdhsa_user_sgpr_kernarg_segment_ptr 1
		.amdhsa_user_sgpr_dispatch_id 0
		.amdhsa_user_sgpr_flat_scratch_init 0
		.amdhsa_user_sgpr_private_segment_size 0
		.amdhsa_wavefront_size32 1
		.amdhsa_uses_dynamic_stack 0
		.amdhsa_system_sgpr_private_segment_wavefront_offset 0
		.amdhsa_system_sgpr_workgroup_id_x 1
		.amdhsa_system_sgpr_workgroup_id_y 0
		.amdhsa_system_sgpr_workgroup_id_z 0
		.amdhsa_system_sgpr_workgroup_info 0
		.amdhsa_system_vgpr_workitem_id 0
		.amdhsa_next_free_vgpr 30
		.amdhsa_next_free_sgpr 36
		.amdhsa_reserve_vcc 1
		.amdhsa_reserve_flat_scratch 0
		.amdhsa_float_round_mode_32 0
		.amdhsa_float_round_mode_16_64 0
		.amdhsa_float_denorm_mode_32 3
		.amdhsa_float_denorm_mode_16_64 3
		.amdhsa_dx10_clamp 1
		.amdhsa_ieee_mode 1
		.amdhsa_fp16_overflow 0
		.amdhsa_workgroup_processor_mode 1
		.amdhsa_memory_ordered 1
		.amdhsa_forward_progress 1
		.amdhsa_shared_vgpr_count 0
		.amdhsa_exception_fp_ieee_invalid_op 0
		.amdhsa_exception_fp_denorm_src 0
		.amdhsa_exception_fp_ieee_div_zero 0
		.amdhsa_exception_fp_ieee_overflow 0
		.amdhsa_exception_fp_ieee_underflow 0
		.amdhsa_exception_fp_ieee_inexact 0
		.amdhsa_exception_int_div_zero 0
	.end_amdhsa_kernel
	.section	.text._ZN9rocsparseL35bsr2csr_block_per_row_33_256_kernelILj1024ELj64ELj32E21rocsparse_complex_numIdEliEEv20rocsparse_direction_T4_S4_21rocsparse_index_base_PKT2_PKT3_PKS4_S4_S5_PS6_PS9_PS4_,"axG",@progbits,_ZN9rocsparseL35bsr2csr_block_per_row_33_256_kernelILj1024ELj64ELj32E21rocsparse_complex_numIdEliEEv20rocsparse_direction_T4_S4_21rocsparse_index_base_PKT2_PKT3_PKS4_S4_S5_PS6_PS9_PS4_,comdat
.Lfunc_end283:
	.size	_ZN9rocsparseL35bsr2csr_block_per_row_33_256_kernelILj1024ELj64ELj32E21rocsparse_complex_numIdEliEEv20rocsparse_direction_T4_S4_21rocsparse_index_base_PKT2_PKT3_PKS4_S4_S5_PS6_PS9_PS4_, .Lfunc_end283-_ZN9rocsparseL35bsr2csr_block_per_row_33_256_kernelILj1024ELj64ELj32E21rocsparse_complex_numIdEliEEv20rocsparse_direction_T4_S4_21rocsparse_index_base_PKT2_PKT3_PKS4_S4_S5_PS6_PS9_PS4_
                                        ; -- End function
	.set _ZN9rocsparseL35bsr2csr_block_per_row_33_256_kernelILj1024ELj64ELj32E21rocsparse_complex_numIdEliEEv20rocsparse_direction_T4_S4_21rocsparse_index_base_PKT2_PKT3_PKS4_S4_S5_PS6_PS9_PS4_.num_vgpr, 30
	.set _ZN9rocsparseL35bsr2csr_block_per_row_33_256_kernelILj1024ELj64ELj32E21rocsparse_complex_numIdEliEEv20rocsparse_direction_T4_S4_21rocsparse_index_base_PKT2_PKT3_PKS4_S4_S5_PS6_PS9_PS4_.num_agpr, 0
	.set _ZN9rocsparseL35bsr2csr_block_per_row_33_256_kernelILj1024ELj64ELj32E21rocsparse_complex_numIdEliEEv20rocsparse_direction_T4_S4_21rocsparse_index_base_PKT2_PKT3_PKS4_S4_S5_PS6_PS9_PS4_.numbered_sgpr, 36
	.set _ZN9rocsparseL35bsr2csr_block_per_row_33_256_kernelILj1024ELj64ELj32E21rocsparse_complex_numIdEliEEv20rocsparse_direction_T4_S4_21rocsparse_index_base_PKT2_PKT3_PKS4_S4_S5_PS6_PS9_PS4_.num_named_barrier, 0
	.set _ZN9rocsparseL35bsr2csr_block_per_row_33_256_kernelILj1024ELj64ELj32E21rocsparse_complex_numIdEliEEv20rocsparse_direction_T4_S4_21rocsparse_index_base_PKT2_PKT3_PKS4_S4_S5_PS6_PS9_PS4_.private_seg_size, 0
	.set _ZN9rocsparseL35bsr2csr_block_per_row_33_256_kernelILj1024ELj64ELj32E21rocsparse_complex_numIdEliEEv20rocsparse_direction_T4_S4_21rocsparse_index_base_PKT2_PKT3_PKS4_S4_S5_PS6_PS9_PS4_.uses_vcc, 1
	.set _ZN9rocsparseL35bsr2csr_block_per_row_33_256_kernelILj1024ELj64ELj32E21rocsparse_complex_numIdEliEEv20rocsparse_direction_T4_S4_21rocsparse_index_base_PKT2_PKT3_PKS4_S4_S5_PS6_PS9_PS4_.uses_flat_scratch, 0
	.set _ZN9rocsparseL35bsr2csr_block_per_row_33_256_kernelILj1024ELj64ELj32E21rocsparse_complex_numIdEliEEv20rocsparse_direction_T4_S4_21rocsparse_index_base_PKT2_PKT3_PKS4_S4_S5_PS6_PS9_PS4_.has_dyn_sized_stack, 0
	.set _ZN9rocsparseL35bsr2csr_block_per_row_33_256_kernelILj1024ELj64ELj32E21rocsparse_complex_numIdEliEEv20rocsparse_direction_T4_S4_21rocsparse_index_base_PKT2_PKT3_PKS4_S4_S5_PS6_PS9_PS4_.has_recursion, 0
	.set _ZN9rocsparseL35bsr2csr_block_per_row_33_256_kernelILj1024ELj64ELj32E21rocsparse_complex_numIdEliEEv20rocsparse_direction_T4_S4_21rocsparse_index_base_PKT2_PKT3_PKS4_S4_S5_PS6_PS9_PS4_.has_indirect_call, 0
	.section	.AMDGPU.csdata,"",@progbits
; Kernel info:
; codeLenInByte = 1808
; TotalNumSgprs: 38
; NumVgprs: 30
; ScratchSize: 0
; MemoryBound: 0
; FloatMode: 240
; IeeeMode: 1
; LDSByteSize: 0 bytes/workgroup (compile time only)
; SGPRBlocks: 0
; VGPRBlocks: 3
; NumSGPRsForWavesPerEU: 38
; NumVGPRsForWavesPerEU: 30
; Occupancy: 16
; WaveLimiterHint : 1
; COMPUTE_PGM_RSRC2:SCRATCH_EN: 0
; COMPUTE_PGM_RSRC2:USER_SGPR: 6
; COMPUTE_PGM_RSRC2:TRAP_HANDLER: 0
; COMPUTE_PGM_RSRC2:TGID_X_EN: 1
; COMPUTE_PGM_RSRC2:TGID_Y_EN: 0
; COMPUTE_PGM_RSRC2:TGID_Z_EN: 0
; COMPUTE_PGM_RSRC2:TIDIG_COMP_CNT: 0
	.section	.text._ZN9rocsparseL35bsr2csr_block_per_row_33_256_kernelILj1024ELj128ELj32E21rocsparse_complex_numIdEliEEv20rocsparse_direction_T4_S4_21rocsparse_index_base_PKT2_PKT3_PKS4_S4_S5_PS6_PS9_PS4_,"axG",@progbits,_ZN9rocsparseL35bsr2csr_block_per_row_33_256_kernelILj1024ELj128ELj32E21rocsparse_complex_numIdEliEEv20rocsparse_direction_T4_S4_21rocsparse_index_base_PKT2_PKT3_PKS4_S4_S5_PS6_PS9_PS4_,comdat
	.globl	_ZN9rocsparseL35bsr2csr_block_per_row_33_256_kernelILj1024ELj128ELj32E21rocsparse_complex_numIdEliEEv20rocsparse_direction_T4_S4_21rocsparse_index_base_PKT2_PKT3_PKS4_S4_S5_PS6_PS9_PS4_ ; -- Begin function _ZN9rocsparseL35bsr2csr_block_per_row_33_256_kernelILj1024ELj128ELj32E21rocsparse_complex_numIdEliEEv20rocsparse_direction_T4_S4_21rocsparse_index_base_PKT2_PKT3_PKS4_S4_S5_PS6_PS9_PS4_
	.p2align	8
	.type	_ZN9rocsparseL35bsr2csr_block_per_row_33_256_kernelILj1024ELj128ELj32E21rocsparse_complex_numIdEliEEv20rocsparse_direction_T4_S4_21rocsparse_index_base_PKT2_PKT3_PKS4_S4_S5_PS6_PS9_PS4_,@function
_ZN9rocsparseL35bsr2csr_block_per_row_33_256_kernelILj1024ELj128ELj32E21rocsparse_complex_numIdEliEEv20rocsparse_direction_T4_S4_21rocsparse_index_base_PKT2_PKT3_PKS4_S4_S5_PS6_PS9_PS4_: ; @_ZN9rocsparseL35bsr2csr_block_per_row_33_256_kernelILj1024ELj128ELj32E21rocsparse_complex_numIdEliEEv20rocsparse_direction_T4_S4_21rocsparse_index_base_PKT2_PKT3_PKS4_S4_S5_PS6_PS9_PS4_
; %bb.0:
	s_load_dwordx2 s[0:1], s[4:5], 0x18
	s_ashr_i32 s7, s6, 31
	s_clause 0x1
	s_load_dwordx2 s[12:13], s[4:5], 0x28
	s_load_dwordx2 s[20:21], s[4:5], 0x38
	s_lshl_b64 s[2:3], s[6:7], 3
	v_or_b32_e32 v1, s6, v0
	s_mov_b32 s15, 0
	s_waitcnt lgkmcnt(0)
	s_add_u32 s0, s0, s2
	s_addc_u32 s1, s1, s3
	s_load_dwordx4 s[8:11], s[0:1], 0x0
	s_mov_b32 s0, exec_lo
	v_cmpx_eq_u32_e32 0, v1
	s_cbranch_execz .LBB284_2
; %bb.1:
	s_mov_b32 s14, s13
	v_mov_b32_e32 v3, 0
	v_mov_b32_e32 v1, s14
	;; [unrolled: 1-line block ×3, first 2 shown]
	global_store_dwordx2 v3, v[1:2], s[20:21]
.LBB284_2:
	s_or_b32 exec_lo, exec_lo, s0
	s_load_dword s14, s[4:5], 0xc
	s_mul_i32 s24, s12, s12
	v_lshrrev_b32_e32 v1, 5, v0
	s_mul_i32 s7, s12, s6
	v_cmp_gt_i32_e64 s1, s12, v1
	s_waitcnt lgkmcnt(0)
	s_sub_u32 s16, s8, s14
	s_subb_u32 s17, s9, 0
	s_mul_hi_u32 s0, s16, s24
	s_mul_i32 s2, s17, s24
	s_sub_u32 s18, s10, s14
	s_subb_u32 s19, s11, 0
	s_add_i32 s23, s0, s2
	s_sub_u32 s49, s18, s16
	s_subb_u32 s48, s19, s17
	s_mul_hi_u32 s0, s49, s12
	s_mul_i32 s2, s48, s12
	s_mul_i32 s22, s16, s24
	s_add_i32 s0, s0, s2
	s_mul_i32 s25, s49, s12
	s_add_u32 s2, s22, s13
	s_addc_u32 s3, s23, 0
	s_add_u32 s26, s2, s25
	s_addc_u32 s27, s3, s0
	s_and_saveexec_b32 s2, s1
	s_cbranch_execz .LBB284_4
; %bb.3:
	v_add_nc_u32_e32 v4, s7, v1
	v_mad_u64_u32 v[2:3], null, s25, v1, s[26:27]
	v_ashrrev_i32_e32 v5, 31, v4
	v_mad_u64_u32 v[6:7], null, s0, v1, v[3:4]
	v_lshlrev_b64 v[4:5], 3, v[4:5]
	v_add_co_u32 v4, vcc_lo, s20, v4
	v_mov_b32_e32 v3, v6
	v_add_co_ci_u32_e64 v5, null, s21, v5, vcc_lo
	global_store_dwordx2 v[4:5], v[2:3], off offset:8
.LBB284_4:
	s_or_b32 exec_lo, exec_lo, s2
	v_or_b32_e32 v4, 32, v1
	v_cmp_gt_i32_e64 s2, s12, v4
	s_and_saveexec_b32 s3, s2
	s_cbranch_execz .LBB284_6
; %bb.5:
	v_mad_u64_u32 v[2:3], null, s25, v4, s[26:27]
	s_ashr_i32 s6, s7, 31
	v_add_co_u32 v5, s28, v1, s7
	v_add_co_ci_u32_e64 v6, null, 0, s6, s28
	v_mad_u64_u32 v[7:8], null, s0, v4, v[3:4]
	v_lshlrev_b64 v[5:6], 3, v[5:6]
	v_add_co_u32 v5, vcc_lo, s20, v5
	v_mov_b32_e32 v3, v7
	v_add_co_ci_u32_e64 v6, null, s21, v6, vcc_lo
	global_store_dwordx2 v[5:6], v[2:3], off offset:264
.LBB284_6:
	s_or_b32 exec_lo, exec_lo, s3
	v_or_b32_e32 v5, 64, v1
	v_cmp_gt_i32_e64 s3, s12, v5
	s_and_saveexec_b32 s6, s3
	s_cbranch_execz .LBB284_8
; %bb.7:
	v_mad_u64_u32 v[2:3], null, s25, v5, s[26:27]
	s_ashr_i32 s28, s7, 31
	v_add_co_u32 v6, s29, v1, s7
	v_add_co_ci_u32_e64 v7, null, 0, s28, s29
	v_mad_u64_u32 v[8:9], null, s0, v5, v[3:4]
	v_lshlrev_b64 v[6:7], 3, v[6:7]
	v_add_co_u32 v6, vcc_lo, s20, v6
	v_mov_b32_e32 v3, v8
	v_add_co_ci_u32_e64 v7, null, s21, v7, vcc_lo
	global_store_dwordx2 v[6:7], v[2:3], off offset:520
.LBB284_8:
	;; [unrolled: 17-line block ×3, first 2 shown]
	s_or_b32 exec_lo, exec_lo, s28
	v_cmp_lt_i64_e64 s0, s[8:9], s[10:11]
	s_and_b32 vcc_lo, exec_lo, s0
	s_cbranch_vccz .LBB284_45
; %bb.11:
	s_clause 0x4
	s_load_dwordx2 s[26:27], s[4:5], 0x20
	s_load_dwordx2 s[10:11], s[4:5], 0x30
	s_load_dword s0, s[4:5], 0x0
	s_load_dwordx2 s[46:47], s[4:5], 0x10
	s_load_dwordx2 s[20:21], s[4:5], 0x40
	v_and_b32_e32 v16, 31, v0
	v_mul_lo_u32 v2, v1, s12
	v_mov_b32_e32 v3, 0
	v_lshlrev_b32_e32 v15, 4, v1
	s_mov_b32 s28, s12
	v_mul_lo_u32 v7, v16, s12
	v_cmp_gt_i32_e32 vcc_lo, s12, v16
	v_mov_b32_e32 v8, v3
	v_mov_b32_e32 v10, v3
	;; [unrolled: 1-line block ×7, first 2 shown]
	v_lshlrev_b32_e32 v0, 4, v16
	v_or_b32_e32 v17, 32, v16
	v_or_b32_e32 v18, 64, v16
	s_waitcnt lgkmcnt(0)
	s_cmp_eq_u32 s0, 0
	v_or_b32_e32 v19, 0x60, v16
	s_cselect_b32 s0, -1, 0
	s_lshl_b32 s42, s12, 5
	s_and_b32 s30, s1, vcc_lo
	v_add_nc_u32_e32 v9, s42, v7
	v_add_nc_u32_e32 v22, s42, v2
	v_lshlrev_b64 v[2:3], 4, v[2:3]
	s_and_b32 s34, s2, vcc_lo
	s_and_b32 s38, s3, vcc_lo
	v_add_nc_u32_e32 v11, s42, v9
	v_add_nc_u32_e32 v24, s42, v22
	v_cmp_gt_i32_e64 s4, s12, v17
	v_cmp_gt_i32_e64 s5, s12, v18
	;; [unrolled: 1-line block ×3, first 2 shown]
	v_add_nc_u32_e32 v13, s42, v11
	v_add_nc_u32_e32 v26, s42, v24
	s_and_b32 s42, s6, vcc_lo
	v_add_co_u32 v20, vcc_lo, v2, v0
	v_add_co_ci_u32_e64 v21, null, 0, v3, vcc_lo
	v_lshlrev_b64 v[2:3], 4, v[22:23]
	v_lshlrev_b64 v[24:25], 4, v[24:25]
	s_and_b32 s35, s2, s4
	s_and_b32 s36, s2, s5
	;; [unrolled: 1-line block ×4, first 2 shown]
	v_add_co_u32 v22, vcc_lo, v2, v0
	v_add_co_ci_u32_e64 v23, null, 0, v3, vcc_lo
	v_lshlrev_b64 v[2:3], 4, v[26:27]
	v_add_co_u32 v24, vcc_lo, v24, v0
	v_add_co_ci_u32_e64 v25, null, 0, v25, vcc_lo
	s_and_b32 s40, s3, s5
	v_add_co_u32 v26, vcc_lo, v2, v0
	v_add_co_ci_u32_e64 v27, null, 0, v3, vcc_lo
	v_lshlrev_b64 v[2:3], 4, v[7:8]
	v_lshlrev_b64 v[7:8], 4, v[9:10]
	v_mad_u64_u32 v[9:10], null, v1, s49, 0
	s_and_b32 s41, s3, s7
	s_lshl_b64 s[2:3], s[22:23], 4
	v_add_co_u32 v28, vcc_lo, v15, v2
	v_add_co_ci_u32_e64 v29, null, 0, v3, vcc_lo
	v_add_co_u32 v30, vcc_lo, v15, v7
	v_add_co_ci_u32_e64 v31, null, 0, v8, vcc_lo
	v_lshlrev_b64 v[2:3], 4, v[11:12]
	v_mad_u64_u32 v[7:8], null, v9, s28, s[22:23]
	v_mov_b32_e32 v0, v10
	v_lshlrev_b64 v[9:10], 4, v[13:14]
	v_mad_u64_u32 v[12:13], null, s49, v5, 0
	v_add_co_u32 v32, vcc_lo, v15, v2
	v_mad_u64_u32 v[0:1], null, v1, s48, v[0:1]
	v_add_co_ci_u32_e64 v33, null, 0, v3, vcc_lo
	v_mov_b32_e32 v1, v8
	v_add_co_u32 v34, vcc_lo, v15, v9
	v_mad_u64_u32 v[8:9], null, s49, v6, 0
	v_add_co_ci_u32_e64 v35, null, 0, v10, vcc_lo
	v_mad_u64_u32 v[0:1], null, v0, s28, v[1:2]
	v_add_co_u32 v2, vcc_lo, v7, v16
	v_mov_b32_e32 v7, v9
	v_mad_u64_u32 v[8:9], null, v8, s28, s[22:23]
	v_mad_u64_u32 v[10:11], null, s49, v4, 0
	v_add_co_ci_u32_e64 v3, null, 0, v0, vcc_lo
	s_and_b32 s31, s1, s4
	s_and_b32 s33, s1, s5
	v_mad_u64_u32 v[6:7], null, s48, v6, v[7:8]
	v_mad_u64_u32 v[14:15], null, v10, s28, s[22:23]
	v_mov_b32_e32 v7, v9
	v_mad_u64_u32 v[9:10], null, s48, v4, v[11:12]
	v_mov_b32_e32 v4, v13
	v_mad_u64_u32 v[10:11], null, v12, s28, s[22:23]
	v_mad_u64_u32 v[6:7], null, v6, s28, v[7:8]
	;; [unrolled: 1-line block ×3, first 2 shown]
	v_mov_b32_e32 v12, v15
	v_add_co_u32 v7, vcc_lo, v8, v16
	v_mov_b32_e32 v5, v11
	v_add_co_ci_u32_e64 v8, null, 0, v6, vcc_lo
	v_mad_u64_u32 v[12:13], null, v9, s28, v[12:13]
	v_mad_u64_u32 v[4:5], null, v4, s28, v[5:6]
	v_add_co_u32 v11, vcc_lo, v14, v16
	s_and_b32 s1, s1, s7
	s_and_b32 s43, s6, s4
	v_add_co_ci_u32_e64 v12, null, 0, v12, vcc_lo
	v_add_co_u32 v14, vcc_lo, v10, v16
	v_add_co_ci_u32_e64 v15, null, 0, v4, vcc_lo
	s_and_b32 s44, s6, s5
	s_and_b32 s45, s6, s7
	s_mov_b32 s25, s15
	s_add_u32 s46, s46, s2
	s_addc_u32 s47, s47, s3
	s_lshl_b64 s[4:5], s[8:9], 2
	s_lshl_b64 s[6:7], s[14:15], 2
	;; [unrolled: 1-line block ×3, first 2 shown]
	v_lshlrev_b64 v[0:1], 2, v[2:3]
	v_lshlrev_b64 v[2:3], 4, v[2:3]
	;; [unrolled: 1-line block ×8, first 2 shown]
	s_sub_u32 s4, s4, s6
	s_mov_b32 s29, s15
	s_subb_u32 s5, s5, s7
	s_add_u32 s4, s26, s4
	s_addc_u32 s5, s27, s5
	s_lshl_b64 s[6:7], s[28:29], 2
	s_lshl_b64 s[8:9], s[28:29], 4
	s_branch .LBB284_13
.LBB284_12:                             ;   in Loop: Header=BB284_13 Depth=1
	s_or_b32 exec_lo, exec_lo, s15
	s_add_u32 s16, s16, 1
	s_addc_u32 s17, s17, 0
	s_add_u32 s46, s46, s2
	s_addc_u32 s47, s47, s3
	v_cmp_ge_i64_e64 s15, s[16:17], s[18:19]
	s_add_u32 s4, s4, 4
	s_addc_u32 s5, s5, 0
	s_add_u32 s20, s20, s6
	s_addc_u32 s21, s21, s7
	s_add_u32 s10, s10, s8
	s_addc_u32 s11, s11, s9
	s_and_b32 vcc_lo, exec_lo, s15
	s_cbranch_vccnz .LBB284_45
.LBB284_13:                             ; =>This Inner Loop Header: Depth=1
	s_load_dword s15, s[4:5], 0x0
	s_waitcnt lgkmcnt(0)
	s_sub_i32 s15, s15, s14
	s_mul_i32 s15, s15, s12
	s_add_i32 s15, s15, s13
	v_add_nc_u32_e32 v39, s15, v16
	s_and_saveexec_b32 s22, s30
	s_cbranch_execnz .LBB284_29
; %bb.14:                               ;   in Loop: Header=BB284_13 Depth=1
	s_or_b32 exec_lo, exec_lo, s22
	v_add_nc_u32_e32 v38, s15, v17
	s_and_saveexec_b32 s22, s31
	s_cbranch_execnz .LBB284_30
.LBB284_15:                             ;   in Loop: Header=BB284_13 Depth=1
	s_or_b32 exec_lo, exec_lo, s22
	v_add_nc_u32_e32 v37, s15, v18
	s_and_saveexec_b32 s22, s33
	s_cbranch_execnz .LBB284_31
.LBB284_16:                             ;   in Loop: Header=BB284_13 Depth=1
	s_or_b32 exec_lo, exec_lo, s22
	v_add_nc_u32_e32 v36, s15, v19
	s_and_saveexec_b32 s15, s1
	s_cbranch_execnz .LBB284_32
.LBB284_17:                             ;   in Loop: Header=BB284_13 Depth=1
	s_or_b32 exec_lo, exec_lo, s15
	s_and_saveexec_b32 s15, s34
	s_cbranch_execnz .LBB284_33
.LBB284_18:                             ;   in Loop: Header=BB284_13 Depth=1
	s_or_b32 exec_lo, exec_lo, s15
	s_and_saveexec_b32 s15, s35
	s_cbranch_execnz .LBB284_34
.LBB284_19:                             ;   in Loop: Header=BB284_13 Depth=1
	s_or_b32 exec_lo, exec_lo, s15
	s_and_saveexec_b32 s15, s36
	s_cbranch_execnz .LBB284_35
.LBB284_20:                             ;   in Loop: Header=BB284_13 Depth=1
	s_or_b32 exec_lo, exec_lo, s15
	s_and_saveexec_b32 s15, s37
	s_cbranch_execnz .LBB284_36
.LBB284_21:                             ;   in Loop: Header=BB284_13 Depth=1
	s_or_b32 exec_lo, exec_lo, s15
	s_and_saveexec_b32 s15, s38
	s_cbranch_execnz .LBB284_37
.LBB284_22:                             ;   in Loop: Header=BB284_13 Depth=1
	s_or_b32 exec_lo, exec_lo, s15
	s_and_saveexec_b32 s15, s39
	s_cbranch_execnz .LBB284_38
.LBB284_23:                             ;   in Loop: Header=BB284_13 Depth=1
	s_or_b32 exec_lo, exec_lo, s15
	s_and_saveexec_b32 s15, s40
	s_cbranch_execnz .LBB284_39
.LBB284_24:                             ;   in Loop: Header=BB284_13 Depth=1
	s_or_b32 exec_lo, exec_lo, s15
	s_and_saveexec_b32 s15, s41
	s_cbranch_execnz .LBB284_40
.LBB284_25:                             ;   in Loop: Header=BB284_13 Depth=1
	s_or_b32 exec_lo, exec_lo, s15
	s_and_saveexec_b32 s15, s42
	s_cbranch_execnz .LBB284_41
.LBB284_26:                             ;   in Loop: Header=BB284_13 Depth=1
	s_or_b32 exec_lo, exec_lo, s15
	s_and_saveexec_b32 s15, s43
	s_cbranch_execnz .LBB284_42
.LBB284_27:                             ;   in Loop: Header=BB284_13 Depth=1
	s_or_b32 exec_lo, exec_lo, s15
	s_and_saveexec_b32 s15, s44
	s_cbranch_execnz .LBB284_43
.LBB284_28:                             ;   in Loop: Header=BB284_13 Depth=1
	s_or_b32 exec_lo, exec_lo, s15
	s_and_saveexec_b32 s15, s45
	s_cbranch_execz .LBB284_12
	s_branch .LBB284_44
.LBB284_29:                             ;   in Loop: Header=BB284_13 Depth=1
	v_add_co_u32 v36, vcc_lo, s46, v20
	v_add_co_ci_u32_e64 v37, null, s47, v21, vcc_lo
	v_add_co_u32 v38, vcc_lo, s46, v28
	v_add_co_ci_u32_e64 v40, null, s47, v29, vcc_lo
	v_cndmask_b32_e64 v36, v38, v36, s0
	v_cndmask_b32_e64 v37, v40, v37, s0
	global_load_dwordx4 v[40:43], v[36:37], off
	v_add_co_u32 v36, vcc_lo, s20, v0
	v_add_co_ci_u32_e64 v37, null, s21, v1, vcc_lo
	v_add_co_u32 v44, vcc_lo, s10, v2
	v_add_co_ci_u32_e64 v45, null, s11, v3, vcc_lo
	global_store_dword v[36:37], v39, off
	s_waitcnt vmcnt(0)
	global_store_dwordx4 v[44:45], v[40:43], off
	s_or_b32 exec_lo, exec_lo, s22
	v_add_nc_u32_e32 v38, s15, v17
	s_and_saveexec_b32 s22, s31
	s_cbranch_execz .LBB284_15
.LBB284_30:                             ;   in Loop: Header=BB284_13 Depth=1
	v_add_co_u32 v36, vcc_lo, s46, v20
	v_add_co_ci_u32_e64 v37, null, s47, v21, vcc_lo
	v_add_co_u32 v36, vcc_lo, 0x200, v36
	v_add_co_ci_u32_e64 v37, null, 0, v37, vcc_lo
	;; [unrolled: 2-line block ×3, first 2 shown]
	v_cndmask_b32_e64 v36, v40, v36, s0
	v_cndmask_b32_e64 v37, v41, v37, s0
	global_load_dwordx4 v[40:43], v[36:37], off
	v_add_co_u32 v36, vcc_lo, s20, v0
	v_add_co_ci_u32_e64 v37, null, s21, v1, vcc_lo
	v_add_co_u32 v44, vcc_lo, s10, v2
	v_add_co_ci_u32_e64 v45, null, s11, v3, vcc_lo
	global_store_dword v[36:37], v38, off offset:128
	s_waitcnt vmcnt(0)
	global_store_dwordx4 v[44:45], v[40:43], off offset:512
	s_or_b32 exec_lo, exec_lo, s22
	v_add_nc_u32_e32 v37, s15, v18
	s_and_saveexec_b32 s22, s33
	s_cbranch_execz .LBB284_16
.LBB284_31:                             ;   in Loop: Header=BB284_13 Depth=1
	v_add_co_u32 v36, vcc_lo, s46, v20
	v_add_co_ci_u32_e64 v40, null, s47, v21, vcc_lo
	v_add_co_u32 v36, vcc_lo, 0x400, v36
	v_add_co_ci_u32_e64 v40, null, 0, v40, vcc_lo
	;; [unrolled: 2-line block ×4, first 2 shown]
	v_cndmask_b32_e64 v41, v41, v40, s0
	v_cndmask_b32_e64 v40, v42, v36, s0
	v_add_co_u32 v46, vcc_lo, s10, v2
	v_add_co_ci_u32_e64 v47, null, s11, v3, vcc_lo
	global_load_dwordx4 v[40:43], v[40:41], off
	global_store_dword v[44:45], v37, off offset:256
	s_waitcnt vmcnt(0)
	global_store_dwordx4 v[46:47], v[40:43], off offset:1024
	s_or_b32 exec_lo, exec_lo, s22
	v_add_nc_u32_e32 v36, s15, v19
	s_and_saveexec_b32 s15, s1
	s_cbranch_execz .LBB284_17
.LBB284_32:                             ;   in Loop: Header=BB284_13 Depth=1
	v_add_co_u32 v40, vcc_lo, s46, v20
	v_add_co_ci_u32_e64 v41, null, s47, v21, vcc_lo
	v_add_co_u32 v40, vcc_lo, 0x600, v40
	v_add_co_ci_u32_e64 v41, null, 0, v41, vcc_lo
	;; [unrolled: 2-line block ×3, first 2 shown]
	v_add_co_u32 v44, vcc_lo, s20, v0
	v_cndmask_b32_e64 v40, v42, v40, s0
	v_cndmask_b32_e64 v41, v43, v41, s0
	v_add_co_ci_u32_e64 v45, null, s21, v1, vcc_lo
	v_add_co_u32 v46, vcc_lo, s10, v2
	global_load_dwordx4 v[40:43], v[40:41], off
	v_add_co_ci_u32_e64 v47, null, s11, v3, vcc_lo
	global_store_dword v[44:45], v36, off offset:384
	s_waitcnt vmcnt(0)
	global_store_dwordx4 v[46:47], v[40:43], off offset:1536
	s_or_b32 exec_lo, exec_lo, s15
	s_and_saveexec_b32 s15, s34
	s_cbranch_execz .LBB284_18
.LBB284_33:                             ;   in Loop: Header=BB284_13 Depth=1
	v_add_co_u32 v40, vcc_lo, s46, v28
	v_add_co_ci_u32_e64 v41, null, s47, v29, vcc_lo
	v_add_co_u32 v42, vcc_lo, s46, v22
	v_add_co_ci_u32_e64 v43, null, s47, v23, vcc_lo
	;; [unrolled: 2-line block ×3, first 2 shown]
	v_add_co_u32 v44, vcc_lo, s20, v8
	v_cndmask_b32_e64 v40, v40, v42, s0
	v_cndmask_b32_e64 v41, v41, v43, s0
	v_add_co_ci_u32_e64 v45, null, s21, v9, vcc_lo
	v_add_co_u32 v46, vcc_lo, s10, v10
	global_load_dwordx4 v[40:43], v[40:41], off
	v_add_co_ci_u32_e64 v47, null, s11, v11, vcc_lo
	global_store_dword v[44:45], v39, off
	s_waitcnt vmcnt(0)
	global_store_dwordx4 v[46:47], v[40:43], off
	s_or_b32 exec_lo, exec_lo, s15
	s_and_saveexec_b32 s15, s35
	s_cbranch_execz .LBB284_19
.LBB284_34:                             ;   in Loop: Header=BB284_13 Depth=1
	v_add_co_u32 v40, vcc_lo, s46, v22
	v_add_co_ci_u32_e64 v41, null, s47, v23, vcc_lo
	v_add_co_u32 v42, vcc_lo, s46, v30
	v_add_co_ci_u32_e64 v43, null, s47, v31, vcc_lo
	;; [unrolled: 2-line block ×4, first 2 shown]
	v_add_co_u32 v44, vcc_lo, s20, v8
	v_cndmask_b32_e64 v40, v42, v40, s0
	v_cndmask_b32_e64 v41, v43, v41, s0
	v_add_co_ci_u32_e64 v45, null, s21, v9, vcc_lo
	v_add_co_u32 v46, vcc_lo, s10, v10
	global_load_dwordx4 v[40:43], v[40:41], off
	v_add_co_ci_u32_e64 v47, null, s11, v11, vcc_lo
	global_store_dword v[44:45], v38, off offset:128
	s_waitcnt vmcnt(0)
	global_store_dwordx4 v[46:47], v[40:43], off offset:512
	s_or_b32 exec_lo, exec_lo, s15
	s_and_saveexec_b32 s15, s36
	s_cbranch_execz .LBB284_20
.LBB284_35:                             ;   in Loop: Header=BB284_13 Depth=1
	v_add_co_u32 v40, vcc_lo, s46, v22
	v_add_co_ci_u32_e64 v41, null, s47, v23, vcc_lo
	v_add_co_u32 v42, vcc_lo, s46, v32
	v_add_co_ci_u32_e64 v43, null, s47, v33, vcc_lo
	v_add_co_u32 v40, vcc_lo, 0x400, v40
	v_add_co_ci_u32_e64 v41, null, 0, v41, vcc_lo
	v_add_co_u32 v42, vcc_lo, 0x200, v42
	v_add_co_ci_u32_e64 v43, null, 0, v43, vcc_lo
	v_add_co_u32 v44, vcc_lo, s20, v8
	v_cndmask_b32_e64 v40, v42, v40, s0
	v_cndmask_b32_e64 v41, v43, v41, s0
	v_add_co_ci_u32_e64 v45, null, s21, v9, vcc_lo
	v_add_co_u32 v46, vcc_lo, s10, v10
	global_load_dwordx4 v[40:43], v[40:41], off
	v_add_co_ci_u32_e64 v47, null, s11, v11, vcc_lo
	global_store_dword v[44:45], v37, off offset:256
	s_waitcnt vmcnt(0)
	global_store_dwordx4 v[46:47], v[40:43], off offset:1024
	s_or_b32 exec_lo, exec_lo, s15
	s_and_saveexec_b32 s15, s37
	s_cbranch_execz .LBB284_21
.LBB284_36:                             ;   in Loop: Header=BB284_13 Depth=1
	v_add_co_u32 v40, vcc_lo, s46, v22
	v_add_co_ci_u32_e64 v41, null, s47, v23, vcc_lo
	v_add_co_u32 v42, vcc_lo, s46, v34
	v_add_co_ci_u32_e64 v43, null, s47, v35, vcc_lo
	;; [unrolled: 2-line block ×4, first 2 shown]
	v_add_co_u32 v44, vcc_lo, s20, v8
	v_cndmask_b32_e64 v40, v42, v40, s0
	v_cndmask_b32_e64 v41, v43, v41, s0
	v_add_co_ci_u32_e64 v45, null, s21, v9, vcc_lo
	v_add_co_u32 v46, vcc_lo, s10, v10
	global_load_dwordx4 v[40:43], v[40:41], off
	v_add_co_ci_u32_e64 v47, null, s11, v11, vcc_lo
	global_store_dword v[44:45], v36, off offset:384
	s_waitcnt vmcnt(0)
	global_store_dwordx4 v[46:47], v[40:43], off offset:1536
	s_or_b32 exec_lo, exec_lo, s15
	s_and_saveexec_b32 s15, s38
	s_cbranch_execz .LBB284_22
.LBB284_37:                             ;   in Loop: Header=BB284_13 Depth=1
	v_add_co_u32 v40, vcc_lo, s46, v28
	v_add_co_ci_u32_e64 v41, null, s47, v29, vcc_lo
	v_add_co_u32 v42, vcc_lo, s46, v24
	v_add_co_ci_u32_e64 v43, null, s47, v25, vcc_lo
	;; [unrolled: 2-line block ×3, first 2 shown]
	v_add_co_u32 v44, vcc_lo, s20, v14
	v_cndmask_b32_e64 v40, v40, v42, s0
	v_cndmask_b32_e64 v41, v41, v43, s0
	v_add_co_ci_u32_e64 v45, null, s21, v15, vcc_lo
	v_add_co_u32 v46, vcc_lo, s10, v12
	global_load_dwordx4 v[40:43], v[40:41], off
	v_add_co_ci_u32_e64 v47, null, s11, v13, vcc_lo
	global_store_dword v[44:45], v39, off
	s_waitcnt vmcnt(0)
	global_store_dwordx4 v[46:47], v[40:43], off
	s_or_b32 exec_lo, exec_lo, s15
	s_and_saveexec_b32 s15, s39
	s_cbranch_execz .LBB284_23
.LBB284_38:                             ;   in Loop: Header=BB284_13 Depth=1
	v_add_co_u32 v40, vcc_lo, s46, v24
	v_add_co_ci_u32_e64 v41, null, s47, v25, vcc_lo
	v_add_co_u32 v42, vcc_lo, s46, v30
	v_add_co_ci_u32_e64 v43, null, s47, v31, vcc_lo
	;; [unrolled: 2-line block ×4, first 2 shown]
	v_add_co_u32 v44, vcc_lo, s20, v14
	v_cndmask_b32_e64 v40, v42, v40, s0
	v_cndmask_b32_e64 v41, v43, v41, s0
	v_add_co_ci_u32_e64 v45, null, s21, v15, vcc_lo
	v_add_co_u32 v46, vcc_lo, s10, v12
	global_load_dwordx4 v[40:43], v[40:41], off
	v_add_co_ci_u32_e64 v47, null, s11, v13, vcc_lo
	global_store_dword v[44:45], v38, off offset:128
	s_waitcnt vmcnt(0)
	global_store_dwordx4 v[46:47], v[40:43], off offset:512
	s_or_b32 exec_lo, exec_lo, s15
	s_and_saveexec_b32 s15, s40
	s_cbranch_execz .LBB284_24
.LBB284_39:                             ;   in Loop: Header=BB284_13 Depth=1
	v_add_co_u32 v40, vcc_lo, s46, v24
	v_add_co_ci_u32_e64 v41, null, s47, v25, vcc_lo
	v_add_co_u32 v42, vcc_lo, s46, v32
	v_add_co_ci_u32_e64 v43, null, s47, v33, vcc_lo
	;; [unrolled: 2-line block ×4, first 2 shown]
	v_add_co_u32 v44, vcc_lo, s20, v14
	v_cndmask_b32_e64 v40, v42, v40, s0
	v_cndmask_b32_e64 v41, v43, v41, s0
	v_add_co_ci_u32_e64 v45, null, s21, v15, vcc_lo
	v_add_co_u32 v46, vcc_lo, s10, v12
	global_load_dwordx4 v[40:43], v[40:41], off
	v_add_co_ci_u32_e64 v47, null, s11, v13, vcc_lo
	global_store_dword v[44:45], v37, off offset:256
	s_waitcnt vmcnt(0)
	global_store_dwordx4 v[46:47], v[40:43], off offset:1024
	s_or_b32 exec_lo, exec_lo, s15
	s_and_saveexec_b32 s15, s41
	s_cbranch_execz .LBB284_25
.LBB284_40:                             ;   in Loop: Header=BB284_13 Depth=1
	v_add_co_u32 v40, vcc_lo, s46, v24
	v_add_co_ci_u32_e64 v41, null, s47, v25, vcc_lo
	v_add_co_u32 v42, vcc_lo, s46, v34
	v_add_co_ci_u32_e64 v43, null, s47, v35, vcc_lo
	;; [unrolled: 2-line block ×4, first 2 shown]
	v_add_co_u32 v44, vcc_lo, s20, v14
	v_cndmask_b32_e64 v40, v42, v40, s0
	v_cndmask_b32_e64 v41, v43, v41, s0
	v_add_co_ci_u32_e64 v45, null, s21, v15, vcc_lo
	v_add_co_u32 v46, vcc_lo, s10, v12
	global_load_dwordx4 v[40:43], v[40:41], off
	v_add_co_ci_u32_e64 v47, null, s11, v13, vcc_lo
	global_store_dword v[44:45], v36, off offset:384
	s_waitcnt vmcnt(0)
	global_store_dwordx4 v[46:47], v[40:43], off offset:1536
	s_or_b32 exec_lo, exec_lo, s15
	s_and_saveexec_b32 s15, s42
	s_cbranch_execz .LBB284_26
.LBB284_41:                             ;   in Loop: Header=BB284_13 Depth=1
	v_add_co_u32 v40, vcc_lo, s46, v28
	v_add_co_ci_u32_e64 v41, null, s47, v29, vcc_lo
	v_add_co_u32 v42, vcc_lo, s46, v26
	v_add_co_ci_u32_e64 v43, null, s47, v27, vcc_lo
	;; [unrolled: 2-line block ×3, first 2 shown]
	v_add_co_u32 v44, vcc_lo, s20, v6
	v_cndmask_b32_e64 v40, v40, v42, s0
	v_cndmask_b32_e64 v41, v41, v43, s0
	v_add_co_ci_u32_e64 v45, null, s21, v7, vcc_lo
	v_add_co_u32 v46, vcc_lo, s10, v4
	global_load_dwordx4 v[40:43], v[40:41], off
	v_add_co_ci_u32_e64 v47, null, s11, v5, vcc_lo
	global_store_dword v[44:45], v39, off
	s_waitcnt vmcnt(0)
	global_store_dwordx4 v[46:47], v[40:43], off
	s_or_b32 exec_lo, exec_lo, s15
	s_and_saveexec_b32 s15, s43
	s_cbranch_execz .LBB284_27
.LBB284_42:                             ;   in Loop: Header=BB284_13 Depth=1
	v_add_co_u32 v39, vcc_lo, s46, v26
	v_add_co_ci_u32_e64 v40, null, s47, v27, vcc_lo
	v_add_co_u32 v41, vcc_lo, s46, v30
	v_add_co_ci_u32_e64 v42, null, s47, v31, vcc_lo
	;; [unrolled: 2-line block ×4, first 2 shown]
	v_add_co_u32 v43, vcc_lo, s20, v6
	v_cndmask_b32_e64 v39, v41, v39, s0
	v_cndmask_b32_e64 v40, v42, v40, s0
	v_add_co_ci_u32_e64 v44, null, s21, v7, vcc_lo
	v_add_co_u32 v45, vcc_lo, s10, v4
	global_load_dwordx4 v[39:42], v[39:40], off
	v_add_co_ci_u32_e64 v46, null, s11, v5, vcc_lo
	global_store_dword v[43:44], v38, off offset:128
	s_waitcnt vmcnt(0)
	global_store_dwordx4 v[45:46], v[39:42], off offset:512
	s_or_b32 exec_lo, exec_lo, s15
	s_and_saveexec_b32 s15, s44
	s_cbranch_execz .LBB284_28
.LBB284_43:                             ;   in Loop: Header=BB284_13 Depth=1
	v_add_co_u32 v38, vcc_lo, s46, v26
	v_add_co_ci_u32_e64 v39, null, s47, v27, vcc_lo
	v_add_co_u32 v40, vcc_lo, s46, v32
	v_add_co_ci_u32_e64 v41, null, s47, v33, vcc_lo
	;; [unrolled: 2-line block ×4, first 2 shown]
	v_add_co_u32 v42, vcc_lo, s20, v6
	v_cndmask_b32_e64 v38, v40, v38, s0
	v_cndmask_b32_e64 v39, v41, v39, s0
	v_add_co_ci_u32_e64 v43, null, s21, v7, vcc_lo
	v_add_co_u32 v44, vcc_lo, s10, v4
	global_load_dwordx4 v[38:41], v[38:39], off
	v_add_co_ci_u32_e64 v45, null, s11, v5, vcc_lo
	global_store_dword v[42:43], v37, off offset:256
	s_waitcnt vmcnt(0)
	global_store_dwordx4 v[44:45], v[38:41], off offset:1024
	s_or_b32 exec_lo, exec_lo, s15
	s_and_saveexec_b32 s15, s45
	s_cbranch_execz .LBB284_12
.LBB284_44:                             ;   in Loop: Header=BB284_13 Depth=1
	v_add_co_u32 v37, vcc_lo, s46, v26
	v_add_co_ci_u32_e64 v38, null, s47, v27, vcc_lo
	v_add_co_u32 v39, vcc_lo, s46, v34
	v_add_co_ci_u32_e64 v40, null, s47, v35, vcc_lo
	;; [unrolled: 2-line block ×4, first 2 shown]
	v_add_co_u32 v41, vcc_lo, s20, v6
	v_cndmask_b32_e64 v37, v39, v37, s0
	v_cndmask_b32_e64 v38, v40, v38, s0
	v_add_co_ci_u32_e64 v42, null, s21, v7, vcc_lo
	v_add_co_u32 v43, vcc_lo, s10, v4
	global_load_dwordx4 v[37:40], v[37:38], off
	v_add_co_ci_u32_e64 v44, null, s11, v5, vcc_lo
	global_store_dword v[41:42], v36, off offset:384
	s_waitcnt vmcnt(0)
	global_store_dwordx4 v[43:44], v[37:40], off offset:1536
	s_branch .LBB284_12
.LBB284_45:
	s_endpgm
	.section	.rodata,"a",@progbits
	.p2align	6, 0x0
	.amdhsa_kernel _ZN9rocsparseL35bsr2csr_block_per_row_33_256_kernelILj1024ELj128ELj32E21rocsparse_complex_numIdEliEEv20rocsparse_direction_T4_S4_21rocsparse_index_base_PKT2_PKT3_PKS4_S4_S5_PS6_PS9_PS4_
		.amdhsa_group_segment_fixed_size 0
		.amdhsa_private_segment_fixed_size 0
		.amdhsa_kernarg_size 72
		.amdhsa_user_sgpr_count 6
		.amdhsa_user_sgpr_private_segment_buffer 1
		.amdhsa_user_sgpr_dispatch_ptr 0
		.amdhsa_user_sgpr_queue_ptr 0
		.amdhsa_user_sgpr_kernarg_segment_ptr 1
		.amdhsa_user_sgpr_dispatch_id 0
		.amdhsa_user_sgpr_flat_scratch_init 0
		.amdhsa_user_sgpr_private_segment_size 0
		.amdhsa_wavefront_size32 1
		.amdhsa_uses_dynamic_stack 0
		.amdhsa_system_sgpr_private_segment_wavefront_offset 0
		.amdhsa_system_sgpr_workgroup_id_x 1
		.amdhsa_system_sgpr_workgroup_id_y 0
		.amdhsa_system_sgpr_workgroup_id_z 0
		.amdhsa_system_sgpr_workgroup_info 0
		.amdhsa_system_vgpr_workitem_id 0
		.amdhsa_next_free_vgpr 48
		.amdhsa_next_free_sgpr 50
		.amdhsa_reserve_vcc 1
		.amdhsa_reserve_flat_scratch 0
		.amdhsa_float_round_mode_32 0
		.amdhsa_float_round_mode_16_64 0
		.amdhsa_float_denorm_mode_32 3
		.amdhsa_float_denorm_mode_16_64 3
		.amdhsa_dx10_clamp 1
		.amdhsa_ieee_mode 1
		.amdhsa_fp16_overflow 0
		.amdhsa_workgroup_processor_mode 1
		.amdhsa_memory_ordered 1
		.amdhsa_forward_progress 1
		.amdhsa_shared_vgpr_count 0
		.amdhsa_exception_fp_ieee_invalid_op 0
		.amdhsa_exception_fp_denorm_src 0
		.amdhsa_exception_fp_ieee_div_zero 0
		.amdhsa_exception_fp_ieee_overflow 0
		.amdhsa_exception_fp_ieee_underflow 0
		.amdhsa_exception_fp_ieee_inexact 0
		.amdhsa_exception_int_div_zero 0
	.end_amdhsa_kernel
	.section	.text._ZN9rocsparseL35bsr2csr_block_per_row_33_256_kernelILj1024ELj128ELj32E21rocsparse_complex_numIdEliEEv20rocsparse_direction_T4_S4_21rocsparse_index_base_PKT2_PKT3_PKS4_S4_S5_PS6_PS9_PS4_,"axG",@progbits,_ZN9rocsparseL35bsr2csr_block_per_row_33_256_kernelILj1024ELj128ELj32E21rocsparse_complex_numIdEliEEv20rocsparse_direction_T4_S4_21rocsparse_index_base_PKT2_PKT3_PKS4_S4_S5_PS6_PS9_PS4_,comdat
.Lfunc_end284:
	.size	_ZN9rocsparseL35bsr2csr_block_per_row_33_256_kernelILj1024ELj128ELj32E21rocsparse_complex_numIdEliEEv20rocsparse_direction_T4_S4_21rocsparse_index_base_PKT2_PKT3_PKS4_S4_S5_PS6_PS9_PS4_, .Lfunc_end284-_ZN9rocsparseL35bsr2csr_block_per_row_33_256_kernelILj1024ELj128ELj32E21rocsparse_complex_numIdEliEEv20rocsparse_direction_T4_S4_21rocsparse_index_base_PKT2_PKT3_PKS4_S4_S5_PS6_PS9_PS4_
                                        ; -- End function
	.set _ZN9rocsparseL35bsr2csr_block_per_row_33_256_kernelILj1024ELj128ELj32E21rocsparse_complex_numIdEliEEv20rocsparse_direction_T4_S4_21rocsparse_index_base_PKT2_PKT3_PKS4_S4_S5_PS6_PS9_PS4_.num_vgpr, 48
	.set _ZN9rocsparseL35bsr2csr_block_per_row_33_256_kernelILj1024ELj128ELj32E21rocsparse_complex_numIdEliEEv20rocsparse_direction_T4_S4_21rocsparse_index_base_PKT2_PKT3_PKS4_S4_S5_PS6_PS9_PS4_.num_agpr, 0
	.set _ZN9rocsparseL35bsr2csr_block_per_row_33_256_kernelILj1024ELj128ELj32E21rocsparse_complex_numIdEliEEv20rocsparse_direction_T4_S4_21rocsparse_index_base_PKT2_PKT3_PKS4_S4_S5_PS6_PS9_PS4_.numbered_sgpr, 50
	.set _ZN9rocsparseL35bsr2csr_block_per_row_33_256_kernelILj1024ELj128ELj32E21rocsparse_complex_numIdEliEEv20rocsparse_direction_T4_S4_21rocsparse_index_base_PKT2_PKT3_PKS4_S4_S5_PS6_PS9_PS4_.num_named_barrier, 0
	.set _ZN9rocsparseL35bsr2csr_block_per_row_33_256_kernelILj1024ELj128ELj32E21rocsparse_complex_numIdEliEEv20rocsparse_direction_T4_S4_21rocsparse_index_base_PKT2_PKT3_PKS4_S4_S5_PS6_PS9_PS4_.private_seg_size, 0
	.set _ZN9rocsparseL35bsr2csr_block_per_row_33_256_kernelILj1024ELj128ELj32E21rocsparse_complex_numIdEliEEv20rocsparse_direction_T4_S4_21rocsparse_index_base_PKT2_PKT3_PKS4_S4_S5_PS6_PS9_PS4_.uses_vcc, 1
	.set _ZN9rocsparseL35bsr2csr_block_per_row_33_256_kernelILj1024ELj128ELj32E21rocsparse_complex_numIdEliEEv20rocsparse_direction_T4_S4_21rocsparse_index_base_PKT2_PKT3_PKS4_S4_S5_PS6_PS9_PS4_.uses_flat_scratch, 0
	.set _ZN9rocsparseL35bsr2csr_block_per_row_33_256_kernelILj1024ELj128ELj32E21rocsparse_complex_numIdEliEEv20rocsparse_direction_T4_S4_21rocsparse_index_base_PKT2_PKT3_PKS4_S4_S5_PS6_PS9_PS4_.has_dyn_sized_stack, 0
	.set _ZN9rocsparseL35bsr2csr_block_per_row_33_256_kernelILj1024ELj128ELj32E21rocsparse_complex_numIdEliEEv20rocsparse_direction_T4_S4_21rocsparse_index_base_PKT2_PKT3_PKS4_S4_S5_PS6_PS9_PS4_.has_recursion, 0
	.set _ZN9rocsparseL35bsr2csr_block_per_row_33_256_kernelILj1024ELj128ELj32E21rocsparse_complex_numIdEliEEv20rocsparse_direction_T4_S4_21rocsparse_index_base_PKT2_PKT3_PKS4_S4_S5_PS6_PS9_PS4_.has_indirect_call, 0
	.section	.AMDGPU.csdata,"",@progbits
; Kernel info:
; codeLenInByte = 4080
; TotalNumSgprs: 52
; NumVgprs: 48
; ScratchSize: 0
; MemoryBound: 0
; FloatMode: 240
; IeeeMode: 1
; LDSByteSize: 0 bytes/workgroup (compile time only)
; SGPRBlocks: 0
; VGPRBlocks: 5
; NumSGPRsForWavesPerEU: 52
; NumVGPRsForWavesPerEU: 48
; Occupancy: 16
; WaveLimiterHint : 1
; COMPUTE_PGM_RSRC2:SCRATCH_EN: 0
; COMPUTE_PGM_RSRC2:USER_SGPR: 6
; COMPUTE_PGM_RSRC2:TRAP_HANDLER: 0
; COMPUTE_PGM_RSRC2:TGID_X_EN: 1
; COMPUTE_PGM_RSRC2:TGID_Y_EN: 0
; COMPUTE_PGM_RSRC2:TGID_Z_EN: 0
; COMPUTE_PGM_RSRC2:TIDIG_COMP_CNT: 0
	.section	.text._ZN9rocsparseL35bsr2csr_block_per_row_33_256_kernelILj1024ELj256ELj32E21rocsparse_complex_numIdEliEEv20rocsparse_direction_T4_S4_21rocsparse_index_base_PKT2_PKT3_PKS4_S4_S5_PS6_PS9_PS4_,"axG",@progbits,_ZN9rocsparseL35bsr2csr_block_per_row_33_256_kernelILj1024ELj256ELj32E21rocsparse_complex_numIdEliEEv20rocsparse_direction_T4_S4_21rocsparse_index_base_PKT2_PKT3_PKS4_S4_S5_PS6_PS9_PS4_,comdat
	.globl	_ZN9rocsparseL35bsr2csr_block_per_row_33_256_kernelILj1024ELj256ELj32E21rocsparse_complex_numIdEliEEv20rocsparse_direction_T4_S4_21rocsparse_index_base_PKT2_PKT3_PKS4_S4_S5_PS6_PS9_PS4_ ; -- Begin function _ZN9rocsparseL35bsr2csr_block_per_row_33_256_kernelILj1024ELj256ELj32E21rocsparse_complex_numIdEliEEv20rocsparse_direction_T4_S4_21rocsparse_index_base_PKT2_PKT3_PKS4_S4_S5_PS6_PS9_PS4_
	.p2align	8
	.type	_ZN9rocsparseL35bsr2csr_block_per_row_33_256_kernelILj1024ELj256ELj32E21rocsparse_complex_numIdEliEEv20rocsparse_direction_T4_S4_21rocsparse_index_base_PKT2_PKT3_PKS4_S4_S5_PS6_PS9_PS4_,@function
_ZN9rocsparseL35bsr2csr_block_per_row_33_256_kernelILj1024ELj256ELj32E21rocsparse_complex_numIdEliEEv20rocsparse_direction_T4_S4_21rocsparse_index_base_PKT2_PKT3_PKS4_S4_S5_PS6_PS9_PS4_: ; @_ZN9rocsparseL35bsr2csr_block_per_row_33_256_kernelILj1024ELj256ELj32E21rocsparse_complex_numIdEliEEv20rocsparse_direction_T4_S4_21rocsparse_index_base_PKT2_PKT3_PKS4_S4_S5_PS6_PS9_PS4_
; %bb.0:
	s_load_dwordx2 s[0:1], s[4:5], 0x18
	s_ashr_i32 s7, s6, 31
	s_clause 0x1
	s_load_dwordx2 s[16:17], s[4:5], 0x28
	s_load_dwordx2 s[24:25], s[4:5], 0x38
	s_lshl_b64 s[2:3], s[6:7], 3
	v_or_b32_e32 v1, s6, v0
	s_waitcnt lgkmcnt(0)
	s_add_u32 s0, s0, s2
	s_addc_u32 s1, s1, s3
	s_mov_b32 s2, exec_lo
	s_load_dwordx4 s[12:15], s[0:1], 0x0
	s_mov_b32 s1, 0
	v_cmpx_eq_u32_e32 0, v1
	s_cbranch_execz .LBB285_2
; %bb.1:
	s_mov_b32 s0, s17
	v_mov_b32_e32 v2, s1
	v_mov_b32_e32 v3, 0
	;; [unrolled: 1-line block ×3, first 2 shown]
	global_store_dwordx2 v3, v[1:2], s[24:25]
.LBB285_2:
	s_or_b32 exec_lo, exec_lo, s2
	s_load_dword s33, s[4:5], 0xc
	s_mul_i32 s34, s16, s16
	v_lshrrev_b32_e32 v13, 5, v0
	s_mul_i32 s11, s16, s6
	v_cmp_gt_i32_e64 s7, s16, v13
	s_waitcnt lgkmcnt(0)
	s_sub_u32 s18, s12, s33
	s_subb_u32 s19, s13, 0
	s_mul_hi_u32 s0, s18, s34
	s_mul_i32 s1, s19, s34
	s_sub_u32 s20, s14, s33
	s_subb_u32 s21, s15, 0
	s_add_i32 s23, s0, s1
	s_sub_u32 s47, s20, s18
	s_subb_u32 s51, s21, s19
	s_mul_hi_u32 s0, s47, s16
	s_mul_i32 s1, s51, s16
	s_mul_i32 s22, s18, s34
	s_add_i32 s0, s0, s1
	s_mul_i32 s28, s47, s16
	s_add_u32 s1, s22, s17
	s_addc_u32 s2, s23, 0
	s_add_u32 s26, s1, s28
	s_addc_u32 s27, s2, s0
	s_and_saveexec_b32 s1, s7
	s_cbranch_execz .LBB285_4
; %bb.3:
	v_add_nc_u32_e32 v3, s11, v13
	v_mad_u64_u32 v[1:2], null, s28, v13, s[26:27]
	v_ashrrev_i32_e32 v4, 31, v3
	v_mad_u64_u32 v[5:6], null, s0, v13, v[2:3]
	v_lshlrev_b64 v[3:4], 3, v[3:4]
	v_add_co_u32 v3, vcc_lo, s24, v3
	v_mov_b32_e32 v2, v5
	v_add_co_ci_u32_e64 v4, null, s25, v4, vcc_lo
	global_store_dwordx2 v[3:4], v[1:2], off offset:8
.LBB285_4:
	s_or_b32 exec_lo, exec_lo, s1
	v_or_b32_e32 v4, 32, v13
	v_cmp_gt_i32_e64 s1, s16, v4
	s_and_saveexec_b32 s2, s1
	s_cbranch_execz .LBB285_6
; %bb.5:
	s_ashr_i32 s3, s11, 31
	v_add_co_u32 v5, s6, v13, s11
	v_add_co_ci_u32_e64 v6, null, 0, s3, s6
	v_mad_u64_u32 v[1:2], null, s28, v4, s[26:27]
	v_lshlrev_b64 v[5:6], 3, v[5:6]
	v_mad_u64_u32 v[2:3], null, s0, v4, v[2:3]
	v_add_co_u32 v5, vcc_lo, s24, v5
	v_add_co_ci_u32_e64 v6, null, s25, v6, vcc_lo
	global_store_dwordx2 v[5:6], v[1:2], off offset:264
.LBB285_6:
	s_or_b32 exec_lo, exec_lo, s2
	v_or_b32_e32 v6, 64, v13
	v_cmp_gt_i32_e64 s2, s16, v6
	s_and_saveexec_b32 s3, s2
	s_cbranch_execz .LBB285_8
; %bb.7:
	s_ashr_i32 s6, s11, 31
	v_add_co_u32 v7, s8, v13, s11
	v_add_co_ci_u32_e64 v8, null, 0, s6, s8
	v_mad_u64_u32 v[1:2], null, s28, v6, s[26:27]
	v_lshlrev_b64 v[7:8], 3, v[7:8]
	v_mad_u64_u32 v[2:3], null, s0, v6, v[2:3]
	v_add_co_u32 v7, vcc_lo, s24, v7
	v_add_co_ci_u32_e64 v8, null, s25, v8, vcc_lo
	global_store_dwordx2 v[7:8], v[1:2], off offset:520
.LBB285_8:
	;; [unrolled: 16-line block ×6, first 2 shown]
	s_or_b32 exec_lo, exec_lo, s9
	v_or_b32_e32 v44, 0xe0, v13
	v_cmp_gt_i32_e64 s9, s16, v44
	s_and_saveexec_b32 s29, s9
	s_cbranch_execz .LBB285_18
; %bb.17:
	v_mad_u64_u32 v[1:2], null, s28, v44, s[26:27]
	s_ashr_i32 s26, s11, 31
	v_add_co_u32 v7, s11, v13, s11
	v_add_co_ci_u32_e64 v8, null, 0, s26, s11
	v_mad_u64_u32 v[2:3], null, s0, v44, v[2:3]
	v_lshlrev_b64 v[7:8], 3, v[7:8]
	v_add_co_u32 v7, vcc_lo, s24, v7
	v_add_co_ci_u32_e64 v8, null, s25, v8, vcc_lo
	global_store_dwordx2 v[7:8], v[1:2], off offset:1800
.LBB285_18:
	s_or_b32 exec_lo, exec_lo, s29
	v_cmp_lt_i64_e64 s0, s[12:13], s[14:15]
	s_and_b32 vcc_lo, exec_lo, s0
	s_cbranch_vccz .LBB285_149
; %bb.19:
	v_and_b32_e32 v47, 31, v0
	v_mad_u64_u32 v[0:1], null, s47, v13, 0
	v_mad_u64_u32 v[2:3], null, s47, v4, 0
	s_clause 0x4
	s_load_dword s0, s[4:5], 0x0
	s_load_dwordx2 s[24:25], s[4:5], 0x20
	s_load_dwordx2 s[26:27], s[4:5], 0x30
	;; [unrolled: 1-line block ×4, first 2 shown]
	v_mad_u64_u32 v[10:11], null, s47, v24, 0
	v_mul_lo_u32 v14, v13, s16
	v_mul_lo_u32 v28, v47, s16
	v_mov_b32_e32 v29, 0
	v_mad_u64_u32 v[7:8], null, s51, v13, v[1:2]
	v_or_b32_e32 v48, 32, v47
	v_mad_u64_u32 v[45:46], null, s51, v24, v[11:12]
	v_or_b32_e32 v49, 64, v47
	v_or_b32_e32 v50, 0x60, v47
	;; [unrolled: 1-line block ×3, first 2 shown]
	v_mov_b32_e32 v1, v7
	v_mad_u64_u32 v[7:8], null, s51, v4, v[3:4]
	v_mad_u64_u32 v[3:4], null, s47, v6, 0
	s_waitcnt lgkmcnt(0)
	s_cmp_eq_u32 s0, 0
	v_mov_b32_e32 v57, v45
	s_cselect_b32 s0, -1, 0
	s_lshl_b32 s87, s16, 5
	v_mov_b32_e32 v55, v7
	v_add_nc_u32_e32 v30, s87, v28
	v_mov_b32_e32 v7, v4
	v_mad_u64_u32 v[4:5], null, s47, v12, 0
	v_add_nc_u32_e32 v16, s87, v14
	v_add_nc_u32_e32 v32, s87, v30
	v_mad_u64_u32 v[18:19], null, s51, v6, v[7:8]
	v_mad_u64_u32 v[6:7], null, s47, v20, 0
	v_mad_u64_u32 v[8:9], null, s47, v22, 0
	v_mov_b32_e32 v19, v5
	v_add_nc_u32_e32 v34, s87, v32
	v_mov_b32_e32 v5, v18
	v_or_b32_e32 v52, 0xa0, v47
	v_or_b32_e32 v53, 0xc0, v47
	v_mad_u64_u32 v[18:19], null, s51, v12, v[19:20]
	v_mad_u64_u32 v[25:26], null, s51, v20, v[7:8]
	;; [unrolled: 1-line block ×4, first 2 shown]
	v_mov_b32_e32 v7, v18
	v_add_nc_u32_e32 v18, s87, v16
	v_mov_b32_e32 v9, v25
	v_add_nc_u32_e32 v36, s87, v34
	v_mov_b32_e32 v56, v26
	v_or_b32_e32 v54, 0xe0, v47
	v_mad_u64_u32 v[25:26], null, s51, v44, v[12:13]
	v_add_nc_u32_e32 v38, s87, v36
	v_mov_b32_e32 v31, v29
	v_mov_b32_e32 v33, v29
	;; [unrolled: 1-line block ×4, first 2 shown]
	v_add_nc_u32_e32 v40, s87, v38
	v_mov_b32_e32 v58, v25
	v_add_nc_u32_e32 v25, s87, v18
	v_mov_b32_e32 v39, v29
	v_mov_b32_e32 v41, v29
	;; [unrolled: 1-line block ×4, first 2 shown]
	v_add_nc_u32_e32 v45, s87, v25
	v_add_nc_u32_e32 v42, s87, v40
	v_mov_b32_e32 v17, v29
	v_mov_b32_e32 v19, v29
	;; [unrolled: 1-line block ×3, first 2 shown]
	v_add_nc_u32_e32 v62, s87, v45
	v_mov_b32_e32 v46, v29
	v_mov_b32_e32 v63, v29
	v_mov_b32_e32 v65, v29
	v_mov_b32_e32 v67, v29
	v_add_nc_u32_e32 v64, s87, v62
	v_cmp_gt_i32_e32 vcc_lo, s16, v47
	v_cmp_gt_i32_e64 s11, s16, v48
	v_cmp_gt_i32_e64 s12, s16, v49
	;; [unrolled: 1-line block ×3, first 2 shown]
	v_add_nc_u32_e32 v66, s87, v64
	v_cmp_gt_i32_e64 s14, s16, v51
	v_cmp_gt_i32_e64 s15, s16, v52
	;; [unrolled: 1-line block ×4, first 2 shown]
	v_lshlrev_b32_e32 v59, 4, v13
	v_lshlrev_b64 v[12:13], 4, v[14:15]
	v_lshlrev_b64 v[14:15], 4, v[16:17]
	;; [unrolled: 1-line block ×4, first 2 shown]
	v_lshlrev_b32_e32 v60, 4, v20
	v_lshlrev_b64 v[20:21], 4, v[45:46]
	v_lshlrev_b32_e32 v61, 4, v22
	v_lshlrev_b64 v[22:23], 4, v[62:63]
	;; [unrolled: 2-line block ×3, first 2 shown]
	v_lshlrev_b64 v[26:27], 4, v[66:67]
	v_lshlrev_b64 v[28:29], 4, v[28:29]
	;; [unrolled: 1-line block ×9, first 2 shown]
	v_lshlrev_b32_e32 v63, 4, v44
	s_and_b32 s35, s7, vcc_lo
	s_and_b32 s36, s7, s11
	s_and_b32 s37, s7, s12
	s_and_b32 s38, s7, s13
	s_and_b32 s39, s7, s14
	s_and_b32 s40, s7, s15
	s_and_b32 s41, s7, s4
	s_and_b32 s7, s7, s5
	s_and_b32 s42, s1, vcc_lo
	s_and_b32 s43, s1, s11
	s_and_b32 s44, s1, s12
	s_and_b32 s45, s1, s13
	s_and_b32 s46, s1, s14
	s_and_b32 s47, s1, s15
	s_and_b32 s48, s1, s4
	s_and_b32 s49, s1, s5
	;; [unrolled: 8-line block ×8, first 2 shown]
	s_mov_b64 s[2:3], s[18:19]
	s_branch .LBB285_21
.LBB285_20:                             ;   in Loop: Header=BB285_21 Depth=1
	s_or_b32 exec_lo, exec_lo, s1
	s_add_u32 s2, s2, 1
	s_addc_u32 s3, s3, 0
	v_cmp_ge_i64_e64 s1, s[2:3], s[20:21]
	s_and_b32 vcc_lo, exec_lo, s1
	s_cbranch_vccnz .LBB285_149
.LBB285_21:                             ; =>This Inner Loop Header: Depth=1
	s_lshl_b64 s[88:89], s[2:3], 2
	s_mul_hi_u32 s91, s2, s34
	s_add_u32 s88, s24, s88
	s_addc_u32 s89, s25, s89
	s_mul_i32 s90, s2, s34
	s_load_dword s1, s[88:89], 0x0
	s_mul_i32 s89, s3, s34
	v_lshlrev_b32_e32 v64, 4, v47
	s_waitcnt lgkmcnt(0)
	s_sub_i32 s1, s1, s33
	s_sub_u32 s9, s2, s18
	s_subb_u32 s88, s3, s19
	v_add_co_u32 v44, vcc_lo, v0, s9
	v_add_co_ci_u32_e64 v46, null, s88, v1, vcc_lo
	s_add_i32 s91, s91, s89
	v_mad_u64_u32 v[44:45], null, v44, s16, s[22:23]
	s_mul_i32 s1, s1, s16
	s_lshl_b64 s[92:93], s[90:91], 4
	s_add_i32 s91, s1, s17
	s_add_u32 s89, s28, s92
	s_addc_u32 s90, s29, s93
	v_add_co_u32 v77, s1, s89, v59
	v_mad_u64_u32 v[45:46], null, v46, s16, v[45:46]
	v_add_co_u32 v46, vcc_lo, s89, v12
	v_add_nc_u32_e32 v65, s91, v47
	v_add_co_ci_u32_e64 v78, null, s90, 0, s1
	v_add_co_ci_u32_e64 v79, null, s90, v13, vcc_lo
	s_and_saveexec_b32 s1, s35
	s_cbranch_execnz .LBB285_96
; %bb.22:                               ;   in Loop: Header=BB285_21 Depth=1
	s_or_b32 exec_lo, exec_lo, s1
	v_add_nc_u32_e32 v66, s91, v48
	s_and_saveexec_b32 s1, s36
	s_cbranch_execnz .LBB285_97
.LBB285_23:                             ;   in Loop: Header=BB285_21 Depth=1
	s_or_b32 exec_lo, exec_lo, s1
	v_add_nc_u32_e32 v68, s91, v49
	s_and_saveexec_b32 s92, s37
	s_cbranch_execnz .LBB285_98
.LBB285_24:                             ;   in Loop: Header=BB285_21 Depth=1
	s_or_b32 exec_lo, exec_lo, s92
	v_add_nc_u32_e32 v70, s91, v50
	s_and_saveexec_b32 s1, s38
	s_cbranch_execz .LBB285_26
.LBB285_25:                             ;   in Loop: Header=BB285_21 Depth=1
	v_add_co_u32 v67, vcc_lo, v46, v64
	v_add_co_ci_u32_e64 v69, null, 0, v79, vcc_lo
	v_add_co_u32 v67, vcc_lo, 0x600, v67
	v_add_co_ci_u32_e64 v69, null, 0, v69, vcc_lo
	;; [unrolled: 2-line block ×3, first 2 shown]
	v_add_co_u32 v75, vcc_lo, v44, v47
	v_cndmask_b32_e64 v71, v71, v67, s0
	v_cndmask_b32_e64 v72, v72, v69, s0
	v_add_co_ci_u32_e64 v76, null, 0, v45, vcc_lo
	global_load_dwordx4 v[71:74], v[71:72], off
	v_lshlrev_b64 v[80:81], 2, v[75:76]
	v_lshlrev_b64 v[75:76], 4, v[75:76]
	v_add_co_u32 v80, vcc_lo, s30, v80
	v_add_co_ci_u32_e64 v81, null, s31, v81, vcc_lo
	v_add_co_u32 v75, vcc_lo, s26, v75
	v_add_co_ci_u32_e64 v76, null, s27, v76, vcc_lo
	global_store_dword v[80:81], v70, off offset:384
	s_waitcnt vmcnt(0)
	global_store_dwordx4 v[75:76], v[71:74], off offset:1536
.LBB285_26:                             ;   in Loop: Header=BB285_21 Depth=1
	s_or_b32 exec_lo, exec_lo, s1
	v_add_nc_u32_e32 v67, s91, v51
	v_lshlrev_b32_e32 v73, 4, v51
	s_and_saveexec_b32 s1, s39
	s_cbranch_execz .LBB285_28
; %bb.27:                               ;   in Loop: Header=BB285_21 Depth=1
	v_add_co_u32 v69, vcc_lo, v46, v73
	v_add_co_ci_u32_e64 v71, null, 0, v79, vcc_lo
	v_add_co_u32 v74, vcc_lo, v77, v36
	v_add_co_ci_u32_e64 v72, null, v78, v37, vcc_lo
	v_cndmask_b32_e64 v72, v72, v71, s0
	v_cndmask_b32_e64 v71, v74, v69, s0
	global_load_dwordx4 v[80:83], v[71:72], off
	v_add_co_u32 v71, vcc_lo, v44, v47
	v_add_co_ci_u32_e64 v72, null, 0, v45, vcc_lo
	v_add_co_u32 v74, vcc_lo, v44, v51
	v_add_co_ci_u32_e64 v75, null, 0, v45, vcc_lo
	v_lshlrev_b64 v[71:72], 2, v[71:72]
	v_lshlrev_b64 v[74:75], 4, v[74:75]
	v_add_co_u32 v71, vcc_lo, s30, v71
	v_add_co_ci_u32_e64 v72, null, s31, v72, vcc_lo
	v_add_co_u32 v74, vcc_lo, s26, v74
	v_add_co_ci_u32_e64 v75, null, s27, v75, vcc_lo
	global_store_dword v[71:72], v67, off offset:512
	s_waitcnt vmcnt(0)
	global_store_dwordx4 v[74:75], v[80:83], off
.LBB285_28:                             ;   in Loop: Header=BB285_21 Depth=1
	s_or_b32 exec_lo, exec_lo, s1
	v_add_nc_u32_e32 v69, s91, v52
	v_lshlrev_b32_e32 v74, 4, v52
	s_and_saveexec_b32 s1, s40
	s_cbranch_execz .LBB285_30
; %bb.29:                               ;   in Loop: Header=BB285_21 Depth=1
	v_add_co_u32 v71, vcc_lo, v46, v74
	v_add_co_ci_u32_e64 v72, null, 0, v79, vcc_lo
	v_add_co_u32 v75, vcc_lo, v77, v38
	v_add_co_ci_u32_e64 v76, null, v78, v39, vcc_lo
	v_cndmask_b32_e64 v71, v75, v71, s0
	v_cndmask_b32_e64 v72, v76, v72, s0
	global_load_dwordx4 v[80:83], v[71:72], off
	v_add_co_u32 v71, vcc_lo, v44, v47
	v_add_co_ci_u32_e64 v72, null, 0, v45, vcc_lo
	v_add_co_u32 v75, vcc_lo, v44, v52
	v_add_co_ci_u32_e64 v76, null, 0, v45, vcc_lo
	v_lshlrev_b64 v[71:72], 2, v[71:72]
	v_lshlrev_b64 v[75:76], 4, v[75:76]
	v_add_co_u32 v71, vcc_lo, s30, v71
	v_add_co_ci_u32_e64 v72, null, s31, v72, vcc_lo
	v_add_co_u32 v75, vcc_lo, s26, v75
	v_add_co_ci_u32_e64 v76, null, s27, v76, vcc_lo
	global_store_dword v[71:72], v69, off offset:640
	s_waitcnt vmcnt(0)
	global_store_dwordx4 v[75:76], v[80:83], off
.LBB285_30:                             ;   in Loop: Header=BB285_21 Depth=1
	s_or_b32 exec_lo, exec_lo, s1
	v_add_nc_u32_e32 v71, s91, v53
	v_lshlrev_b32_e32 v75, 4, v53
	s_and_saveexec_b32 s1, s41
	s_cbranch_execz .LBB285_32
; %bb.31:                               ;   in Loop: Header=BB285_21 Depth=1
	v_add_co_u32 v72, vcc_lo, v46, v75
	v_add_co_ci_u32_e64 v76, null, 0, v79, vcc_lo
	v_add_co_u32 v80, vcc_lo, v77, v40
	v_add_co_ci_u32_e64 v81, null, v78, v41, vcc_lo
	v_add_co_u32 v84, vcc_lo, v44, v47
	v_cndmask_b32_e64 v80, v80, v72, s0
	v_cndmask_b32_e64 v81, v81, v76, s0
	v_add_co_ci_u32_e64 v85, null, 0, v45, vcc_lo
	v_add_co_u32 v86, vcc_lo, v44, v53
	global_load_dwordx4 v[80:83], v[80:81], off
	v_add_co_ci_u32_e64 v87, null, 0, v45, vcc_lo
	v_lshlrev_b64 v[84:85], 2, v[84:85]
	v_lshlrev_b64 v[86:87], 4, v[86:87]
	v_add_co_u32 v84, vcc_lo, s30, v84
	v_add_co_ci_u32_e64 v85, null, s31, v85, vcc_lo
	v_add_co_u32 v86, vcc_lo, s26, v86
	v_add_co_ci_u32_e64 v87, null, s27, v87, vcc_lo
	global_store_dword v[84:85], v71, off offset:768
	s_waitcnt vmcnt(0)
	global_store_dwordx4 v[86:87], v[80:83], off
.LBB285_32:                             ;   in Loop: Header=BB285_21 Depth=1
	s_or_b32 exec_lo, exec_lo, s1
	v_add_nc_u32_e32 v72, s91, v54
	v_lshlrev_b32_e32 v76, 4, v54
	s_and_saveexec_b32 s1, s7
	s_cbranch_execz .LBB285_34
; %bb.33:                               ;   in Loop: Header=BB285_21 Depth=1
	v_add_co_u32 v46, vcc_lo, v46, v76
	v_add_co_ci_u32_e64 v79, null, 0, v79, vcc_lo
	v_add_co_u32 v81, vcc_lo, v77, v42
	v_add_co_ci_u32_e64 v80, null, v78, v43, vcc_lo
	;; [unrolled: 2-line block ×3, first 2 shown]
	v_cndmask_b32_e64 v80, v80, v79, s0
	v_cndmask_b32_e64 v79, v81, v46, s0
	v_add_co_u32 v44, vcc_lo, v44, v54
	v_add_co_ci_u32_e64 v45, null, 0, v45, vcc_lo
	global_load_dwordx4 v[79:82], v[79:80], off
	v_lshlrev_b64 v[83:84], 2, v[83:84]
	v_lshlrev_b64 v[44:45], 4, v[44:45]
	v_add_co_u32 v83, vcc_lo, s30, v83
	v_add_co_ci_u32_e64 v84, null, s31, v84, vcc_lo
	v_add_co_u32 v44, vcc_lo, s26, v44
	v_add_co_ci_u32_e64 v45, null, s27, v45, vcc_lo
	global_store_dword v[83:84], v72, off offset:896
	s_waitcnt vmcnt(0)
	global_store_dwordx4 v[44:45], v[79:82], off
.LBB285_34:                             ;   in Loop: Header=BB285_21 Depth=1
	s_or_b32 exec_lo, exec_lo, s1
	v_add_co_u32 v44, vcc_lo, v2, s9
	v_add_co_ci_u32_e64 v46, null, s88, v55, vcc_lo
	v_mad_u64_u32 v[44:45], null, v44, s16, s[22:23]
	v_mad_u64_u32 v[45:46], null, v46, s16, v[45:46]
	v_add_co_u32 v46, vcc_lo, s89, v14
	v_add_co_ci_u32_e64 v79, null, s90, v15, vcc_lo
	s_and_saveexec_b32 s1, s42
	s_cbranch_execnz .LBB285_99
; %bb.35:                               ;   in Loop: Header=BB285_21 Depth=1
	s_or_b32 exec_lo, exec_lo, s1
	s_and_saveexec_b32 s1, s43
	s_cbranch_execnz .LBB285_100
.LBB285_36:                             ;   in Loop: Header=BB285_21 Depth=1
	s_or_b32 exec_lo, exec_lo, s1
	s_and_saveexec_b32 s1, s44
	s_cbranch_execnz .LBB285_101
.LBB285_37:                             ;   in Loop: Header=BB285_21 Depth=1
	s_or_b32 exec_lo, exec_lo, s1
	s_and_saveexec_b32 s1, s45
	s_cbranch_execnz .LBB285_102
.LBB285_38:                             ;   in Loop: Header=BB285_21 Depth=1
	s_or_b32 exec_lo, exec_lo, s1
	s_and_saveexec_b32 s1, s46
	s_cbranch_execnz .LBB285_103
.LBB285_39:                             ;   in Loop: Header=BB285_21 Depth=1
	s_or_b32 exec_lo, exec_lo, s1
	s_and_saveexec_b32 s1, s47
	s_cbranch_execnz .LBB285_104
.LBB285_40:                             ;   in Loop: Header=BB285_21 Depth=1
	s_or_b32 exec_lo, exec_lo, s1
	s_and_saveexec_b32 s1, s48
	s_cbranch_execnz .LBB285_105
.LBB285_41:                             ;   in Loop: Header=BB285_21 Depth=1
	s_or_b32 exec_lo, exec_lo, s1
	s_and_saveexec_b32 s1, s49
	s_cbranch_execz .LBB285_43
.LBB285_42:                             ;   in Loop: Header=BB285_21 Depth=1
	v_add_co_u32 v80, vcc_lo, v77, v42
	v_add_co_ci_u32_e64 v81, null, v78, v43, vcc_lo
	v_add_co_u32 v46, vcc_lo, v46, v76
	v_add_co_ci_u32_e64 v79, null, 0, v79, vcc_lo
	;; [unrolled: 2-line block ×4, first 2 shown]
	v_cndmask_b32_e64 v80, v80, v79, s0
	v_cndmask_b32_e64 v79, v82, v46, s0
	v_add_co_u32 v44, vcc_lo, v44, v54
	v_add_co_ci_u32_e64 v45, null, 0, v45, vcc_lo
	global_load_dwordx4 v[79:82], v[79:80], off
	v_lshlrev_b64 v[83:84], 2, v[83:84]
	v_lshlrev_b64 v[44:45], 4, v[44:45]
	v_add_co_u32 v83, vcc_lo, s30, v83
	v_add_co_ci_u32_e64 v84, null, s31, v84, vcc_lo
	v_add_co_u32 v44, vcc_lo, s26, v44
	v_add_co_ci_u32_e64 v45, null, s27, v45, vcc_lo
	global_store_dword v[83:84], v72, off offset:896
	s_waitcnt vmcnt(0)
	global_store_dwordx4 v[44:45], v[79:82], off
.LBB285_43:                             ;   in Loop: Header=BB285_21 Depth=1
	s_or_b32 exec_lo, exec_lo, s1
	v_add_co_u32 v44, vcc_lo, v3, s9
	v_add_co_ci_u32_e64 v46, null, s88, v5, vcc_lo
	v_mad_u64_u32 v[44:45], null, v44, s16, s[22:23]
	v_mad_u64_u32 v[45:46], null, v46, s16, v[45:46]
	v_add_co_u32 v46, vcc_lo, s89, v16
	v_add_co_ci_u32_e64 v79, null, s90, v17, vcc_lo
	s_and_saveexec_b32 s1, s50
	s_cbranch_execnz .LBB285_106
; %bb.44:                               ;   in Loop: Header=BB285_21 Depth=1
	s_or_b32 exec_lo, exec_lo, s1
	s_and_saveexec_b32 s1, s51
	s_cbranch_execnz .LBB285_107
.LBB285_45:                             ;   in Loop: Header=BB285_21 Depth=1
	s_or_b32 exec_lo, exec_lo, s1
	s_and_saveexec_b32 s1, s52
	s_cbranch_execnz .LBB285_108
.LBB285_46:                             ;   in Loop: Header=BB285_21 Depth=1
	s_or_b32 exec_lo, exec_lo, s1
	s_and_saveexec_b32 s1, s53
	s_cbranch_execnz .LBB285_109
.LBB285_47:                             ;   in Loop: Header=BB285_21 Depth=1
	s_or_b32 exec_lo, exec_lo, s1
	s_and_saveexec_b32 s1, s54
	s_cbranch_execnz .LBB285_110
.LBB285_48:                             ;   in Loop: Header=BB285_21 Depth=1
	s_or_b32 exec_lo, exec_lo, s1
	s_and_saveexec_b32 s1, s55
	s_cbranch_execnz .LBB285_111
.LBB285_49:                             ;   in Loop: Header=BB285_21 Depth=1
	s_or_b32 exec_lo, exec_lo, s1
	s_and_saveexec_b32 s1, s56
	s_cbranch_execnz .LBB285_112
.LBB285_50:                             ;   in Loop: Header=BB285_21 Depth=1
	s_or_b32 exec_lo, exec_lo, s1
	s_and_saveexec_b32 s1, s57
	s_cbranch_execz .LBB285_52
.LBB285_51:                             ;   in Loop: Header=BB285_21 Depth=1
	v_add_co_u32 v80, vcc_lo, v77, v42
	v_add_co_ci_u32_e64 v81, null, v78, v43, vcc_lo
	v_add_co_u32 v46, vcc_lo, v46, v76
	v_add_co_ci_u32_e64 v79, null, 0, v79, vcc_lo
	;; [unrolled: 2-line block ×4, first 2 shown]
	v_cndmask_b32_e64 v80, v80, v79, s0
	v_cndmask_b32_e64 v79, v82, v46, s0
	v_add_co_u32 v44, vcc_lo, v44, v54
	v_add_co_ci_u32_e64 v45, null, 0, v45, vcc_lo
	global_load_dwordx4 v[79:82], v[79:80], off
	v_lshlrev_b64 v[83:84], 2, v[83:84]
	v_lshlrev_b64 v[44:45], 4, v[44:45]
	v_add_co_u32 v83, vcc_lo, s30, v83
	v_add_co_ci_u32_e64 v84, null, s31, v84, vcc_lo
	v_add_co_u32 v44, vcc_lo, s26, v44
	v_add_co_ci_u32_e64 v45, null, s27, v45, vcc_lo
	global_store_dword v[83:84], v72, off offset:896
	s_waitcnt vmcnt(0)
	global_store_dwordx4 v[44:45], v[79:82], off
.LBB285_52:                             ;   in Loop: Header=BB285_21 Depth=1
	s_or_b32 exec_lo, exec_lo, s1
	v_add_co_u32 v44, vcc_lo, v4, s9
	v_add_co_ci_u32_e64 v46, null, s88, v7, vcc_lo
	v_mad_u64_u32 v[44:45], null, v44, s16, s[22:23]
	v_mad_u64_u32 v[45:46], null, v46, s16, v[45:46]
	v_add_co_u32 v46, vcc_lo, s89, v18
	v_add_co_ci_u32_e64 v79, null, s90, v19, vcc_lo
	s_and_saveexec_b32 s1, s58
	s_cbranch_execnz .LBB285_113
; %bb.53:                               ;   in Loop: Header=BB285_21 Depth=1
	s_or_b32 exec_lo, exec_lo, s1
	s_and_saveexec_b32 s1, s59
	s_cbranch_execnz .LBB285_114
.LBB285_54:                             ;   in Loop: Header=BB285_21 Depth=1
	s_or_b32 exec_lo, exec_lo, s1
	s_and_saveexec_b32 s1, s60
	s_cbranch_execnz .LBB285_115
.LBB285_55:                             ;   in Loop: Header=BB285_21 Depth=1
	s_or_b32 exec_lo, exec_lo, s1
	s_and_saveexec_b32 s1, s61
	s_cbranch_execnz .LBB285_116
.LBB285_56:                             ;   in Loop: Header=BB285_21 Depth=1
	s_or_b32 exec_lo, exec_lo, s1
	s_and_saveexec_b32 s1, s62
	s_cbranch_execnz .LBB285_117
.LBB285_57:                             ;   in Loop: Header=BB285_21 Depth=1
	s_or_b32 exec_lo, exec_lo, s1
	s_and_saveexec_b32 s1, s63
	s_cbranch_execnz .LBB285_118
.LBB285_58:                             ;   in Loop: Header=BB285_21 Depth=1
	s_or_b32 exec_lo, exec_lo, s1
	s_and_saveexec_b32 s1, s64
	s_cbranch_execnz .LBB285_119
.LBB285_59:                             ;   in Loop: Header=BB285_21 Depth=1
	s_or_b32 exec_lo, exec_lo, s1
	s_and_saveexec_b32 s1, s65
	s_cbranch_execz .LBB285_61
.LBB285_60:                             ;   in Loop: Header=BB285_21 Depth=1
	v_add_co_u32 v77, vcc_lo, v77, v42
	v_add_co_ci_u32_e64 v78, null, v78, v43, vcc_lo
	v_add_co_u32 v46, vcc_lo, v46, v76
	v_add_co_ci_u32_e64 v79, null, 0, v79, vcc_lo
	;; [unrolled: 2-line block ×3, first 2 shown]
	v_add_co_u32 v81, vcc_lo, v44, v47
	v_cndmask_b32_e64 v77, v77, v46, s0
	v_cndmask_b32_e64 v78, v78, v79, s0
	v_add_co_ci_u32_e64 v82, null, 0, v45, vcc_lo
	v_add_co_u32 v44, vcc_lo, v44, v54
	global_load_dwordx4 v[77:80], v[77:78], off
	v_add_co_ci_u32_e64 v45, null, 0, v45, vcc_lo
	v_lshlrev_b64 v[81:82], 2, v[81:82]
	v_lshlrev_b64 v[44:45], 4, v[44:45]
	v_add_co_u32 v81, vcc_lo, s30, v81
	v_add_co_ci_u32_e64 v82, null, s31, v82, vcc_lo
	v_add_co_u32 v44, vcc_lo, s26, v44
	v_add_co_ci_u32_e64 v45, null, s27, v45, vcc_lo
	global_store_dword v[81:82], v72, off offset:896
	s_waitcnt vmcnt(0)
	global_store_dwordx4 v[44:45], v[77:80], off
.LBB285_61:                             ;   in Loop: Header=BB285_21 Depth=1
	s_or_b32 exec_lo, exec_lo, s1
	v_add_co_u32 v44, vcc_lo, v6, s9
	v_add_co_ci_u32_e64 v46, null, s88, v9, vcc_lo
	v_add_co_u32 v77, s1, s89, v60
	v_mad_u64_u32 v[44:45], null, v44, s16, s[22:23]
	v_add_co_ci_u32_e64 v78, null, s90, 0, s1
	v_mad_u64_u32 v[45:46], null, v46, s16, v[45:46]
	v_add_co_u32 v46, vcc_lo, s89, v20
	v_add_co_ci_u32_e64 v79, null, s90, v21, vcc_lo
	s_and_saveexec_b32 s1, s66
	s_cbranch_execnz .LBB285_120
; %bb.62:                               ;   in Loop: Header=BB285_21 Depth=1
	s_or_b32 exec_lo, exec_lo, s1
	s_and_saveexec_b32 s1, s67
	s_cbranch_execnz .LBB285_121
.LBB285_63:                             ;   in Loop: Header=BB285_21 Depth=1
	s_or_b32 exec_lo, exec_lo, s1
	s_and_saveexec_b32 s1, s68
	s_cbranch_execnz .LBB285_122
.LBB285_64:                             ;   in Loop: Header=BB285_21 Depth=1
	s_or_b32 exec_lo, exec_lo, s1
	s_and_saveexec_b32 s1, s69
	s_cbranch_execnz .LBB285_123
.LBB285_65:                             ;   in Loop: Header=BB285_21 Depth=1
	s_or_b32 exec_lo, exec_lo, s1
	s_and_saveexec_b32 s1, s70
	s_cbranch_execnz .LBB285_124
.LBB285_66:                             ;   in Loop: Header=BB285_21 Depth=1
	s_or_b32 exec_lo, exec_lo, s1
	s_and_saveexec_b32 s1, s71
	s_cbranch_execnz .LBB285_125
.LBB285_67:                             ;   in Loop: Header=BB285_21 Depth=1
	s_or_b32 exec_lo, exec_lo, s1
	s_and_saveexec_b32 s1, s72
	s_cbranch_execnz .LBB285_126
.LBB285_68:                             ;   in Loop: Header=BB285_21 Depth=1
	s_or_b32 exec_lo, exec_lo, s1
	s_and_saveexec_b32 s1, s6
	s_cbranch_execz .LBB285_70
.LBB285_69:                             ;   in Loop: Header=BB285_21 Depth=1
	v_add_co_u32 v46, vcc_lo, v46, v76
	v_add_co_ci_u32_e64 v79, null, 0, v79, vcc_lo
	v_add_co_u32 v77, vcc_lo, v77, v42
	v_add_co_ci_u32_e64 v78, null, v78, v43, vcc_lo
	v_add_co_u32 v81, vcc_lo, v44, v47
	v_cndmask_b32_e64 v77, v77, v46, s0
	v_cndmask_b32_e64 v78, v78, v79, s0
	v_add_co_ci_u32_e64 v82, null, 0, v45, vcc_lo
	v_add_co_u32 v44, vcc_lo, v44, v54
	global_load_dwordx4 v[77:80], v[77:78], off
	v_add_co_ci_u32_e64 v45, null, 0, v45, vcc_lo
	v_lshlrev_b64 v[81:82], 2, v[81:82]
	v_lshlrev_b64 v[44:45], 4, v[44:45]
	v_add_co_u32 v81, vcc_lo, s30, v81
	v_add_co_ci_u32_e64 v82, null, s31, v82, vcc_lo
	v_add_co_u32 v44, vcc_lo, s26, v44
	v_add_co_ci_u32_e64 v45, null, s27, v45, vcc_lo
	global_store_dword v[81:82], v72, off offset:896
	s_waitcnt vmcnt(0)
	global_store_dwordx4 v[44:45], v[77:80], off
.LBB285_70:                             ;   in Loop: Header=BB285_21 Depth=1
	s_or_b32 exec_lo, exec_lo, s1
	v_add_co_u32 v44, vcc_lo, v8, s9
	v_add_co_ci_u32_e64 v46, null, s88, v56, vcc_lo
	v_add_co_u32 v77, s1, s89, v61
	v_mad_u64_u32 v[44:45], null, v44, s16, s[22:23]
	v_add_co_ci_u32_e64 v78, null, s90, 0, s1
	v_mad_u64_u32 v[45:46], null, v46, s16, v[45:46]
	v_add_co_u32 v46, vcc_lo, s89, v22
	v_add_co_ci_u32_e64 v79, null, s90, v23, vcc_lo
	s_and_saveexec_b32 s1, s73
	s_cbranch_execnz .LBB285_127
; %bb.71:                               ;   in Loop: Header=BB285_21 Depth=1
	s_or_b32 exec_lo, exec_lo, s1
	s_and_saveexec_b32 s1, s74
	s_cbranch_execnz .LBB285_128
.LBB285_72:                             ;   in Loop: Header=BB285_21 Depth=1
	s_or_b32 exec_lo, exec_lo, s1
	s_and_saveexec_b32 s1, s75
	s_cbranch_execnz .LBB285_129
.LBB285_73:                             ;   in Loop: Header=BB285_21 Depth=1
	s_or_b32 exec_lo, exec_lo, s1
	s_and_saveexec_b32 s1, s76
	s_cbranch_execnz .LBB285_130
.LBB285_74:                             ;   in Loop: Header=BB285_21 Depth=1
	s_or_b32 exec_lo, exec_lo, s1
	s_and_saveexec_b32 s1, s77
	s_cbranch_execnz .LBB285_131
.LBB285_75:                             ;   in Loop: Header=BB285_21 Depth=1
	s_or_b32 exec_lo, exec_lo, s1
	s_and_saveexec_b32 s1, s78
	s_cbranch_execnz .LBB285_132
.LBB285_76:                             ;   in Loop: Header=BB285_21 Depth=1
	s_or_b32 exec_lo, exec_lo, s1
	s_and_saveexec_b32 s1, s79
	s_cbranch_execnz .LBB285_133
.LBB285_77:                             ;   in Loop: Header=BB285_21 Depth=1
	s_or_b32 exec_lo, exec_lo, s1
	s_and_saveexec_b32 s1, s8
	s_cbranch_execz .LBB285_79
.LBB285_78:                             ;   in Loop: Header=BB285_21 Depth=1
	v_add_co_u32 v46, vcc_lo, v46, v76
	v_add_co_ci_u32_e64 v79, null, 0, v79, vcc_lo
	v_add_co_u32 v77, vcc_lo, v77, v42
	v_add_co_ci_u32_e64 v78, null, v78, v43, vcc_lo
	v_add_co_u32 v81, vcc_lo, v44, v47
	v_cndmask_b32_e64 v77, v77, v46, s0
	v_cndmask_b32_e64 v78, v78, v79, s0
	v_add_co_ci_u32_e64 v82, null, 0, v45, vcc_lo
	v_add_co_u32 v44, vcc_lo, v44, v54
	global_load_dwordx4 v[77:80], v[77:78], off
	v_add_co_ci_u32_e64 v45, null, 0, v45, vcc_lo
	v_lshlrev_b64 v[81:82], 2, v[81:82]
	v_lshlrev_b64 v[44:45], 4, v[44:45]
	v_add_co_u32 v81, vcc_lo, s30, v81
	v_add_co_ci_u32_e64 v82, null, s31, v82, vcc_lo
	v_add_co_u32 v44, vcc_lo, s26, v44
	v_add_co_ci_u32_e64 v45, null, s27, v45, vcc_lo
	global_store_dword v[81:82], v72, off offset:896
	s_waitcnt vmcnt(0)
	global_store_dwordx4 v[44:45], v[77:80], off
.LBB285_79:                             ;   in Loop: Header=BB285_21 Depth=1
	s_or_b32 exec_lo, exec_lo, s1
	v_add_co_u32 v44, vcc_lo, v10, s9
	v_add_co_ci_u32_e64 v46, null, s88, v57, vcc_lo
	v_add_co_u32 v77, s1, s89, v62
	v_mad_u64_u32 v[44:45], null, v44, s16, s[22:23]
	v_add_co_ci_u32_e64 v78, null, s90, 0, s1
	v_mad_u64_u32 v[45:46], null, v46, s16, v[45:46]
	v_add_co_u32 v46, vcc_lo, s89, v24
	v_add_co_ci_u32_e64 v79, null, s90, v25, vcc_lo
	s_and_saveexec_b32 s1, s80
	s_cbranch_execnz .LBB285_134
; %bb.80:                               ;   in Loop: Header=BB285_21 Depth=1
	s_or_b32 exec_lo, exec_lo, s1
	s_and_saveexec_b32 s1, s81
	s_cbranch_execnz .LBB285_135
.LBB285_81:                             ;   in Loop: Header=BB285_21 Depth=1
	s_or_b32 exec_lo, exec_lo, s1
	s_and_saveexec_b32 s1, s82
	s_cbranch_execnz .LBB285_136
.LBB285_82:                             ;   in Loop: Header=BB285_21 Depth=1
	s_or_b32 exec_lo, exec_lo, s1
	s_and_saveexec_b32 s1, s83
	s_cbranch_execnz .LBB285_137
.LBB285_83:                             ;   in Loop: Header=BB285_21 Depth=1
	s_or_b32 exec_lo, exec_lo, s1
	s_and_saveexec_b32 s1, s84
	s_cbranch_execnz .LBB285_138
.LBB285_84:                             ;   in Loop: Header=BB285_21 Depth=1
	s_or_b32 exec_lo, exec_lo, s1
	s_and_saveexec_b32 s1, s85
	s_cbranch_execnz .LBB285_139
.LBB285_85:                             ;   in Loop: Header=BB285_21 Depth=1
	s_or_b32 exec_lo, exec_lo, s1
	s_and_saveexec_b32 s1, s86
	s_cbranch_execnz .LBB285_140
.LBB285_86:                             ;   in Loop: Header=BB285_21 Depth=1
	s_or_b32 exec_lo, exec_lo, s1
	s_and_saveexec_b32 s1, s10
	s_cbranch_execz .LBB285_88
.LBB285_87:                             ;   in Loop: Header=BB285_21 Depth=1
	v_add_co_u32 v46, vcc_lo, v46, v76
	v_add_co_ci_u32_e64 v79, null, 0, v79, vcc_lo
	v_add_co_u32 v77, vcc_lo, v77, v42
	v_add_co_ci_u32_e64 v78, null, v78, v43, vcc_lo
	v_add_co_u32 v81, vcc_lo, v44, v47
	v_cndmask_b32_e64 v77, v77, v46, s0
	v_cndmask_b32_e64 v78, v78, v79, s0
	v_add_co_ci_u32_e64 v82, null, 0, v45, vcc_lo
	v_add_co_u32 v44, vcc_lo, v44, v54
	global_load_dwordx4 v[77:80], v[77:78], off
	v_add_co_ci_u32_e64 v45, null, 0, v45, vcc_lo
	v_lshlrev_b64 v[81:82], 2, v[81:82]
	v_lshlrev_b64 v[44:45], 4, v[44:45]
	v_add_co_u32 v81, vcc_lo, s30, v81
	v_add_co_ci_u32_e64 v82, null, s31, v82, vcc_lo
	v_add_co_u32 v44, vcc_lo, s26, v44
	v_add_co_ci_u32_e64 v45, null, s27, v45, vcc_lo
	global_store_dword v[81:82], v72, off offset:896
	s_waitcnt vmcnt(0)
	global_store_dwordx4 v[44:45], v[77:80], off
.LBB285_88:                             ;   in Loop: Header=BB285_21 Depth=1
	s_or_b32 exec_lo, exec_lo, s1
	v_add_co_u32 v44, vcc_lo, v11, s9
	v_add_co_ci_u32_e64 v46, null, s88, v58, vcc_lo
	v_add_co_u32 v77, s1, s89, v63
	v_mad_u64_u32 v[44:45], null, v44, s16, s[22:23]
	v_add_co_ci_u32_e64 v78, null, s90, 0, s1
	v_mad_u64_u32 v[45:46], null, v46, s16, v[45:46]
	v_add_co_u32 v46, vcc_lo, s89, v26
	v_add_co_ci_u32_e64 v79, null, s90, v27, vcc_lo
	s_and_saveexec_b32 s1, s87
	s_cbranch_execnz .LBB285_141
; %bb.89:                               ;   in Loop: Header=BB285_21 Depth=1
	s_or_b32 exec_lo, exec_lo, s1
	s_and_saveexec_b32 s1, s11
	s_cbranch_execnz .LBB285_142
.LBB285_90:                             ;   in Loop: Header=BB285_21 Depth=1
	s_or_b32 exec_lo, exec_lo, s1
	s_and_saveexec_b32 s1, s12
	s_cbranch_execnz .LBB285_143
.LBB285_91:                             ;   in Loop: Header=BB285_21 Depth=1
	s_or_b32 exec_lo, exec_lo, s1
	s_and_saveexec_b32 s1, s13
	s_cbranch_execnz .LBB285_144
.LBB285_92:                             ;   in Loop: Header=BB285_21 Depth=1
	s_or_b32 exec_lo, exec_lo, s1
	s_and_saveexec_b32 s1, s14
	s_cbranch_execnz .LBB285_145
.LBB285_93:                             ;   in Loop: Header=BB285_21 Depth=1
	s_or_b32 exec_lo, exec_lo, s1
	s_and_saveexec_b32 s1, s15
	s_cbranch_execnz .LBB285_146
.LBB285_94:                             ;   in Loop: Header=BB285_21 Depth=1
	s_or_b32 exec_lo, exec_lo, s1
	s_and_saveexec_b32 s1, s4
	s_cbranch_execnz .LBB285_147
.LBB285_95:                             ;   in Loop: Header=BB285_21 Depth=1
	s_or_b32 exec_lo, exec_lo, s1
	s_and_saveexec_b32 s1, s5
	s_cbranch_execz .LBB285_20
	s_branch .LBB285_148
.LBB285_96:                             ;   in Loop: Header=BB285_21 Depth=1
	v_add_co_u32 v66, vcc_lo, v46, v64
	v_add_co_ci_u32_e64 v67, null, 0, v79, vcc_lo
	v_add_co_u32 v68, vcc_lo, v77, v28
	v_add_co_ci_u32_e64 v69, null, v78, v29, vcc_lo
	v_add_co_u32 v70, vcc_lo, v44, v47
	v_cndmask_b32_e64 v66, v68, v66, s0
	v_cndmask_b32_e64 v67, v69, v67, s0
	v_add_co_ci_u32_e64 v71, null, 0, v45, vcc_lo
	global_load_dwordx4 v[66:69], v[66:67], off
	v_lshlrev_b64 v[72:73], 2, v[70:71]
	v_lshlrev_b64 v[70:71], 4, v[70:71]
	v_add_co_u32 v72, vcc_lo, s30, v72
	v_add_co_ci_u32_e64 v73, null, s31, v73, vcc_lo
	v_add_co_u32 v70, vcc_lo, s26, v70
	v_add_co_ci_u32_e64 v71, null, s27, v71, vcc_lo
	global_store_dword v[72:73], v65, off
	s_waitcnt vmcnt(0)
	global_store_dwordx4 v[70:71], v[66:69], off
	s_or_b32 exec_lo, exec_lo, s1
	v_add_nc_u32_e32 v66, s91, v48
	s_and_saveexec_b32 s1, s36
	s_cbranch_execz .LBB285_23
.LBB285_97:                             ;   in Loop: Header=BB285_21 Depth=1
	v_add_co_u32 v67, vcc_lo, v46, v64
	v_add_co_ci_u32_e64 v68, null, 0, v79, vcc_lo
	v_add_co_u32 v67, vcc_lo, 0x200, v67
	v_add_co_ci_u32_e64 v68, null, 0, v68, vcc_lo
	v_add_co_u32 v69, vcc_lo, v77, v30
	v_add_co_ci_u32_e64 v70, null, v78, v31, vcc_lo
	v_add_co_u32 v71, vcc_lo, v44, v47
	v_cndmask_b32_e64 v67, v69, v67, s0
	v_cndmask_b32_e64 v68, v70, v68, s0
	v_add_co_ci_u32_e64 v72, null, 0, v45, vcc_lo
	global_load_dwordx4 v[67:70], v[67:68], off
	v_lshlrev_b64 v[73:74], 2, v[71:72]
	v_lshlrev_b64 v[71:72], 4, v[71:72]
	v_add_co_u32 v73, vcc_lo, s30, v73
	v_add_co_ci_u32_e64 v74, null, s31, v74, vcc_lo
	v_add_co_u32 v71, vcc_lo, s26, v71
	v_add_co_ci_u32_e64 v72, null, s27, v72, vcc_lo
	global_store_dword v[73:74], v66, off offset:128
	s_waitcnt vmcnt(0)
	global_store_dwordx4 v[71:72], v[67:70], off offset:512
	s_or_b32 exec_lo, exec_lo, s1
	v_add_nc_u32_e32 v68, s91, v49
	s_and_saveexec_b32 s92, s37
	s_cbranch_execz .LBB285_24
.LBB285_98:                             ;   in Loop: Header=BB285_21 Depth=1
	v_add_co_u32 v67, vcc_lo, v46, v64
	v_add_co_ci_u32_e64 v69, null, 0, v79, vcc_lo
	v_add_co_u32 v71, s1, v77, v32
	v_add_co_u32 v67, vcc_lo, 0x400, v67
	v_add_co_ci_u32_e64 v70, null, v78, v33, s1
	v_add_co_ci_u32_e64 v69, null, 0, v69, vcc_lo
	v_add_co_u32 v73, vcc_lo, v44, v47
	v_add_co_ci_u32_e64 v74, null, 0, v45, vcc_lo
	v_cndmask_b32_e64 v70, v70, v69, s0
	v_cndmask_b32_e64 v69, v71, v67, s0
	v_lshlrev_b64 v[75:76], 2, v[73:74]
	v_lshlrev_b64 v[73:74], 4, v[73:74]
	global_load_dwordx4 v[69:72], v[69:70], off
	v_add_co_u32 v75, vcc_lo, s30, v75
	v_add_co_ci_u32_e64 v76, null, s31, v76, vcc_lo
	v_add_co_u32 v73, vcc_lo, s26, v73
	v_add_co_ci_u32_e64 v74, null, s27, v74, vcc_lo
	global_store_dword v[75:76], v68, off offset:256
	s_waitcnt vmcnt(0)
	global_store_dwordx4 v[73:74], v[69:72], off offset:1024
	s_or_b32 exec_lo, exec_lo, s92
	v_add_nc_u32_e32 v70, s91, v50
	s_and_saveexec_b32 s1, s38
	s_cbranch_execnz .LBB285_25
	s_branch .LBB285_26
.LBB285_99:                             ;   in Loop: Header=BB285_21 Depth=1
	v_add_co_u32 v80, vcc_lo, v77, v28
	v_add_co_ci_u32_e64 v81, null, v78, v29, vcc_lo
	v_add_co_u32 v82, vcc_lo, v46, v64
	v_add_co_ci_u32_e64 v83, null, 0, v79, vcc_lo
	;; [unrolled: 2-line block ×3, first 2 shown]
	v_add_co_u32 v84, vcc_lo, v44, v47
	v_cndmask_b32_e64 v80, v80, v82, s0
	v_cndmask_b32_e64 v81, v81, v83, s0
	v_add_co_ci_u32_e64 v85, null, 0, v45, vcc_lo
	global_load_dwordx4 v[80:83], v[80:81], off
	v_lshlrev_b64 v[86:87], 2, v[84:85]
	v_lshlrev_b64 v[84:85], 4, v[84:85]
	v_add_co_u32 v86, vcc_lo, s30, v86
	v_add_co_ci_u32_e64 v87, null, s31, v87, vcc_lo
	v_add_co_u32 v84, vcc_lo, s26, v84
	v_add_co_ci_u32_e64 v85, null, s27, v85, vcc_lo
	global_store_dword v[86:87], v65, off
	s_waitcnt vmcnt(0)
	global_store_dwordx4 v[84:85], v[80:83], off
	s_or_b32 exec_lo, exec_lo, s1
	s_and_saveexec_b32 s1, s43
	s_cbranch_execz .LBB285_36
.LBB285_100:                            ;   in Loop: Header=BB285_21 Depth=1
	v_add_co_u32 v80, vcc_lo, v46, v64
	v_add_co_ci_u32_e64 v81, null, 0, v79, vcc_lo
	v_add_co_u32 v82, vcc_lo, v77, v30
	v_add_co_ci_u32_e64 v83, null, v78, v31, vcc_lo
	;; [unrolled: 2-line block ×4, first 2 shown]
	v_add_co_u32 v84, vcc_lo, v44, v47
	v_cndmask_b32_e64 v80, v82, v80, s0
	v_cndmask_b32_e64 v81, v83, v81, s0
	v_add_co_ci_u32_e64 v85, null, 0, v45, vcc_lo
	global_load_dwordx4 v[80:83], v[80:81], off
	v_lshlrev_b64 v[86:87], 2, v[84:85]
	v_lshlrev_b64 v[84:85], 4, v[84:85]
	v_add_co_u32 v86, vcc_lo, s30, v86
	v_add_co_ci_u32_e64 v87, null, s31, v87, vcc_lo
	v_add_co_u32 v84, vcc_lo, s26, v84
	v_add_co_ci_u32_e64 v85, null, s27, v85, vcc_lo
	global_store_dword v[86:87], v66, off offset:128
	s_waitcnt vmcnt(0)
	global_store_dwordx4 v[84:85], v[80:83], off offset:512
	s_or_b32 exec_lo, exec_lo, s1
	s_and_saveexec_b32 s1, s44
	s_cbranch_execz .LBB285_37
.LBB285_101:                            ;   in Loop: Header=BB285_21 Depth=1
	v_add_co_u32 v80, vcc_lo, v46, v64
	v_add_co_ci_u32_e64 v81, null, 0, v79, vcc_lo
	v_add_co_u32 v82, vcc_lo, v77, v32
	v_add_co_ci_u32_e64 v83, null, v78, v33, vcc_lo
	;; [unrolled: 2-line block ×4, first 2 shown]
	v_add_co_u32 v84, vcc_lo, v44, v47
	v_cndmask_b32_e64 v80, v82, v80, s0
	v_cndmask_b32_e64 v81, v83, v81, s0
	v_add_co_ci_u32_e64 v85, null, 0, v45, vcc_lo
	global_load_dwordx4 v[80:83], v[80:81], off
	v_lshlrev_b64 v[86:87], 2, v[84:85]
	v_lshlrev_b64 v[84:85], 4, v[84:85]
	v_add_co_u32 v86, vcc_lo, s30, v86
	v_add_co_ci_u32_e64 v87, null, s31, v87, vcc_lo
	v_add_co_u32 v84, vcc_lo, s26, v84
	v_add_co_ci_u32_e64 v85, null, s27, v85, vcc_lo
	global_store_dword v[86:87], v68, off offset:256
	s_waitcnt vmcnt(0)
	global_store_dwordx4 v[84:85], v[80:83], off offset:1024
	s_or_b32 exec_lo, exec_lo, s1
	s_and_saveexec_b32 s1, s45
	s_cbranch_execz .LBB285_38
.LBB285_102:                            ;   in Loop: Header=BB285_21 Depth=1
	v_add_co_u32 v80, vcc_lo, v46, v64
	v_add_co_ci_u32_e64 v81, null, 0, v79, vcc_lo
	v_add_co_u32 v82, vcc_lo, v77, v34
	v_add_co_ci_u32_e64 v83, null, v78, v35, vcc_lo
	;; [unrolled: 2-line block ×4, first 2 shown]
	v_add_co_u32 v84, vcc_lo, v44, v47
	v_cndmask_b32_e64 v80, v82, v80, s0
	v_cndmask_b32_e64 v81, v83, v81, s0
	v_add_co_ci_u32_e64 v85, null, 0, v45, vcc_lo
	global_load_dwordx4 v[80:83], v[80:81], off
	v_lshlrev_b64 v[86:87], 2, v[84:85]
	v_lshlrev_b64 v[84:85], 4, v[84:85]
	v_add_co_u32 v86, vcc_lo, s30, v86
	v_add_co_ci_u32_e64 v87, null, s31, v87, vcc_lo
	v_add_co_u32 v84, vcc_lo, s26, v84
	v_add_co_ci_u32_e64 v85, null, s27, v85, vcc_lo
	global_store_dword v[86:87], v70, off offset:384
	s_waitcnt vmcnt(0)
	global_store_dwordx4 v[84:85], v[80:83], off offset:1536
	s_or_b32 exec_lo, exec_lo, s1
	s_and_saveexec_b32 s1, s46
	s_cbranch_execz .LBB285_39
.LBB285_103:                            ;   in Loop: Header=BB285_21 Depth=1
	v_add_co_u32 v80, vcc_lo, v77, v36
	v_add_co_ci_u32_e64 v81, null, v78, v37, vcc_lo
	v_add_co_u32 v82, vcc_lo, v46, v73
	v_add_co_ci_u32_e64 v83, null, 0, v79, vcc_lo
	;; [unrolled: 2-line block ×3, first 2 shown]
	v_add_co_u32 v84, vcc_lo, v44, v47
	v_cndmask_b32_e64 v80, v80, v82, s0
	v_cndmask_b32_e64 v81, v81, v83, s0
	v_add_co_ci_u32_e64 v85, null, 0, v45, vcc_lo
	v_add_co_u32 v86, vcc_lo, v44, v51
	global_load_dwordx4 v[80:83], v[80:81], off
	v_add_co_ci_u32_e64 v87, null, 0, v45, vcc_lo
	v_lshlrev_b64 v[84:85], 2, v[84:85]
	v_lshlrev_b64 v[86:87], 4, v[86:87]
	v_add_co_u32 v84, vcc_lo, s30, v84
	v_add_co_ci_u32_e64 v85, null, s31, v85, vcc_lo
	v_add_co_u32 v86, vcc_lo, s26, v86
	v_add_co_ci_u32_e64 v87, null, s27, v87, vcc_lo
	global_store_dword v[84:85], v67, off offset:512
	s_waitcnt vmcnt(0)
	global_store_dwordx4 v[86:87], v[80:83], off
	s_or_b32 exec_lo, exec_lo, s1
	s_and_saveexec_b32 s1, s47
	s_cbranch_execz .LBB285_40
.LBB285_104:                            ;   in Loop: Header=BB285_21 Depth=1
	v_add_co_u32 v80, vcc_lo, v77, v38
	v_add_co_ci_u32_e64 v81, null, v78, v39, vcc_lo
	v_add_co_u32 v82, vcc_lo, v46, v74
	v_add_co_ci_u32_e64 v83, null, 0, v79, vcc_lo
	;; [unrolled: 2-line block ×3, first 2 shown]
	v_add_co_u32 v84, vcc_lo, v44, v47
	v_cndmask_b32_e64 v80, v80, v82, s0
	v_cndmask_b32_e64 v81, v81, v83, s0
	v_add_co_ci_u32_e64 v85, null, 0, v45, vcc_lo
	v_add_co_u32 v86, vcc_lo, v44, v52
	global_load_dwordx4 v[80:83], v[80:81], off
	v_add_co_ci_u32_e64 v87, null, 0, v45, vcc_lo
	v_lshlrev_b64 v[84:85], 2, v[84:85]
	v_lshlrev_b64 v[86:87], 4, v[86:87]
	v_add_co_u32 v84, vcc_lo, s30, v84
	v_add_co_ci_u32_e64 v85, null, s31, v85, vcc_lo
	v_add_co_u32 v86, vcc_lo, s26, v86
	v_add_co_ci_u32_e64 v87, null, s27, v87, vcc_lo
	global_store_dword v[84:85], v69, off offset:640
	s_waitcnt vmcnt(0)
	global_store_dwordx4 v[86:87], v[80:83], off
	s_or_b32 exec_lo, exec_lo, s1
	s_and_saveexec_b32 s1, s48
	s_cbranch_execz .LBB285_41
.LBB285_105:                            ;   in Loop: Header=BB285_21 Depth=1
	v_add_co_u32 v80, vcc_lo, v77, v40
	v_add_co_ci_u32_e64 v81, null, v78, v41, vcc_lo
	v_add_co_u32 v82, vcc_lo, v46, v75
	v_add_co_ci_u32_e64 v83, null, 0, v79, vcc_lo
	;; [unrolled: 2-line block ×3, first 2 shown]
	v_add_co_u32 v84, vcc_lo, v44, v47
	v_cndmask_b32_e64 v80, v80, v82, s0
	v_cndmask_b32_e64 v81, v81, v83, s0
	v_add_co_ci_u32_e64 v85, null, 0, v45, vcc_lo
	v_add_co_u32 v86, vcc_lo, v44, v53
	global_load_dwordx4 v[80:83], v[80:81], off
	v_add_co_ci_u32_e64 v87, null, 0, v45, vcc_lo
	v_lshlrev_b64 v[84:85], 2, v[84:85]
	v_lshlrev_b64 v[86:87], 4, v[86:87]
	v_add_co_u32 v84, vcc_lo, s30, v84
	v_add_co_ci_u32_e64 v85, null, s31, v85, vcc_lo
	v_add_co_u32 v86, vcc_lo, s26, v86
	v_add_co_ci_u32_e64 v87, null, s27, v87, vcc_lo
	global_store_dword v[84:85], v71, off offset:768
	s_waitcnt vmcnt(0)
	global_store_dwordx4 v[86:87], v[80:83], off
	s_or_b32 exec_lo, exec_lo, s1
	s_and_saveexec_b32 s1, s49
	s_cbranch_execnz .LBB285_42
	s_branch .LBB285_43
.LBB285_106:                            ;   in Loop: Header=BB285_21 Depth=1
	v_add_co_u32 v80, vcc_lo, v77, v28
	v_add_co_ci_u32_e64 v81, null, v78, v29, vcc_lo
	v_add_co_u32 v82, vcc_lo, v46, v64
	v_add_co_ci_u32_e64 v83, null, 0, v79, vcc_lo
	v_add_co_u32 v80, vcc_lo, 0x400, v80
	v_add_co_ci_u32_e64 v81, null, 0, v81, vcc_lo
	v_add_co_u32 v84, vcc_lo, v44, v47
	v_cndmask_b32_e64 v80, v80, v82, s0
	v_cndmask_b32_e64 v81, v81, v83, s0
	v_add_co_ci_u32_e64 v85, null, 0, v45, vcc_lo
	global_load_dwordx4 v[80:83], v[80:81], off
	v_lshlrev_b64 v[86:87], 2, v[84:85]
	v_lshlrev_b64 v[84:85], 4, v[84:85]
	v_add_co_u32 v86, vcc_lo, s30, v86
	v_add_co_ci_u32_e64 v87, null, s31, v87, vcc_lo
	v_add_co_u32 v84, vcc_lo, s26, v84
	v_add_co_ci_u32_e64 v85, null, s27, v85, vcc_lo
	global_store_dword v[86:87], v65, off
	s_waitcnt vmcnt(0)
	global_store_dwordx4 v[84:85], v[80:83], off
	s_or_b32 exec_lo, exec_lo, s1
	s_and_saveexec_b32 s1, s51
	s_cbranch_execz .LBB285_45
.LBB285_107:                            ;   in Loop: Header=BB285_21 Depth=1
	v_add_co_u32 v80, vcc_lo, v46, v64
	v_add_co_ci_u32_e64 v81, null, 0, v79, vcc_lo
	v_add_co_u32 v82, vcc_lo, v77, v30
	v_add_co_ci_u32_e64 v83, null, v78, v31, vcc_lo
	;; [unrolled: 2-line block ×4, first 2 shown]
	v_add_co_u32 v84, vcc_lo, v44, v47
	v_cndmask_b32_e64 v80, v82, v80, s0
	v_cndmask_b32_e64 v81, v83, v81, s0
	v_add_co_ci_u32_e64 v85, null, 0, v45, vcc_lo
	global_load_dwordx4 v[80:83], v[80:81], off
	v_lshlrev_b64 v[86:87], 2, v[84:85]
	v_lshlrev_b64 v[84:85], 4, v[84:85]
	v_add_co_u32 v86, vcc_lo, s30, v86
	v_add_co_ci_u32_e64 v87, null, s31, v87, vcc_lo
	v_add_co_u32 v84, vcc_lo, s26, v84
	v_add_co_ci_u32_e64 v85, null, s27, v85, vcc_lo
	global_store_dword v[86:87], v66, off offset:128
	s_waitcnt vmcnt(0)
	global_store_dwordx4 v[84:85], v[80:83], off offset:512
	s_or_b32 exec_lo, exec_lo, s1
	s_and_saveexec_b32 s1, s52
	s_cbranch_execz .LBB285_46
.LBB285_108:                            ;   in Loop: Header=BB285_21 Depth=1
	v_add_co_u32 v80, vcc_lo, v46, v64
	v_add_co_ci_u32_e64 v81, null, 0, v79, vcc_lo
	v_add_co_u32 v82, vcc_lo, v77, v32
	v_add_co_ci_u32_e64 v83, null, v78, v33, vcc_lo
	;; [unrolled: 2-line block ×4, first 2 shown]
	v_add_co_u32 v84, vcc_lo, v44, v47
	v_cndmask_b32_e64 v80, v82, v80, s0
	v_cndmask_b32_e64 v81, v83, v81, s0
	v_add_co_ci_u32_e64 v85, null, 0, v45, vcc_lo
	global_load_dwordx4 v[80:83], v[80:81], off
	v_lshlrev_b64 v[86:87], 2, v[84:85]
	v_lshlrev_b64 v[84:85], 4, v[84:85]
	v_add_co_u32 v86, vcc_lo, s30, v86
	v_add_co_ci_u32_e64 v87, null, s31, v87, vcc_lo
	v_add_co_u32 v84, vcc_lo, s26, v84
	v_add_co_ci_u32_e64 v85, null, s27, v85, vcc_lo
	global_store_dword v[86:87], v68, off offset:256
	s_waitcnt vmcnt(0)
	global_store_dwordx4 v[84:85], v[80:83], off offset:1024
	s_or_b32 exec_lo, exec_lo, s1
	s_and_saveexec_b32 s1, s53
	s_cbranch_execz .LBB285_47
.LBB285_109:                            ;   in Loop: Header=BB285_21 Depth=1
	v_add_co_u32 v80, vcc_lo, v46, v64
	v_add_co_ci_u32_e64 v81, null, 0, v79, vcc_lo
	v_add_co_u32 v82, vcc_lo, v77, v34
	v_add_co_ci_u32_e64 v83, null, v78, v35, vcc_lo
	;; [unrolled: 2-line block ×4, first 2 shown]
	v_add_co_u32 v84, vcc_lo, v44, v47
	v_cndmask_b32_e64 v80, v82, v80, s0
	v_cndmask_b32_e64 v81, v83, v81, s0
	v_add_co_ci_u32_e64 v85, null, 0, v45, vcc_lo
	global_load_dwordx4 v[80:83], v[80:81], off
	v_lshlrev_b64 v[86:87], 2, v[84:85]
	v_lshlrev_b64 v[84:85], 4, v[84:85]
	v_add_co_u32 v86, vcc_lo, s30, v86
	v_add_co_ci_u32_e64 v87, null, s31, v87, vcc_lo
	v_add_co_u32 v84, vcc_lo, s26, v84
	v_add_co_ci_u32_e64 v85, null, s27, v85, vcc_lo
	global_store_dword v[86:87], v70, off offset:384
	s_waitcnt vmcnt(0)
	global_store_dwordx4 v[84:85], v[80:83], off offset:1536
	s_or_b32 exec_lo, exec_lo, s1
	s_and_saveexec_b32 s1, s54
	s_cbranch_execz .LBB285_48
.LBB285_110:                            ;   in Loop: Header=BB285_21 Depth=1
	v_add_co_u32 v80, vcc_lo, v77, v36
	v_add_co_ci_u32_e64 v81, null, v78, v37, vcc_lo
	v_add_co_u32 v82, vcc_lo, v46, v73
	v_add_co_ci_u32_e64 v83, null, 0, v79, vcc_lo
	v_add_co_u32 v80, vcc_lo, 0x400, v80
	v_add_co_ci_u32_e64 v81, null, 0, v81, vcc_lo
	v_add_co_u32 v84, vcc_lo, v44, v47
	v_cndmask_b32_e64 v80, v80, v82, s0
	v_cndmask_b32_e64 v81, v81, v83, s0
	v_add_co_ci_u32_e64 v85, null, 0, v45, vcc_lo
	v_add_co_u32 v86, vcc_lo, v44, v51
	global_load_dwordx4 v[80:83], v[80:81], off
	v_add_co_ci_u32_e64 v87, null, 0, v45, vcc_lo
	v_lshlrev_b64 v[84:85], 2, v[84:85]
	v_lshlrev_b64 v[86:87], 4, v[86:87]
	v_add_co_u32 v84, vcc_lo, s30, v84
	v_add_co_ci_u32_e64 v85, null, s31, v85, vcc_lo
	v_add_co_u32 v86, vcc_lo, s26, v86
	v_add_co_ci_u32_e64 v87, null, s27, v87, vcc_lo
	global_store_dword v[84:85], v67, off offset:512
	s_waitcnt vmcnt(0)
	global_store_dwordx4 v[86:87], v[80:83], off
	s_or_b32 exec_lo, exec_lo, s1
	s_and_saveexec_b32 s1, s55
	s_cbranch_execz .LBB285_49
.LBB285_111:                            ;   in Loop: Header=BB285_21 Depth=1
	v_add_co_u32 v80, vcc_lo, v77, v38
	v_add_co_ci_u32_e64 v81, null, v78, v39, vcc_lo
	v_add_co_u32 v82, vcc_lo, v46, v74
	v_add_co_ci_u32_e64 v83, null, 0, v79, vcc_lo
	;; [unrolled: 2-line block ×3, first 2 shown]
	v_add_co_u32 v84, vcc_lo, v44, v47
	v_cndmask_b32_e64 v80, v80, v82, s0
	v_cndmask_b32_e64 v81, v81, v83, s0
	v_add_co_ci_u32_e64 v85, null, 0, v45, vcc_lo
	v_add_co_u32 v86, vcc_lo, v44, v52
	global_load_dwordx4 v[80:83], v[80:81], off
	v_add_co_ci_u32_e64 v87, null, 0, v45, vcc_lo
	v_lshlrev_b64 v[84:85], 2, v[84:85]
	v_lshlrev_b64 v[86:87], 4, v[86:87]
	v_add_co_u32 v84, vcc_lo, s30, v84
	v_add_co_ci_u32_e64 v85, null, s31, v85, vcc_lo
	v_add_co_u32 v86, vcc_lo, s26, v86
	v_add_co_ci_u32_e64 v87, null, s27, v87, vcc_lo
	global_store_dword v[84:85], v69, off offset:640
	s_waitcnt vmcnt(0)
	global_store_dwordx4 v[86:87], v[80:83], off
	s_or_b32 exec_lo, exec_lo, s1
	s_and_saveexec_b32 s1, s56
	s_cbranch_execz .LBB285_50
.LBB285_112:                            ;   in Loop: Header=BB285_21 Depth=1
	v_add_co_u32 v80, vcc_lo, v77, v40
	v_add_co_ci_u32_e64 v81, null, v78, v41, vcc_lo
	v_add_co_u32 v82, vcc_lo, v46, v75
	v_add_co_ci_u32_e64 v83, null, 0, v79, vcc_lo
	;; [unrolled: 2-line block ×3, first 2 shown]
	v_add_co_u32 v84, vcc_lo, v44, v47
	v_cndmask_b32_e64 v80, v80, v82, s0
	v_cndmask_b32_e64 v81, v81, v83, s0
	v_add_co_ci_u32_e64 v85, null, 0, v45, vcc_lo
	v_add_co_u32 v86, vcc_lo, v44, v53
	global_load_dwordx4 v[80:83], v[80:81], off
	v_add_co_ci_u32_e64 v87, null, 0, v45, vcc_lo
	v_lshlrev_b64 v[84:85], 2, v[84:85]
	v_lshlrev_b64 v[86:87], 4, v[86:87]
	v_add_co_u32 v84, vcc_lo, s30, v84
	v_add_co_ci_u32_e64 v85, null, s31, v85, vcc_lo
	v_add_co_u32 v86, vcc_lo, s26, v86
	v_add_co_ci_u32_e64 v87, null, s27, v87, vcc_lo
	global_store_dword v[84:85], v71, off offset:768
	s_waitcnt vmcnt(0)
	global_store_dwordx4 v[86:87], v[80:83], off
	s_or_b32 exec_lo, exec_lo, s1
	s_and_saveexec_b32 s1, s57
	s_cbranch_execnz .LBB285_51
	s_branch .LBB285_52
.LBB285_113:                            ;   in Loop: Header=BB285_21 Depth=1
	v_add_co_u32 v80, vcc_lo, v77, v28
	v_add_co_ci_u32_e64 v81, null, v78, v29, vcc_lo
	v_add_co_u32 v82, vcc_lo, v46, v64
	v_add_co_ci_u32_e64 v83, null, 0, v79, vcc_lo
	;; [unrolled: 2-line block ×3, first 2 shown]
	v_add_co_u32 v84, vcc_lo, v44, v47
	v_cndmask_b32_e64 v80, v80, v82, s0
	v_cndmask_b32_e64 v81, v81, v83, s0
	v_add_co_ci_u32_e64 v85, null, 0, v45, vcc_lo
	global_load_dwordx4 v[80:83], v[80:81], off
	v_lshlrev_b64 v[86:87], 2, v[84:85]
	v_lshlrev_b64 v[84:85], 4, v[84:85]
	v_add_co_u32 v86, vcc_lo, s30, v86
	v_add_co_ci_u32_e64 v87, null, s31, v87, vcc_lo
	v_add_co_u32 v84, vcc_lo, s26, v84
	v_add_co_ci_u32_e64 v85, null, s27, v85, vcc_lo
	global_store_dword v[86:87], v65, off
	s_waitcnt vmcnt(0)
	global_store_dwordx4 v[84:85], v[80:83], off
	s_or_b32 exec_lo, exec_lo, s1
	s_and_saveexec_b32 s1, s59
	s_cbranch_execz .LBB285_54
.LBB285_114:                            ;   in Loop: Header=BB285_21 Depth=1
	v_add_co_u32 v80, vcc_lo, v46, v64
	v_add_co_ci_u32_e64 v81, null, 0, v79, vcc_lo
	v_add_co_u32 v82, vcc_lo, v77, v30
	v_add_co_ci_u32_e64 v83, null, v78, v31, vcc_lo
	;; [unrolled: 2-line block ×4, first 2 shown]
	v_add_co_u32 v84, vcc_lo, v44, v47
	v_cndmask_b32_e64 v80, v82, v80, s0
	v_cndmask_b32_e64 v81, v83, v81, s0
	v_add_co_ci_u32_e64 v85, null, 0, v45, vcc_lo
	global_load_dwordx4 v[80:83], v[80:81], off
	v_lshlrev_b64 v[86:87], 2, v[84:85]
	v_lshlrev_b64 v[84:85], 4, v[84:85]
	v_add_co_u32 v86, vcc_lo, s30, v86
	v_add_co_ci_u32_e64 v87, null, s31, v87, vcc_lo
	v_add_co_u32 v84, vcc_lo, s26, v84
	v_add_co_ci_u32_e64 v85, null, s27, v85, vcc_lo
	global_store_dword v[86:87], v66, off offset:128
	s_waitcnt vmcnt(0)
	global_store_dwordx4 v[84:85], v[80:83], off offset:512
	s_or_b32 exec_lo, exec_lo, s1
	s_and_saveexec_b32 s1, s60
	s_cbranch_execz .LBB285_55
.LBB285_115:                            ;   in Loop: Header=BB285_21 Depth=1
	v_add_co_u32 v80, vcc_lo, v46, v64
	v_add_co_ci_u32_e64 v81, null, 0, v79, vcc_lo
	v_add_co_u32 v82, vcc_lo, v77, v32
	v_add_co_ci_u32_e64 v83, null, v78, v33, vcc_lo
	;; [unrolled: 2-line block ×4, first 2 shown]
	v_add_co_u32 v84, vcc_lo, v44, v47
	v_cndmask_b32_e64 v80, v82, v80, s0
	v_cndmask_b32_e64 v81, v83, v81, s0
	v_add_co_ci_u32_e64 v85, null, 0, v45, vcc_lo
	global_load_dwordx4 v[80:83], v[80:81], off
	v_lshlrev_b64 v[86:87], 2, v[84:85]
	v_lshlrev_b64 v[84:85], 4, v[84:85]
	v_add_co_u32 v86, vcc_lo, s30, v86
	v_add_co_ci_u32_e64 v87, null, s31, v87, vcc_lo
	v_add_co_u32 v84, vcc_lo, s26, v84
	v_add_co_ci_u32_e64 v85, null, s27, v85, vcc_lo
	global_store_dword v[86:87], v68, off offset:256
	s_waitcnt vmcnt(0)
	global_store_dwordx4 v[84:85], v[80:83], off offset:1024
	s_or_b32 exec_lo, exec_lo, s1
	s_and_saveexec_b32 s1, s61
	s_cbranch_execz .LBB285_56
.LBB285_116:                            ;   in Loop: Header=BB285_21 Depth=1
	v_add_co_u32 v80, vcc_lo, v46, v64
	v_add_co_ci_u32_e64 v81, null, 0, v79, vcc_lo
	v_add_co_u32 v82, vcc_lo, v77, v34
	v_add_co_ci_u32_e64 v83, null, v78, v35, vcc_lo
	;; [unrolled: 2-line block ×4, first 2 shown]
	v_add_co_u32 v84, vcc_lo, v44, v47
	v_cndmask_b32_e64 v80, v82, v80, s0
	v_cndmask_b32_e64 v81, v83, v81, s0
	v_add_co_ci_u32_e64 v85, null, 0, v45, vcc_lo
	global_load_dwordx4 v[80:83], v[80:81], off
	v_lshlrev_b64 v[86:87], 2, v[84:85]
	v_lshlrev_b64 v[84:85], 4, v[84:85]
	v_add_co_u32 v86, vcc_lo, s30, v86
	v_add_co_ci_u32_e64 v87, null, s31, v87, vcc_lo
	v_add_co_u32 v84, vcc_lo, s26, v84
	v_add_co_ci_u32_e64 v85, null, s27, v85, vcc_lo
	global_store_dword v[86:87], v70, off offset:384
	s_waitcnt vmcnt(0)
	global_store_dwordx4 v[84:85], v[80:83], off offset:1536
	s_or_b32 exec_lo, exec_lo, s1
	s_and_saveexec_b32 s1, s62
	s_cbranch_execz .LBB285_57
.LBB285_117:                            ;   in Loop: Header=BB285_21 Depth=1
	v_add_co_u32 v80, vcc_lo, v77, v36
	v_add_co_ci_u32_e64 v81, null, v78, v37, vcc_lo
	v_add_co_u32 v82, vcc_lo, v46, v73
	v_add_co_ci_u32_e64 v83, null, 0, v79, vcc_lo
	;; [unrolled: 2-line block ×3, first 2 shown]
	v_add_co_u32 v84, vcc_lo, v44, v47
	v_cndmask_b32_e64 v80, v80, v82, s0
	v_cndmask_b32_e64 v81, v81, v83, s0
	v_add_co_ci_u32_e64 v85, null, 0, v45, vcc_lo
	v_add_co_u32 v86, vcc_lo, v44, v51
	global_load_dwordx4 v[80:83], v[80:81], off
	v_add_co_ci_u32_e64 v87, null, 0, v45, vcc_lo
	v_lshlrev_b64 v[84:85], 2, v[84:85]
	v_lshlrev_b64 v[86:87], 4, v[86:87]
	v_add_co_u32 v84, vcc_lo, s30, v84
	v_add_co_ci_u32_e64 v85, null, s31, v85, vcc_lo
	v_add_co_u32 v86, vcc_lo, s26, v86
	v_add_co_ci_u32_e64 v87, null, s27, v87, vcc_lo
	global_store_dword v[84:85], v67, off offset:512
	s_waitcnt vmcnt(0)
	global_store_dwordx4 v[86:87], v[80:83], off
	s_or_b32 exec_lo, exec_lo, s1
	s_and_saveexec_b32 s1, s63
	s_cbranch_execz .LBB285_58
.LBB285_118:                            ;   in Loop: Header=BB285_21 Depth=1
	v_add_co_u32 v80, vcc_lo, v77, v38
	v_add_co_ci_u32_e64 v81, null, v78, v39, vcc_lo
	v_add_co_u32 v82, vcc_lo, v46, v74
	v_add_co_ci_u32_e64 v83, null, 0, v79, vcc_lo
	;; [unrolled: 2-line block ×3, first 2 shown]
	v_add_co_u32 v84, vcc_lo, v44, v47
	v_cndmask_b32_e64 v80, v80, v82, s0
	v_cndmask_b32_e64 v81, v81, v83, s0
	v_add_co_ci_u32_e64 v85, null, 0, v45, vcc_lo
	v_add_co_u32 v86, vcc_lo, v44, v52
	global_load_dwordx4 v[80:83], v[80:81], off
	v_add_co_ci_u32_e64 v87, null, 0, v45, vcc_lo
	v_lshlrev_b64 v[84:85], 2, v[84:85]
	v_lshlrev_b64 v[86:87], 4, v[86:87]
	v_add_co_u32 v84, vcc_lo, s30, v84
	v_add_co_ci_u32_e64 v85, null, s31, v85, vcc_lo
	v_add_co_u32 v86, vcc_lo, s26, v86
	v_add_co_ci_u32_e64 v87, null, s27, v87, vcc_lo
	global_store_dword v[84:85], v69, off offset:640
	s_waitcnt vmcnt(0)
	global_store_dwordx4 v[86:87], v[80:83], off
	s_or_b32 exec_lo, exec_lo, s1
	s_and_saveexec_b32 s1, s64
	s_cbranch_execz .LBB285_59
.LBB285_119:                            ;   in Loop: Header=BB285_21 Depth=1
	v_add_co_u32 v80, vcc_lo, v77, v40
	v_add_co_ci_u32_e64 v81, null, v78, v41, vcc_lo
	v_add_co_u32 v82, vcc_lo, v46, v75
	v_add_co_ci_u32_e64 v83, null, 0, v79, vcc_lo
	;; [unrolled: 2-line block ×3, first 2 shown]
	v_add_co_u32 v84, vcc_lo, v44, v47
	v_cndmask_b32_e64 v80, v80, v82, s0
	v_cndmask_b32_e64 v81, v81, v83, s0
	v_add_co_ci_u32_e64 v85, null, 0, v45, vcc_lo
	v_add_co_u32 v86, vcc_lo, v44, v53
	global_load_dwordx4 v[80:83], v[80:81], off
	v_add_co_ci_u32_e64 v87, null, 0, v45, vcc_lo
	v_lshlrev_b64 v[84:85], 2, v[84:85]
	v_lshlrev_b64 v[86:87], 4, v[86:87]
	v_add_co_u32 v84, vcc_lo, s30, v84
	v_add_co_ci_u32_e64 v85, null, s31, v85, vcc_lo
	v_add_co_u32 v86, vcc_lo, s26, v86
	v_add_co_ci_u32_e64 v87, null, s27, v87, vcc_lo
	global_store_dword v[84:85], v71, off offset:768
	s_waitcnt vmcnt(0)
	global_store_dwordx4 v[86:87], v[80:83], off
	s_or_b32 exec_lo, exec_lo, s1
	s_and_saveexec_b32 s1, s65
	s_cbranch_execnz .LBB285_60
	s_branch .LBB285_61
.LBB285_120:                            ;   in Loop: Header=BB285_21 Depth=1
	v_add_co_u32 v80, vcc_lo, v46, v64
	v_add_co_ci_u32_e64 v81, null, 0, v79, vcc_lo
	v_add_co_u32 v82, vcc_lo, v77, v28
	v_add_co_ci_u32_e64 v83, null, v78, v29, vcc_lo
	v_add_co_u32 v84, vcc_lo, v44, v47
	v_cndmask_b32_e64 v80, v82, v80, s0
	v_cndmask_b32_e64 v81, v83, v81, s0
	v_add_co_ci_u32_e64 v85, null, 0, v45, vcc_lo
	global_load_dwordx4 v[80:83], v[80:81], off
	v_lshlrev_b64 v[86:87], 2, v[84:85]
	v_lshlrev_b64 v[84:85], 4, v[84:85]
	v_add_co_u32 v86, vcc_lo, s30, v86
	v_add_co_ci_u32_e64 v87, null, s31, v87, vcc_lo
	v_add_co_u32 v84, vcc_lo, s26, v84
	v_add_co_ci_u32_e64 v85, null, s27, v85, vcc_lo
	global_store_dword v[86:87], v65, off
	s_waitcnt vmcnt(0)
	global_store_dwordx4 v[84:85], v[80:83], off
	s_or_b32 exec_lo, exec_lo, s1
	s_and_saveexec_b32 s1, s67
	s_cbranch_execz .LBB285_63
.LBB285_121:                            ;   in Loop: Header=BB285_21 Depth=1
	v_add_co_u32 v80, vcc_lo, v46, v64
	v_add_co_ci_u32_e64 v81, null, 0, v79, vcc_lo
	v_add_co_u32 v80, vcc_lo, 0x200, v80
	v_add_co_ci_u32_e64 v81, null, 0, v81, vcc_lo
	v_add_co_u32 v82, vcc_lo, v77, v30
	v_add_co_ci_u32_e64 v83, null, v78, v31, vcc_lo
	v_add_co_u32 v84, vcc_lo, v44, v47
	v_cndmask_b32_e64 v80, v82, v80, s0
	v_cndmask_b32_e64 v81, v83, v81, s0
	v_add_co_ci_u32_e64 v85, null, 0, v45, vcc_lo
	global_load_dwordx4 v[80:83], v[80:81], off
	v_lshlrev_b64 v[86:87], 2, v[84:85]
	v_lshlrev_b64 v[84:85], 4, v[84:85]
	v_add_co_u32 v86, vcc_lo, s30, v86
	v_add_co_ci_u32_e64 v87, null, s31, v87, vcc_lo
	v_add_co_u32 v84, vcc_lo, s26, v84
	v_add_co_ci_u32_e64 v85, null, s27, v85, vcc_lo
	global_store_dword v[86:87], v66, off offset:128
	s_waitcnt vmcnt(0)
	global_store_dwordx4 v[84:85], v[80:83], off offset:512
	s_or_b32 exec_lo, exec_lo, s1
	s_and_saveexec_b32 s1, s68
	s_cbranch_execz .LBB285_64
.LBB285_122:                            ;   in Loop: Header=BB285_21 Depth=1
	v_add_co_u32 v80, vcc_lo, v46, v64
	v_add_co_ci_u32_e64 v81, null, 0, v79, vcc_lo
	v_add_co_u32 v80, vcc_lo, 0x400, v80
	v_add_co_ci_u32_e64 v81, null, 0, v81, vcc_lo
	;; [unrolled: 2-line block ×3, first 2 shown]
	v_add_co_u32 v84, vcc_lo, v44, v47
	v_cndmask_b32_e64 v80, v82, v80, s0
	v_cndmask_b32_e64 v81, v83, v81, s0
	v_add_co_ci_u32_e64 v85, null, 0, v45, vcc_lo
	global_load_dwordx4 v[80:83], v[80:81], off
	v_lshlrev_b64 v[86:87], 2, v[84:85]
	v_lshlrev_b64 v[84:85], 4, v[84:85]
	v_add_co_u32 v86, vcc_lo, s30, v86
	v_add_co_ci_u32_e64 v87, null, s31, v87, vcc_lo
	v_add_co_u32 v84, vcc_lo, s26, v84
	v_add_co_ci_u32_e64 v85, null, s27, v85, vcc_lo
	global_store_dword v[86:87], v68, off offset:256
	s_waitcnt vmcnt(0)
	global_store_dwordx4 v[84:85], v[80:83], off offset:1024
	s_or_b32 exec_lo, exec_lo, s1
	s_and_saveexec_b32 s1, s69
	s_cbranch_execz .LBB285_65
.LBB285_123:                            ;   in Loop: Header=BB285_21 Depth=1
	v_add_co_u32 v80, vcc_lo, v46, v64
	v_add_co_ci_u32_e64 v81, null, 0, v79, vcc_lo
	v_add_co_u32 v80, vcc_lo, 0x600, v80
	v_add_co_ci_u32_e64 v81, null, 0, v81, vcc_lo
	;; [unrolled: 2-line block ×3, first 2 shown]
	v_add_co_u32 v84, vcc_lo, v44, v47
	v_cndmask_b32_e64 v80, v82, v80, s0
	v_cndmask_b32_e64 v81, v83, v81, s0
	v_add_co_ci_u32_e64 v85, null, 0, v45, vcc_lo
	global_load_dwordx4 v[80:83], v[80:81], off
	v_lshlrev_b64 v[86:87], 2, v[84:85]
	v_lshlrev_b64 v[84:85], 4, v[84:85]
	v_add_co_u32 v86, vcc_lo, s30, v86
	v_add_co_ci_u32_e64 v87, null, s31, v87, vcc_lo
	v_add_co_u32 v84, vcc_lo, s26, v84
	v_add_co_ci_u32_e64 v85, null, s27, v85, vcc_lo
	global_store_dword v[86:87], v70, off offset:384
	s_waitcnt vmcnt(0)
	global_store_dwordx4 v[84:85], v[80:83], off offset:1536
	s_or_b32 exec_lo, exec_lo, s1
	s_and_saveexec_b32 s1, s70
	s_cbranch_execz .LBB285_66
.LBB285_124:                            ;   in Loop: Header=BB285_21 Depth=1
	v_add_co_u32 v80, vcc_lo, v46, v73
	v_add_co_ci_u32_e64 v81, null, 0, v79, vcc_lo
	v_add_co_u32 v82, vcc_lo, v77, v36
	v_add_co_ci_u32_e64 v83, null, v78, v37, vcc_lo
	v_add_co_u32 v84, vcc_lo, v44, v47
	v_cndmask_b32_e64 v80, v82, v80, s0
	v_cndmask_b32_e64 v81, v83, v81, s0
	v_add_co_ci_u32_e64 v85, null, 0, v45, vcc_lo
	v_add_co_u32 v86, vcc_lo, v44, v51
	global_load_dwordx4 v[80:83], v[80:81], off
	v_add_co_ci_u32_e64 v87, null, 0, v45, vcc_lo
	v_lshlrev_b64 v[84:85], 2, v[84:85]
	v_lshlrev_b64 v[86:87], 4, v[86:87]
	v_add_co_u32 v84, vcc_lo, s30, v84
	v_add_co_ci_u32_e64 v85, null, s31, v85, vcc_lo
	v_add_co_u32 v86, vcc_lo, s26, v86
	v_add_co_ci_u32_e64 v87, null, s27, v87, vcc_lo
	global_store_dword v[84:85], v67, off offset:512
	s_waitcnt vmcnt(0)
	global_store_dwordx4 v[86:87], v[80:83], off
	s_or_b32 exec_lo, exec_lo, s1
	s_and_saveexec_b32 s1, s71
	s_cbranch_execz .LBB285_67
.LBB285_125:                            ;   in Loop: Header=BB285_21 Depth=1
	v_add_co_u32 v80, vcc_lo, v46, v74
	v_add_co_ci_u32_e64 v81, null, 0, v79, vcc_lo
	v_add_co_u32 v82, vcc_lo, v77, v38
	v_add_co_ci_u32_e64 v83, null, v78, v39, vcc_lo
	v_add_co_u32 v84, vcc_lo, v44, v47
	v_cndmask_b32_e64 v80, v82, v80, s0
	v_cndmask_b32_e64 v81, v83, v81, s0
	v_add_co_ci_u32_e64 v85, null, 0, v45, vcc_lo
	v_add_co_u32 v86, vcc_lo, v44, v52
	global_load_dwordx4 v[80:83], v[80:81], off
	v_add_co_ci_u32_e64 v87, null, 0, v45, vcc_lo
	v_lshlrev_b64 v[84:85], 2, v[84:85]
	v_lshlrev_b64 v[86:87], 4, v[86:87]
	v_add_co_u32 v84, vcc_lo, s30, v84
	v_add_co_ci_u32_e64 v85, null, s31, v85, vcc_lo
	v_add_co_u32 v86, vcc_lo, s26, v86
	v_add_co_ci_u32_e64 v87, null, s27, v87, vcc_lo
	global_store_dword v[84:85], v69, off offset:640
	s_waitcnt vmcnt(0)
	global_store_dwordx4 v[86:87], v[80:83], off
	s_or_b32 exec_lo, exec_lo, s1
	s_and_saveexec_b32 s1, s72
	s_cbranch_execz .LBB285_68
.LBB285_126:                            ;   in Loop: Header=BB285_21 Depth=1
	v_add_co_u32 v80, vcc_lo, v46, v75
	v_add_co_ci_u32_e64 v81, null, 0, v79, vcc_lo
	v_add_co_u32 v82, vcc_lo, v77, v40
	v_add_co_ci_u32_e64 v83, null, v78, v41, vcc_lo
	v_add_co_u32 v84, vcc_lo, v44, v47
	v_cndmask_b32_e64 v80, v82, v80, s0
	v_cndmask_b32_e64 v81, v83, v81, s0
	v_add_co_ci_u32_e64 v85, null, 0, v45, vcc_lo
	v_add_co_u32 v86, vcc_lo, v44, v53
	global_load_dwordx4 v[80:83], v[80:81], off
	v_add_co_ci_u32_e64 v87, null, 0, v45, vcc_lo
	v_lshlrev_b64 v[84:85], 2, v[84:85]
	v_lshlrev_b64 v[86:87], 4, v[86:87]
	v_add_co_u32 v84, vcc_lo, s30, v84
	v_add_co_ci_u32_e64 v85, null, s31, v85, vcc_lo
	v_add_co_u32 v86, vcc_lo, s26, v86
	v_add_co_ci_u32_e64 v87, null, s27, v87, vcc_lo
	global_store_dword v[84:85], v71, off offset:768
	s_waitcnt vmcnt(0)
	global_store_dwordx4 v[86:87], v[80:83], off
	s_or_b32 exec_lo, exec_lo, s1
	s_and_saveexec_b32 s1, s6
	s_cbranch_execnz .LBB285_69
	s_branch .LBB285_70
.LBB285_127:                            ;   in Loop: Header=BB285_21 Depth=1
	v_add_co_u32 v80, vcc_lo, v46, v64
	v_add_co_ci_u32_e64 v81, null, 0, v79, vcc_lo
	v_add_co_u32 v82, vcc_lo, v77, v28
	v_add_co_ci_u32_e64 v83, null, v78, v29, vcc_lo
	v_add_co_u32 v84, vcc_lo, v44, v47
	v_cndmask_b32_e64 v80, v82, v80, s0
	v_cndmask_b32_e64 v81, v83, v81, s0
	v_add_co_ci_u32_e64 v85, null, 0, v45, vcc_lo
	global_load_dwordx4 v[80:83], v[80:81], off
	v_lshlrev_b64 v[86:87], 2, v[84:85]
	v_lshlrev_b64 v[84:85], 4, v[84:85]
	v_add_co_u32 v86, vcc_lo, s30, v86
	v_add_co_ci_u32_e64 v87, null, s31, v87, vcc_lo
	v_add_co_u32 v84, vcc_lo, s26, v84
	v_add_co_ci_u32_e64 v85, null, s27, v85, vcc_lo
	global_store_dword v[86:87], v65, off
	s_waitcnt vmcnt(0)
	global_store_dwordx4 v[84:85], v[80:83], off
	s_or_b32 exec_lo, exec_lo, s1
	s_and_saveexec_b32 s1, s74
	s_cbranch_execz .LBB285_72
.LBB285_128:                            ;   in Loop: Header=BB285_21 Depth=1
	v_add_co_u32 v80, vcc_lo, v46, v64
	v_add_co_ci_u32_e64 v81, null, 0, v79, vcc_lo
	v_add_co_u32 v80, vcc_lo, 0x200, v80
	v_add_co_ci_u32_e64 v81, null, 0, v81, vcc_lo
	;; [unrolled: 2-line block ×3, first 2 shown]
	v_add_co_u32 v84, vcc_lo, v44, v47
	v_cndmask_b32_e64 v80, v82, v80, s0
	v_cndmask_b32_e64 v81, v83, v81, s0
	v_add_co_ci_u32_e64 v85, null, 0, v45, vcc_lo
	global_load_dwordx4 v[80:83], v[80:81], off
	v_lshlrev_b64 v[86:87], 2, v[84:85]
	v_lshlrev_b64 v[84:85], 4, v[84:85]
	v_add_co_u32 v86, vcc_lo, s30, v86
	v_add_co_ci_u32_e64 v87, null, s31, v87, vcc_lo
	v_add_co_u32 v84, vcc_lo, s26, v84
	v_add_co_ci_u32_e64 v85, null, s27, v85, vcc_lo
	global_store_dword v[86:87], v66, off offset:128
	s_waitcnt vmcnt(0)
	global_store_dwordx4 v[84:85], v[80:83], off offset:512
	s_or_b32 exec_lo, exec_lo, s1
	s_and_saveexec_b32 s1, s75
	s_cbranch_execz .LBB285_73
.LBB285_129:                            ;   in Loop: Header=BB285_21 Depth=1
	v_add_co_u32 v80, vcc_lo, v46, v64
	v_add_co_ci_u32_e64 v81, null, 0, v79, vcc_lo
	v_add_co_u32 v80, vcc_lo, 0x400, v80
	v_add_co_ci_u32_e64 v81, null, 0, v81, vcc_lo
	v_add_co_u32 v82, vcc_lo, v77, v32
	v_add_co_ci_u32_e64 v83, null, v78, v33, vcc_lo
	v_add_co_u32 v84, vcc_lo, v44, v47
	v_cndmask_b32_e64 v80, v82, v80, s0
	v_cndmask_b32_e64 v81, v83, v81, s0
	v_add_co_ci_u32_e64 v85, null, 0, v45, vcc_lo
	global_load_dwordx4 v[80:83], v[80:81], off
	v_lshlrev_b64 v[86:87], 2, v[84:85]
	v_lshlrev_b64 v[84:85], 4, v[84:85]
	v_add_co_u32 v86, vcc_lo, s30, v86
	v_add_co_ci_u32_e64 v87, null, s31, v87, vcc_lo
	v_add_co_u32 v84, vcc_lo, s26, v84
	v_add_co_ci_u32_e64 v85, null, s27, v85, vcc_lo
	global_store_dword v[86:87], v68, off offset:256
	s_waitcnt vmcnt(0)
	global_store_dwordx4 v[84:85], v[80:83], off offset:1024
	s_or_b32 exec_lo, exec_lo, s1
	s_and_saveexec_b32 s1, s76
	s_cbranch_execz .LBB285_74
.LBB285_130:                            ;   in Loop: Header=BB285_21 Depth=1
	v_add_co_u32 v80, vcc_lo, v46, v64
	v_add_co_ci_u32_e64 v81, null, 0, v79, vcc_lo
	v_add_co_u32 v80, vcc_lo, 0x600, v80
	v_add_co_ci_u32_e64 v81, null, 0, v81, vcc_lo
	;; [unrolled: 2-line block ×3, first 2 shown]
	v_add_co_u32 v84, vcc_lo, v44, v47
	v_cndmask_b32_e64 v80, v82, v80, s0
	v_cndmask_b32_e64 v81, v83, v81, s0
	v_add_co_ci_u32_e64 v85, null, 0, v45, vcc_lo
	global_load_dwordx4 v[80:83], v[80:81], off
	v_lshlrev_b64 v[86:87], 2, v[84:85]
	v_lshlrev_b64 v[84:85], 4, v[84:85]
	v_add_co_u32 v86, vcc_lo, s30, v86
	v_add_co_ci_u32_e64 v87, null, s31, v87, vcc_lo
	v_add_co_u32 v84, vcc_lo, s26, v84
	v_add_co_ci_u32_e64 v85, null, s27, v85, vcc_lo
	global_store_dword v[86:87], v70, off offset:384
	s_waitcnt vmcnt(0)
	global_store_dwordx4 v[84:85], v[80:83], off offset:1536
	s_or_b32 exec_lo, exec_lo, s1
	s_and_saveexec_b32 s1, s77
	s_cbranch_execz .LBB285_75
.LBB285_131:                            ;   in Loop: Header=BB285_21 Depth=1
	v_add_co_u32 v80, vcc_lo, v46, v73
	v_add_co_ci_u32_e64 v81, null, 0, v79, vcc_lo
	v_add_co_u32 v82, vcc_lo, v77, v36
	v_add_co_ci_u32_e64 v83, null, v78, v37, vcc_lo
	v_add_co_u32 v84, vcc_lo, v44, v47
	v_cndmask_b32_e64 v80, v82, v80, s0
	v_cndmask_b32_e64 v81, v83, v81, s0
	v_add_co_ci_u32_e64 v85, null, 0, v45, vcc_lo
	v_add_co_u32 v86, vcc_lo, v44, v51
	global_load_dwordx4 v[80:83], v[80:81], off
	v_add_co_ci_u32_e64 v87, null, 0, v45, vcc_lo
	v_lshlrev_b64 v[84:85], 2, v[84:85]
	v_lshlrev_b64 v[86:87], 4, v[86:87]
	v_add_co_u32 v84, vcc_lo, s30, v84
	v_add_co_ci_u32_e64 v85, null, s31, v85, vcc_lo
	v_add_co_u32 v86, vcc_lo, s26, v86
	v_add_co_ci_u32_e64 v87, null, s27, v87, vcc_lo
	global_store_dword v[84:85], v67, off offset:512
	s_waitcnt vmcnt(0)
	global_store_dwordx4 v[86:87], v[80:83], off
	s_or_b32 exec_lo, exec_lo, s1
	s_and_saveexec_b32 s1, s78
	s_cbranch_execz .LBB285_76
.LBB285_132:                            ;   in Loop: Header=BB285_21 Depth=1
	v_add_co_u32 v80, vcc_lo, v46, v74
	v_add_co_ci_u32_e64 v81, null, 0, v79, vcc_lo
	v_add_co_u32 v82, vcc_lo, v77, v38
	v_add_co_ci_u32_e64 v83, null, v78, v39, vcc_lo
	v_add_co_u32 v84, vcc_lo, v44, v47
	v_cndmask_b32_e64 v80, v82, v80, s0
	v_cndmask_b32_e64 v81, v83, v81, s0
	v_add_co_ci_u32_e64 v85, null, 0, v45, vcc_lo
	v_add_co_u32 v86, vcc_lo, v44, v52
	global_load_dwordx4 v[80:83], v[80:81], off
	v_add_co_ci_u32_e64 v87, null, 0, v45, vcc_lo
	v_lshlrev_b64 v[84:85], 2, v[84:85]
	v_lshlrev_b64 v[86:87], 4, v[86:87]
	v_add_co_u32 v84, vcc_lo, s30, v84
	v_add_co_ci_u32_e64 v85, null, s31, v85, vcc_lo
	v_add_co_u32 v86, vcc_lo, s26, v86
	v_add_co_ci_u32_e64 v87, null, s27, v87, vcc_lo
	global_store_dword v[84:85], v69, off offset:640
	s_waitcnt vmcnt(0)
	global_store_dwordx4 v[86:87], v[80:83], off
	s_or_b32 exec_lo, exec_lo, s1
	s_and_saveexec_b32 s1, s79
	s_cbranch_execz .LBB285_77
.LBB285_133:                            ;   in Loop: Header=BB285_21 Depth=1
	v_add_co_u32 v80, vcc_lo, v46, v75
	v_add_co_ci_u32_e64 v81, null, 0, v79, vcc_lo
	v_add_co_u32 v82, vcc_lo, v77, v40
	v_add_co_ci_u32_e64 v83, null, v78, v41, vcc_lo
	v_add_co_u32 v84, vcc_lo, v44, v47
	v_cndmask_b32_e64 v80, v82, v80, s0
	v_cndmask_b32_e64 v81, v83, v81, s0
	v_add_co_ci_u32_e64 v85, null, 0, v45, vcc_lo
	v_add_co_u32 v86, vcc_lo, v44, v53
	global_load_dwordx4 v[80:83], v[80:81], off
	v_add_co_ci_u32_e64 v87, null, 0, v45, vcc_lo
	v_lshlrev_b64 v[84:85], 2, v[84:85]
	v_lshlrev_b64 v[86:87], 4, v[86:87]
	v_add_co_u32 v84, vcc_lo, s30, v84
	v_add_co_ci_u32_e64 v85, null, s31, v85, vcc_lo
	v_add_co_u32 v86, vcc_lo, s26, v86
	v_add_co_ci_u32_e64 v87, null, s27, v87, vcc_lo
	global_store_dword v[84:85], v71, off offset:768
	s_waitcnt vmcnt(0)
	global_store_dwordx4 v[86:87], v[80:83], off
	s_or_b32 exec_lo, exec_lo, s1
	s_and_saveexec_b32 s1, s8
	s_cbranch_execnz .LBB285_78
	s_branch .LBB285_79
.LBB285_134:                            ;   in Loop: Header=BB285_21 Depth=1
	v_add_co_u32 v80, vcc_lo, v46, v64
	v_add_co_ci_u32_e64 v81, null, 0, v79, vcc_lo
	v_add_co_u32 v82, vcc_lo, v77, v28
	v_add_co_ci_u32_e64 v83, null, v78, v29, vcc_lo
	v_add_co_u32 v84, vcc_lo, v44, v47
	v_cndmask_b32_e64 v80, v82, v80, s0
	v_cndmask_b32_e64 v81, v83, v81, s0
	v_add_co_ci_u32_e64 v85, null, 0, v45, vcc_lo
	global_load_dwordx4 v[80:83], v[80:81], off
	v_lshlrev_b64 v[86:87], 2, v[84:85]
	v_lshlrev_b64 v[84:85], 4, v[84:85]
	v_add_co_u32 v86, vcc_lo, s30, v86
	v_add_co_ci_u32_e64 v87, null, s31, v87, vcc_lo
	v_add_co_u32 v84, vcc_lo, s26, v84
	v_add_co_ci_u32_e64 v85, null, s27, v85, vcc_lo
	global_store_dword v[86:87], v65, off
	s_waitcnt vmcnt(0)
	global_store_dwordx4 v[84:85], v[80:83], off
	s_or_b32 exec_lo, exec_lo, s1
	s_and_saveexec_b32 s1, s81
	s_cbranch_execz .LBB285_81
.LBB285_135:                            ;   in Loop: Header=BB285_21 Depth=1
	v_add_co_u32 v80, vcc_lo, v46, v64
	v_add_co_ci_u32_e64 v81, null, 0, v79, vcc_lo
	v_add_co_u32 v80, vcc_lo, 0x200, v80
	v_add_co_ci_u32_e64 v81, null, 0, v81, vcc_lo
	;; [unrolled: 2-line block ×3, first 2 shown]
	v_add_co_u32 v84, vcc_lo, v44, v47
	v_cndmask_b32_e64 v80, v82, v80, s0
	v_cndmask_b32_e64 v81, v83, v81, s0
	v_add_co_ci_u32_e64 v85, null, 0, v45, vcc_lo
	global_load_dwordx4 v[80:83], v[80:81], off
	v_lshlrev_b64 v[86:87], 2, v[84:85]
	v_lshlrev_b64 v[84:85], 4, v[84:85]
	v_add_co_u32 v86, vcc_lo, s30, v86
	v_add_co_ci_u32_e64 v87, null, s31, v87, vcc_lo
	v_add_co_u32 v84, vcc_lo, s26, v84
	v_add_co_ci_u32_e64 v85, null, s27, v85, vcc_lo
	global_store_dword v[86:87], v66, off offset:128
	s_waitcnt vmcnt(0)
	global_store_dwordx4 v[84:85], v[80:83], off offset:512
	s_or_b32 exec_lo, exec_lo, s1
	s_and_saveexec_b32 s1, s82
	s_cbranch_execz .LBB285_82
.LBB285_136:                            ;   in Loop: Header=BB285_21 Depth=1
	v_add_co_u32 v80, vcc_lo, v46, v64
	v_add_co_ci_u32_e64 v81, null, 0, v79, vcc_lo
	v_add_co_u32 v80, vcc_lo, 0x400, v80
	v_add_co_ci_u32_e64 v81, null, 0, v81, vcc_lo
	;; [unrolled: 2-line block ×3, first 2 shown]
	v_add_co_u32 v84, vcc_lo, v44, v47
	v_cndmask_b32_e64 v80, v82, v80, s0
	v_cndmask_b32_e64 v81, v83, v81, s0
	v_add_co_ci_u32_e64 v85, null, 0, v45, vcc_lo
	global_load_dwordx4 v[80:83], v[80:81], off
	v_lshlrev_b64 v[86:87], 2, v[84:85]
	v_lshlrev_b64 v[84:85], 4, v[84:85]
	v_add_co_u32 v86, vcc_lo, s30, v86
	v_add_co_ci_u32_e64 v87, null, s31, v87, vcc_lo
	v_add_co_u32 v84, vcc_lo, s26, v84
	v_add_co_ci_u32_e64 v85, null, s27, v85, vcc_lo
	global_store_dword v[86:87], v68, off offset:256
	s_waitcnt vmcnt(0)
	global_store_dwordx4 v[84:85], v[80:83], off offset:1024
	s_or_b32 exec_lo, exec_lo, s1
	s_and_saveexec_b32 s1, s83
	s_cbranch_execz .LBB285_83
.LBB285_137:                            ;   in Loop: Header=BB285_21 Depth=1
	v_add_co_u32 v80, vcc_lo, v46, v64
	v_add_co_ci_u32_e64 v81, null, 0, v79, vcc_lo
	v_add_co_u32 v80, vcc_lo, 0x600, v80
	v_add_co_ci_u32_e64 v81, null, 0, v81, vcc_lo
	;; [unrolled: 2-line block ×3, first 2 shown]
	v_add_co_u32 v84, vcc_lo, v44, v47
	v_cndmask_b32_e64 v80, v82, v80, s0
	v_cndmask_b32_e64 v81, v83, v81, s0
	v_add_co_ci_u32_e64 v85, null, 0, v45, vcc_lo
	global_load_dwordx4 v[80:83], v[80:81], off
	v_lshlrev_b64 v[86:87], 2, v[84:85]
	v_lshlrev_b64 v[84:85], 4, v[84:85]
	v_add_co_u32 v86, vcc_lo, s30, v86
	v_add_co_ci_u32_e64 v87, null, s31, v87, vcc_lo
	v_add_co_u32 v84, vcc_lo, s26, v84
	v_add_co_ci_u32_e64 v85, null, s27, v85, vcc_lo
	global_store_dword v[86:87], v70, off offset:384
	s_waitcnt vmcnt(0)
	global_store_dwordx4 v[84:85], v[80:83], off offset:1536
	s_or_b32 exec_lo, exec_lo, s1
	s_and_saveexec_b32 s1, s84
	s_cbranch_execz .LBB285_84
.LBB285_138:                            ;   in Loop: Header=BB285_21 Depth=1
	v_add_co_u32 v80, vcc_lo, v46, v73
	v_add_co_ci_u32_e64 v81, null, 0, v79, vcc_lo
	v_add_co_u32 v82, vcc_lo, v77, v36
	v_add_co_ci_u32_e64 v83, null, v78, v37, vcc_lo
	v_add_co_u32 v84, vcc_lo, v44, v47
	v_cndmask_b32_e64 v80, v82, v80, s0
	v_cndmask_b32_e64 v81, v83, v81, s0
	v_add_co_ci_u32_e64 v85, null, 0, v45, vcc_lo
	v_add_co_u32 v86, vcc_lo, v44, v51
	global_load_dwordx4 v[80:83], v[80:81], off
	v_add_co_ci_u32_e64 v87, null, 0, v45, vcc_lo
	v_lshlrev_b64 v[84:85], 2, v[84:85]
	v_lshlrev_b64 v[86:87], 4, v[86:87]
	v_add_co_u32 v84, vcc_lo, s30, v84
	v_add_co_ci_u32_e64 v85, null, s31, v85, vcc_lo
	v_add_co_u32 v86, vcc_lo, s26, v86
	v_add_co_ci_u32_e64 v87, null, s27, v87, vcc_lo
	global_store_dword v[84:85], v67, off offset:512
	s_waitcnt vmcnt(0)
	global_store_dwordx4 v[86:87], v[80:83], off
	s_or_b32 exec_lo, exec_lo, s1
	s_and_saveexec_b32 s1, s85
	s_cbranch_execz .LBB285_85
.LBB285_139:                            ;   in Loop: Header=BB285_21 Depth=1
	v_add_co_u32 v80, vcc_lo, v46, v74
	v_add_co_ci_u32_e64 v81, null, 0, v79, vcc_lo
	v_add_co_u32 v82, vcc_lo, v77, v38
	v_add_co_ci_u32_e64 v83, null, v78, v39, vcc_lo
	v_add_co_u32 v84, vcc_lo, v44, v47
	v_cndmask_b32_e64 v80, v82, v80, s0
	v_cndmask_b32_e64 v81, v83, v81, s0
	v_add_co_ci_u32_e64 v85, null, 0, v45, vcc_lo
	v_add_co_u32 v86, vcc_lo, v44, v52
	global_load_dwordx4 v[80:83], v[80:81], off
	v_add_co_ci_u32_e64 v87, null, 0, v45, vcc_lo
	v_lshlrev_b64 v[84:85], 2, v[84:85]
	v_lshlrev_b64 v[86:87], 4, v[86:87]
	v_add_co_u32 v84, vcc_lo, s30, v84
	v_add_co_ci_u32_e64 v85, null, s31, v85, vcc_lo
	v_add_co_u32 v86, vcc_lo, s26, v86
	v_add_co_ci_u32_e64 v87, null, s27, v87, vcc_lo
	global_store_dword v[84:85], v69, off offset:640
	s_waitcnt vmcnt(0)
	global_store_dwordx4 v[86:87], v[80:83], off
	s_or_b32 exec_lo, exec_lo, s1
	s_and_saveexec_b32 s1, s86
	s_cbranch_execz .LBB285_86
.LBB285_140:                            ;   in Loop: Header=BB285_21 Depth=1
	v_add_co_u32 v80, vcc_lo, v46, v75
	v_add_co_ci_u32_e64 v81, null, 0, v79, vcc_lo
	v_add_co_u32 v82, vcc_lo, v77, v40
	v_add_co_ci_u32_e64 v83, null, v78, v41, vcc_lo
	v_add_co_u32 v84, vcc_lo, v44, v47
	v_cndmask_b32_e64 v80, v82, v80, s0
	v_cndmask_b32_e64 v81, v83, v81, s0
	v_add_co_ci_u32_e64 v85, null, 0, v45, vcc_lo
	v_add_co_u32 v86, vcc_lo, v44, v53
	global_load_dwordx4 v[80:83], v[80:81], off
	v_add_co_ci_u32_e64 v87, null, 0, v45, vcc_lo
	v_lshlrev_b64 v[84:85], 2, v[84:85]
	v_lshlrev_b64 v[86:87], 4, v[86:87]
	v_add_co_u32 v84, vcc_lo, s30, v84
	v_add_co_ci_u32_e64 v85, null, s31, v85, vcc_lo
	v_add_co_u32 v86, vcc_lo, s26, v86
	v_add_co_ci_u32_e64 v87, null, s27, v87, vcc_lo
	global_store_dword v[84:85], v71, off offset:768
	s_waitcnt vmcnt(0)
	global_store_dwordx4 v[86:87], v[80:83], off
	s_or_b32 exec_lo, exec_lo, s1
	s_and_saveexec_b32 s1, s10
	s_cbranch_execnz .LBB285_87
	s_branch .LBB285_88
.LBB285_141:                            ;   in Loop: Header=BB285_21 Depth=1
	v_add_co_u32 v80, vcc_lo, v46, v64
	v_add_co_ci_u32_e64 v81, null, 0, v79, vcc_lo
	v_add_co_u32 v82, vcc_lo, v77, v28
	v_add_co_ci_u32_e64 v83, null, v78, v29, vcc_lo
	v_add_co_u32 v84, vcc_lo, v44, v47
	v_cndmask_b32_e64 v80, v82, v80, s0
	v_cndmask_b32_e64 v81, v83, v81, s0
	v_add_co_ci_u32_e64 v85, null, 0, v45, vcc_lo
	global_load_dwordx4 v[80:83], v[80:81], off
	v_lshlrev_b64 v[86:87], 2, v[84:85]
	v_lshlrev_b64 v[84:85], 4, v[84:85]
	v_add_co_u32 v86, vcc_lo, s30, v86
	v_add_co_ci_u32_e64 v87, null, s31, v87, vcc_lo
	v_add_co_u32 v84, vcc_lo, s26, v84
	v_add_co_ci_u32_e64 v85, null, s27, v85, vcc_lo
	global_store_dword v[86:87], v65, off
	s_waitcnt vmcnt(0)
	global_store_dwordx4 v[84:85], v[80:83], off
	s_or_b32 exec_lo, exec_lo, s1
	s_and_saveexec_b32 s1, s11
	s_cbranch_execz .LBB285_90
.LBB285_142:                            ;   in Loop: Header=BB285_21 Depth=1
	v_add_co_u32 v65, vcc_lo, v46, v64
	v_add_co_ci_u32_e64 v80, null, 0, v79, vcc_lo
	v_add_co_u32 v65, vcc_lo, 0x200, v65
	v_add_co_ci_u32_e64 v80, null, 0, v80, vcc_lo
	;; [unrolled: 2-line block ×4, first 2 shown]
	v_cndmask_b32_e64 v81, v81, v80, s0
	v_cndmask_b32_e64 v80, v82, v65, s0
	v_lshlrev_b64 v[86:87], 2, v[84:85]
	v_lshlrev_b64 v[84:85], 4, v[84:85]
	global_load_dwordx4 v[80:83], v[80:81], off
	v_add_co_u32 v86, vcc_lo, s30, v86
	v_add_co_ci_u32_e64 v87, null, s31, v87, vcc_lo
	v_add_co_u32 v84, vcc_lo, s26, v84
	v_add_co_ci_u32_e64 v85, null, s27, v85, vcc_lo
	global_store_dword v[86:87], v66, off offset:128
	s_waitcnt vmcnt(0)
	global_store_dwordx4 v[84:85], v[80:83], off offset:512
	s_or_b32 exec_lo, exec_lo, s1
	s_and_saveexec_b32 s1, s12
	s_cbranch_execz .LBB285_91
.LBB285_143:                            ;   in Loop: Header=BB285_21 Depth=1
	v_add_co_u32 v65, vcc_lo, v46, v64
	v_add_co_ci_u32_e64 v66, null, 0, v79, vcc_lo
	v_add_co_u32 v65, vcc_lo, 0x400, v65
	v_add_co_ci_u32_e64 v66, null, 0, v66, vcc_lo
	;; [unrolled: 2-line block ×3, first 2 shown]
	v_cndmask_b32_e64 v65, v80, v65, s0
	v_cndmask_b32_e64 v66, v81, v66, s0
	global_load_dwordx4 v[80:83], v[65:66], off
	v_add_co_u32 v65, vcc_lo, v44, v47
	v_add_co_ci_u32_e64 v66, null, 0, v45, vcc_lo
	v_lshlrev_b64 v[84:85], 2, v[65:66]
	v_lshlrev_b64 v[65:66], 4, v[65:66]
	v_add_co_u32 v84, vcc_lo, s30, v84
	v_add_co_ci_u32_e64 v85, null, s31, v85, vcc_lo
	v_add_co_u32 v65, vcc_lo, s26, v65
	v_add_co_ci_u32_e64 v66, null, s27, v66, vcc_lo
	global_store_dword v[84:85], v68, off offset:256
	s_waitcnt vmcnt(0)
	global_store_dwordx4 v[65:66], v[80:83], off offset:1024
	s_or_b32 exec_lo, exec_lo, s1
	s_and_saveexec_b32 s1, s13
	s_cbranch_execz .LBB285_92
.LBB285_144:                            ;   in Loop: Header=BB285_21 Depth=1
	v_add_co_u32 v64, vcc_lo, v46, v64
	v_add_co_ci_u32_e64 v65, null, 0, v79, vcc_lo
	v_add_co_u32 v64, vcc_lo, 0x600, v64
	v_add_co_ci_u32_e64 v65, null, 0, v65, vcc_lo
	;; [unrolled: 2-line block ×3, first 2 shown]
	v_cndmask_b32_e64 v64, v66, v64, s0
	v_cndmask_b32_e64 v65, v68, v65, s0
	global_load_dwordx4 v[80:83], v[64:65], off
	v_add_co_u32 v64, vcc_lo, v44, v47
	v_add_co_ci_u32_e64 v65, null, 0, v45, vcc_lo
	v_lshlrev_b64 v[84:85], 2, v[64:65]
	v_lshlrev_b64 v[64:65], 4, v[64:65]
	v_add_co_u32 v84, vcc_lo, s30, v84
	v_add_co_ci_u32_e64 v85, null, s31, v85, vcc_lo
	v_add_co_u32 v64, vcc_lo, s26, v64
	v_add_co_ci_u32_e64 v65, null, s27, v65, vcc_lo
	global_store_dword v[84:85], v70, off offset:384
	s_waitcnt vmcnt(0)
	global_store_dwordx4 v[64:65], v[80:83], off offset:1536
	s_or_b32 exec_lo, exec_lo, s1
	s_and_saveexec_b32 s1, s14
	s_cbranch_execz .LBB285_93
.LBB285_145:                            ;   in Loop: Header=BB285_21 Depth=1
	v_add_co_u32 v64, vcc_lo, v46, v73
	v_add_co_ci_u32_e64 v65, null, 0, v79, vcc_lo
	v_add_co_u32 v66, vcc_lo, v77, v36
	v_add_co_ci_u32_e64 v68, null, v78, v37, vcc_lo
	v_cndmask_b32_e64 v64, v66, v64, s0
	v_cndmask_b32_e64 v65, v68, v65, s0
	global_load_dwordx4 v[80:83], v[64:65], off
	v_add_co_u32 v64, vcc_lo, v44, v47
	v_add_co_ci_u32_e64 v65, null, 0, v45, vcc_lo
	v_add_co_u32 v84, vcc_lo, v44, v51
	v_add_co_ci_u32_e64 v85, null, 0, v45, vcc_lo
	v_lshlrev_b64 v[64:65], 2, v[64:65]
	v_lshlrev_b64 v[84:85], 4, v[84:85]
	v_add_co_u32 v64, vcc_lo, s30, v64
	v_add_co_ci_u32_e64 v65, null, s31, v65, vcc_lo
	v_add_co_u32 v84, vcc_lo, s26, v84
	v_add_co_ci_u32_e64 v85, null, s27, v85, vcc_lo
	global_store_dword v[64:65], v67, off offset:512
	s_waitcnt vmcnt(0)
	global_store_dwordx4 v[84:85], v[80:83], off
	s_or_b32 exec_lo, exec_lo, s1
	s_and_saveexec_b32 s1, s15
	s_cbranch_execz .LBB285_94
.LBB285_146:                            ;   in Loop: Header=BB285_21 Depth=1
	v_add_co_u32 v64, vcc_lo, v46, v74
	v_add_co_ci_u32_e64 v65, null, 0, v79, vcc_lo
	v_add_co_u32 v66, vcc_lo, v77, v38
	v_add_co_ci_u32_e64 v67, null, v78, v39, vcc_lo
	v_add_co_u32 v73, vcc_lo, v44, v47
	v_cndmask_b32_e64 v64, v66, v64, s0
	v_cndmask_b32_e64 v65, v67, v65, s0
	v_add_co_ci_u32_e64 v74, null, 0, v45, vcc_lo
	v_add_co_u32 v80, vcc_lo, v44, v52
	global_load_dwordx4 v[64:67], v[64:65], off
	v_add_co_ci_u32_e64 v81, null, 0, v45, vcc_lo
	v_lshlrev_b64 v[73:74], 2, v[73:74]
	v_lshlrev_b64 v[80:81], 4, v[80:81]
	v_add_co_u32 v73, vcc_lo, s30, v73
	v_add_co_ci_u32_e64 v74, null, s31, v74, vcc_lo
	v_add_co_u32 v80, vcc_lo, s26, v80
	v_add_co_ci_u32_e64 v81, null, s27, v81, vcc_lo
	global_store_dword v[73:74], v69, off offset:640
	s_waitcnt vmcnt(0)
	global_store_dwordx4 v[80:81], v[64:67], off
	s_or_b32 exec_lo, exec_lo, s1
	s_and_saveexec_b32 s1, s4
	s_cbranch_execz .LBB285_95
.LBB285_147:                            ;   in Loop: Header=BB285_21 Depth=1
	v_add_co_u32 v64, vcc_lo, v46, v75
	v_add_co_ci_u32_e64 v65, null, 0, v79, vcc_lo
	v_add_co_u32 v66, vcc_lo, v77, v40
	v_add_co_ci_u32_e64 v67, null, v78, v41, vcc_lo
	v_add_co_u32 v68, vcc_lo, v44, v47
	v_cndmask_b32_e64 v64, v66, v64, s0
	v_cndmask_b32_e64 v65, v67, v65, s0
	v_add_co_ci_u32_e64 v69, null, 0, v45, vcc_lo
	v_add_co_u32 v73, vcc_lo, v44, v53
	global_load_dwordx4 v[64:67], v[64:65], off
	v_add_co_ci_u32_e64 v74, null, 0, v45, vcc_lo
	v_lshlrev_b64 v[68:69], 2, v[68:69]
	v_lshlrev_b64 v[73:74], 4, v[73:74]
	v_add_co_u32 v68, vcc_lo, s30, v68
	v_add_co_ci_u32_e64 v69, null, s31, v69, vcc_lo
	v_add_co_u32 v73, vcc_lo, s26, v73
	v_add_co_ci_u32_e64 v74, null, s27, v74, vcc_lo
	global_store_dword v[68:69], v71, off offset:768
	s_waitcnt vmcnt(0)
	global_store_dwordx4 v[73:74], v[64:67], off
	s_or_b32 exec_lo, exec_lo, s1
	s_and_saveexec_b32 s1, s5
	s_cbranch_execz .LBB285_20
.LBB285_148:                            ;   in Loop: Header=BB285_21 Depth=1
	v_add_co_u32 v46, vcc_lo, v46, v76
	v_add_co_ci_u32_e64 v64, null, 0, v79, vcc_lo
	v_add_co_u32 v66, vcc_lo, v77, v42
	v_add_co_ci_u32_e64 v65, null, v78, v43, vcc_lo
	;; [unrolled: 2-line block ×3, first 2 shown]
	v_cndmask_b32_e64 v65, v65, v64, s0
	v_cndmask_b32_e64 v64, v66, v46, s0
	v_add_co_u32 v44, vcc_lo, v44, v54
	v_add_co_ci_u32_e64 v45, null, 0, v45, vcc_lo
	global_load_dwordx4 v[64:67], v[64:65], off
	v_lshlrev_b64 v[68:69], 2, v[68:69]
	v_lshlrev_b64 v[44:45], 4, v[44:45]
	v_add_co_u32 v68, vcc_lo, s30, v68
	v_add_co_ci_u32_e64 v69, null, s31, v69, vcc_lo
	v_add_co_u32 v44, vcc_lo, s26, v44
	v_add_co_ci_u32_e64 v45, null, s27, v45, vcc_lo
	global_store_dword v[68:69], v72, off offset:896
	s_waitcnt vmcnt(0)
	global_store_dwordx4 v[44:45], v[64:67], off
	s_branch .LBB285_20
.LBB285_149:
	s_endpgm
	.section	.rodata,"a",@progbits
	.p2align	6, 0x0
	.amdhsa_kernel _ZN9rocsparseL35bsr2csr_block_per_row_33_256_kernelILj1024ELj256ELj32E21rocsparse_complex_numIdEliEEv20rocsparse_direction_T4_S4_21rocsparse_index_base_PKT2_PKT3_PKS4_S4_S5_PS6_PS9_PS4_
		.amdhsa_group_segment_fixed_size 0
		.amdhsa_private_segment_fixed_size 0
		.amdhsa_kernarg_size 72
		.amdhsa_user_sgpr_count 6
		.amdhsa_user_sgpr_private_segment_buffer 1
		.amdhsa_user_sgpr_dispatch_ptr 0
		.amdhsa_user_sgpr_queue_ptr 0
		.amdhsa_user_sgpr_kernarg_segment_ptr 1
		.amdhsa_user_sgpr_dispatch_id 0
		.amdhsa_user_sgpr_flat_scratch_init 0
		.amdhsa_user_sgpr_private_segment_size 0
		.amdhsa_wavefront_size32 1
		.amdhsa_uses_dynamic_stack 0
		.amdhsa_system_sgpr_private_segment_wavefront_offset 0
		.amdhsa_system_sgpr_workgroup_id_x 1
		.amdhsa_system_sgpr_workgroup_id_y 0
		.amdhsa_system_sgpr_workgroup_id_z 0
		.amdhsa_system_sgpr_workgroup_info 0
		.amdhsa_system_vgpr_workitem_id 0
		.amdhsa_next_free_vgpr 88
		.amdhsa_next_free_sgpr 94
		.amdhsa_reserve_vcc 1
		.amdhsa_reserve_flat_scratch 0
		.amdhsa_float_round_mode_32 0
		.amdhsa_float_round_mode_16_64 0
		.amdhsa_float_denorm_mode_32 3
		.amdhsa_float_denorm_mode_16_64 3
		.amdhsa_dx10_clamp 1
		.amdhsa_ieee_mode 1
		.amdhsa_fp16_overflow 0
		.amdhsa_workgroup_processor_mode 1
		.amdhsa_memory_ordered 1
		.amdhsa_forward_progress 1
		.amdhsa_shared_vgpr_count 0
		.amdhsa_exception_fp_ieee_invalid_op 0
		.amdhsa_exception_fp_denorm_src 0
		.amdhsa_exception_fp_ieee_div_zero 0
		.amdhsa_exception_fp_ieee_overflow 0
		.amdhsa_exception_fp_ieee_underflow 0
		.amdhsa_exception_fp_ieee_inexact 0
		.amdhsa_exception_int_div_zero 0
	.end_amdhsa_kernel
	.section	.text._ZN9rocsparseL35bsr2csr_block_per_row_33_256_kernelILj1024ELj256ELj32E21rocsparse_complex_numIdEliEEv20rocsparse_direction_T4_S4_21rocsparse_index_base_PKT2_PKT3_PKS4_S4_S5_PS6_PS9_PS4_,"axG",@progbits,_ZN9rocsparseL35bsr2csr_block_per_row_33_256_kernelILj1024ELj256ELj32E21rocsparse_complex_numIdEliEEv20rocsparse_direction_T4_S4_21rocsparse_index_base_PKT2_PKT3_PKS4_S4_S5_PS6_PS9_PS4_,comdat
.Lfunc_end285:
	.size	_ZN9rocsparseL35bsr2csr_block_per_row_33_256_kernelILj1024ELj256ELj32E21rocsparse_complex_numIdEliEEv20rocsparse_direction_T4_S4_21rocsparse_index_base_PKT2_PKT3_PKS4_S4_S5_PS6_PS9_PS4_, .Lfunc_end285-_ZN9rocsparseL35bsr2csr_block_per_row_33_256_kernelILj1024ELj256ELj32E21rocsparse_complex_numIdEliEEv20rocsparse_direction_T4_S4_21rocsparse_index_base_PKT2_PKT3_PKS4_S4_S5_PS6_PS9_PS4_
                                        ; -- End function
	.set _ZN9rocsparseL35bsr2csr_block_per_row_33_256_kernelILj1024ELj256ELj32E21rocsparse_complex_numIdEliEEv20rocsparse_direction_T4_S4_21rocsparse_index_base_PKT2_PKT3_PKS4_S4_S5_PS6_PS9_PS4_.num_vgpr, 88
	.set _ZN9rocsparseL35bsr2csr_block_per_row_33_256_kernelILj1024ELj256ELj32E21rocsparse_complex_numIdEliEEv20rocsparse_direction_T4_S4_21rocsparse_index_base_PKT2_PKT3_PKS4_S4_S5_PS6_PS9_PS4_.num_agpr, 0
	.set _ZN9rocsparseL35bsr2csr_block_per_row_33_256_kernelILj1024ELj256ELj32E21rocsparse_complex_numIdEliEEv20rocsparse_direction_T4_S4_21rocsparse_index_base_PKT2_PKT3_PKS4_S4_S5_PS6_PS9_PS4_.numbered_sgpr, 94
	.set _ZN9rocsparseL35bsr2csr_block_per_row_33_256_kernelILj1024ELj256ELj32E21rocsparse_complex_numIdEliEEv20rocsparse_direction_T4_S4_21rocsparse_index_base_PKT2_PKT3_PKS4_S4_S5_PS6_PS9_PS4_.num_named_barrier, 0
	.set _ZN9rocsparseL35bsr2csr_block_per_row_33_256_kernelILj1024ELj256ELj32E21rocsparse_complex_numIdEliEEv20rocsparse_direction_T4_S4_21rocsparse_index_base_PKT2_PKT3_PKS4_S4_S5_PS6_PS9_PS4_.private_seg_size, 0
	.set _ZN9rocsparseL35bsr2csr_block_per_row_33_256_kernelILj1024ELj256ELj32E21rocsparse_complex_numIdEliEEv20rocsparse_direction_T4_S4_21rocsparse_index_base_PKT2_PKT3_PKS4_S4_S5_PS6_PS9_PS4_.uses_vcc, 1
	.set _ZN9rocsparseL35bsr2csr_block_per_row_33_256_kernelILj1024ELj256ELj32E21rocsparse_complex_numIdEliEEv20rocsparse_direction_T4_S4_21rocsparse_index_base_PKT2_PKT3_PKS4_S4_S5_PS6_PS9_PS4_.uses_flat_scratch, 0
	.set _ZN9rocsparseL35bsr2csr_block_per_row_33_256_kernelILj1024ELj256ELj32E21rocsparse_complex_numIdEliEEv20rocsparse_direction_T4_S4_21rocsparse_index_base_PKT2_PKT3_PKS4_S4_S5_PS6_PS9_PS4_.has_dyn_sized_stack, 0
	.set _ZN9rocsparseL35bsr2csr_block_per_row_33_256_kernelILj1024ELj256ELj32E21rocsparse_complex_numIdEliEEv20rocsparse_direction_T4_S4_21rocsparse_index_base_PKT2_PKT3_PKS4_S4_S5_PS6_PS9_PS4_.has_recursion, 0
	.set _ZN9rocsparseL35bsr2csr_block_per_row_33_256_kernelILj1024ELj256ELj32E21rocsparse_complex_numIdEliEEv20rocsparse_direction_T4_S4_21rocsparse_index_base_PKT2_PKT3_PKS4_S4_S5_PS6_PS9_PS4_.has_indirect_call, 0
	.section	.AMDGPU.csdata,"",@progbits
; Kernel info:
; codeLenInByte = 14336
; TotalNumSgprs: 96
; NumVgprs: 88
; ScratchSize: 0
; MemoryBound: 0
; FloatMode: 240
; IeeeMode: 1
; LDSByteSize: 0 bytes/workgroup (compile time only)
; SGPRBlocks: 0
; VGPRBlocks: 10
; NumSGPRsForWavesPerEU: 96
; NumVGPRsForWavesPerEU: 88
; Occupancy: 10
; WaveLimiterHint : 1
; COMPUTE_PGM_RSRC2:SCRATCH_EN: 0
; COMPUTE_PGM_RSRC2:USER_SGPR: 6
; COMPUTE_PGM_RSRC2:TRAP_HANDLER: 0
; COMPUTE_PGM_RSRC2:TGID_X_EN: 1
; COMPUTE_PGM_RSRC2:TGID_Y_EN: 0
; COMPUTE_PGM_RSRC2:TGID_Z_EN: 0
; COMPUTE_PGM_RSRC2:TIDIG_COMP_CNT: 0
	.section	.text._ZN9rocsparseL35bsr2csr_block_dim_equals_one_kernelILj1024E21rocsparse_complex_numIdEilEEvT2_S3_21rocsparse_index_base_PKT0_PKT1_PKS3_S4_PS5_PS8_PS3_,"axG",@progbits,_ZN9rocsparseL35bsr2csr_block_dim_equals_one_kernelILj1024E21rocsparse_complex_numIdEilEEvT2_S3_21rocsparse_index_base_PKT0_PKT1_PKS3_S4_PS5_PS8_PS3_,comdat
	.globl	_ZN9rocsparseL35bsr2csr_block_dim_equals_one_kernelILj1024E21rocsparse_complex_numIdEilEEvT2_S3_21rocsparse_index_base_PKT0_PKT1_PKS3_S4_PS5_PS8_PS3_ ; -- Begin function _ZN9rocsparseL35bsr2csr_block_dim_equals_one_kernelILj1024E21rocsparse_complex_numIdEilEEvT2_S3_21rocsparse_index_base_PKT0_PKT1_PKS3_S4_PS5_PS8_PS3_
	.p2align	8
	.type	_ZN9rocsparseL35bsr2csr_block_dim_equals_one_kernelILj1024E21rocsparse_complex_numIdEilEEvT2_S3_21rocsparse_index_base_PKT0_PKT1_PKS3_S4_PS5_PS8_PS3_,@function
_ZN9rocsparseL35bsr2csr_block_dim_equals_one_kernelILj1024E21rocsparse_complex_numIdEilEEvT2_S3_21rocsparse_index_base_PKT0_PKT1_PKS3_S4_PS5_PS8_PS3_: ; @_ZN9rocsparseL35bsr2csr_block_dim_equals_one_kernelILj1024E21rocsparse_complex_numIdEilEEvT2_S3_21rocsparse_index_base_PKT0_PKT1_PKS3_S4_PS5_PS8_PS3_
; %bb.0:
	s_clause 0x6
	s_load_dwordx2 s[0:1], s[4:5], 0x0
	s_load_dword s16, s[4:5], 0x10
	s_load_dwordx4 s[8:11], s[4:5], 0x18
	s_load_dwordx2 s[2:3], s[4:5], 0x28
	s_load_dwordx2 s[12:13], s[4:5], 0x48
	s_load_dword s17, s[4:5], 0x30
	s_load_dwordx2 s[14:15], s[4:5], 0x38
	v_lshl_or_b32 v0, s6, 10, v0
	v_mov_b32_e32 v1, 0
	s_mov_b32 s18, exec_lo
	s_waitcnt lgkmcnt(0)
	v_cmpx_gt_i64_e64 s[0:1], v[0:1]
	s_cbranch_execz .LBB286_6
; %bb.1:
	s_load_dwordx2 s[6:7], s[4:5], 0x40
	s_mov_b32 s19, exec_lo
                                        ; implicit-def: $sgpr20
	v_cmpx_ne_u32_e32 0, v0
	s_xor_b32 s19, exec_lo, s19
; %bb.2:
	s_sub_i32 s20, s17, s16
; %bb.3:
	s_or_saveexec_b32 s19, s19
	v_mov_b32_e32 v2, s20
	s_xor_b32 exec_lo, exec_lo, s19
	s_cbranch_execz .LBB286_5
; %bb.4:
	s_load_dword s20, s[10:11], 0x0
	s_sub_i32 s21, s17, s16
	v_mov_b32_e32 v3, 0
	v_mov_b32_e32 v2, s21
	s_waitcnt lgkmcnt(0)
	s_add_i32 s20, s21, s20
	v_mov_b32_e32 v4, s20
	global_store_dword v3, v4, s[6:7]
.LBB286_5:
	s_or_b32 exec_lo, exec_lo, s19
	v_lshlrev_b64 v[3:4], 2, v[0:1]
	v_add_co_u32 v5, vcc_lo, s10, v3
	v_add_co_ci_u32_e64 v6, null, s11, v4, vcc_lo
	global_load_dword v5, v[5:6], off offset:4
	s_waitcnt vmcnt(0)
	v_add_nc_u32_e32 v5, v2, v5
	s_waitcnt lgkmcnt(0)
	v_add_co_u32 v2, vcc_lo, s6, v3
	v_add_co_ci_u32_e64 v3, null, s7, v4, vcc_lo
	global_store_dword v[2:3], v5, off offset:4
.LBB286_6:
	s_or_b32 exec_lo, exec_lo, s18
	s_lshl_b64 s[0:1], s[0:1], 2
	s_add_u32 s0, s10, s0
	s_addc_u32 s1, s11, s1
	s_clause 0x1
	s_load_dword s0, s[0:1], 0x0
	s_load_dword s1, s[10:11], 0x0
	s_waitcnt lgkmcnt(0)
	s_sub_i32 s6, s0, s1
	s_mov_b32 s0, exec_lo
	s_ashr_i32 s7, s6, 31
	v_cmpx_gt_i64_e64 s[6:7], v[0:1]
	s_cbranch_execz .LBB286_9
; %bb.7:
	s_load_dword s0, s[4:5], 0x50
	v_lshlrev_b64 v[2:3], 4, v[0:1]
	v_lshlrev_b64 v[4:5], 3, v[0:1]
	s_sub_u32 s18, s17, s16
	s_mov_b32 s5, 0
	s_subb_u32 s19, 0, 0
	s_waitcnt lgkmcnt(0)
	s_lshl_b32 s4, s0, 10
	s_lshl_b64 s[10:11], s[4:5], 4
	s_lshl_b64 s[16:17], s[4:5], 3
	s_inst_prefetch 0x1
	.p2align	6
.LBB286_8:                              ; =>This Inner Loop Header: Depth=1
	v_add_co_u32 v6, vcc_lo, s2, v4
	v_add_co_ci_u32_e64 v7, null, s3, v5, vcc_lo
	v_add_co_u32 v8, vcc_lo, s8, v2
	v_add_co_ci_u32_e64 v9, null, s9, v3, vcc_lo
	global_load_dwordx2 v[10:11], v[6:7], off
	global_load_dwordx4 v[6:9], v[8:9], off
	v_add_co_u32 v12, vcc_lo, s12, v4
	v_add_co_ci_u32_e64 v13, null, s13, v5, vcc_lo
	v_add_co_u32 v14, vcc_lo, s14, v2
	v_add_co_ci_u32_e64 v15, null, s15, v3, vcc_lo
	;; [unrolled: 2-line block ×4, first 2 shown]
	v_cmp_le_i64_e64 s0, s[6:7], v[0:1]
	v_add_co_u32 v4, vcc_lo, v4, s16
	v_add_co_ci_u32_e64 v5, null, s17, v5, vcc_lo
	s_or_b32 s5, s0, s5
	s_waitcnt vmcnt(1)
	v_add_co_u32 v10, s1, s18, v10
	v_add_co_ci_u32_e64 v11, null, s19, v11, s1
	s_waitcnt vmcnt(0)
	global_store_dwordx4 v[14:15], v[6:9], off
	global_store_dwordx2 v[12:13], v[10:11], off
	s_andn2_b32 exec_lo, exec_lo, s5
	s_cbranch_execnz .LBB286_8
.LBB286_9:
	s_inst_prefetch 0x2
	s_endpgm
	.section	.rodata,"a",@progbits
	.p2align	6, 0x0
	.amdhsa_kernel _ZN9rocsparseL35bsr2csr_block_dim_equals_one_kernelILj1024E21rocsparse_complex_numIdEilEEvT2_S3_21rocsparse_index_base_PKT0_PKT1_PKS3_S4_PS5_PS8_PS3_
		.amdhsa_group_segment_fixed_size 0
		.amdhsa_private_segment_fixed_size 0
		.amdhsa_kernarg_size 336
		.amdhsa_user_sgpr_count 6
		.amdhsa_user_sgpr_private_segment_buffer 1
		.amdhsa_user_sgpr_dispatch_ptr 0
		.amdhsa_user_sgpr_queue_ptr 0
		.amdhsa_user_sgpr_kernarg_segment_ptr 1
		.amdhsa_user_sgpr_dispatch_id 0
		.amdhsa_user_sgpr_flat_scratch_init 0
		.amdhsa_user_sgpr_private_segment_size 0
		.amdhsa_wavefront_size32 1
		.amdhsa_uses_dynamic_stack 0
		.amdhsa_system_sgpr_private_segment_wavefront_offset 0
		.amdhsa_system_sgpr_workgroup_id_x 1
		.amdhsa_system_sgpr_workgroup_id_y 0
		.amdhsa_system_sgpr_workgroup_id_z 0
		.amdhsa_system_sgpr_workgroup_info 0
		.amdhsa_system_vgpr_workitem_id 0
		.amdhsa_next_free_vgpr 16
		.amdhsa_next_free_sgpr 22
		.amdhsa_reserve_vcc 1
		.amdhsa_reserve_flat_scratch 0
		.amdhsa_float_round_mode_32 0
		.amdhsa_float_round_mode_16_64 0
		.amdhsa_float_denorm_mode_32 3
		.amdhsa_float_denorm_mode_16_64 3
		.amdhsa_dx10_clamp 1
		.amdhsa_ieee_mode 1
		.amdhsa_fp16_overflow 0
		.amdhsa_workgroup_processor_mode 1
		.amdhsa_memory_ordered 1
		.amdhsa_forward_progress 1
		.amdhsa_shared_vgpr_count 0
		.amdhsa_exception_fp_ieee_invalid_op 0
		.amdhsa_exception_fp_denorm_src 0
		.amdhsa_exception_fp_ieee_div_zero 0
		.amdhsa_exception_fp_ieee_overflow 0
		.amdhsa_exception_fp_ieee_underflow 0
		.amdhsa_exception_fp_ieee_inexact 0
		.amdhsa_exception_int_div_zero 0
	.end_amdhsa_kernel
	.section	.text._ZN9rocsparseL35bsr2csr_block_dim_equals_one_kernelILj1024E21rocsparse_complex_numIdEilEEvT2_S3_21rocsparse_index_base_PKT0_PKT1_PKS3_S4_PS5_PS8_PS3_,"axG",@progbits,_ZN9rocsparseL35bsr2csr_block_dim_equals_one_kernelILj1024E21rocsparse_complex_numIdEilEEvT2_S3_21rocsparse_index_base_PKT0_PKT1_PKS3_S4_PS5_PS8_PS3_,comdat
.Lfunc_end286:
	.size	_ZN9rocsparseL35bsr2csr_block_dim_equals_one_kernelILj1024E21rocsparse_complex_numIdEilEEvT2_S3_21rocsparse_index_base_PKT0_PKT1_PKS3_S4_PS5_PS8_PS3_, .Lfunc_end286-_ZN9rocsparseL35bsr2csr_block_dim_equals_one_kernelILj1024E21rocsparse_complex_numIdEilEEvT2_S3_21rocsparse_index_base_PKT0_PKT1_PKS3_S4_PS5_PS8_PS3_
                                        ; -- End function
	.set _ZN9rocsparseL35bsr2csr_block_dim_equals_one_kernelILj1024E21rocsparse_complex_numIdEilEEvT2_S3_21rocsparse_index_base_PKT0_PKT1_PKS3_S4_PS5_PS8_PS3_.num_vgpr, 16
	.set _ZN9rocsparseL35bsr2csr_block_dim_equals_one_kernelILj1024E21rocsparse_complex_numIdEilEEvT2_S3_21rocsparse_index_base_PKT0_PKT1_PKS3_S4_PS5_PS8_PS3_.num_agpr, 0
	.set _ZN9rocsparseL35bsr2csr_block_dim_equals_one_kernelILj1024E21rocsparse_complex_numIdEilEEvT2_S3_21rocsparse_index_base_PKT0_PKT1_PKS3_S4_PS5_PS8_PS3_.numbered_sgpr, 22
	.set _ZN9rocsparseL35bsr2csr_block_dim_equals_one_kernelILj1024E21rocsparse_complex_numIdEilEEvT2_S3_21rocsparse_index_base_PKT0_PKT1_PKS3_S4_PS5_PS8_PS3_.num_named_barrier, 0
	.set _ZN9rocsparseL35bsr2csr_block_dim_equals_one_kernelILj1024E21rocsparse_complex_numIdEilEEvT2_S3_21rocsparse_index_base_PKT0_PKT1_PKS3_S4_PS5_PS8_PS3_.private_seg_size, 0
	.set _ZN9rocsparseL35bsr2csr_block_dim_equals_one_kernelILj1024E21rocsparse_complex_numIdEilEEvT2_S3_21rocsparse_index_base_PKT0_PKT1_PKS3_S4_PS5_PS8_PS3_.uses_vcc, 1
	.set _ZN9rocsparseL35bsr2csr_block_dim_equals_one_kernelILj1024E21rocsparse_complex_numIdEilEEvT2_S3_21rocsparse_index_base_PKT0_PKT1_PKS3_S4_PS5_PS8_PS3_.uses_flat_scratch, 0
	.set _ZN9rocsparseL35bsr2csr_block_dim_equals_one_kernelILj1024E21rocsparse_complex_numIdEilEEvT2_S3_21rocsparse_index_base_PKT0_PKT1_PKS3_S4_PS5_PS8_PS3_.has_dyn_sized_stack, 0
	.set _ZN9rocsparseL35bsr2csr_block_dim_equals_one_kernelILj1024E21rocsparse_complex_numIdEilEEvT2_S3_21rocsparse_index_base_PKT0_PKT1_PKS3_S4_PS5_PS8_PS3_.has_recursion, 0
	.set _ZN9rocsparseL35bsr2csr_block_dim_equals_one_kernelILj1024E21rocsparse_complex_numIdEilEEvT2_S3_21rocsparse_index_base_PKT0_PKT1_PKS3_S4_PS5_PS8_PS3_.has_indirect_call, 0
	.section	.AMDGPU.csdata,"",@progbits
; Kernel info:
; codeLenInByte = 580
; TotalNumSgprs: 24
; NumVgprs: 16
; ScratchSize: 0
; MemoryBound: 0
; FloatMode: 240
; IeeeMode: 1
; LDSByteSize: 0 bytes/workgroup (compile time only)
; SGPRBlocks: 0
; VGPRBlocks: 1
; NumSGPRsForWavesPerEU: 24
; NumVGPRsForWavesPerEU: 16
; Occupancy: 16
; WaveLimiterHint : 0
; COMPUTE_PGM_RSRC2:SCRATCH_EN: 0
; COMPUTE_PGM_RSRC2:USER_SGPR: 6
; COMPUTE_PGM_RSRC2:TRAP_HANDLER: 0
; COMPUTE_PGM_RSRC2:TGID_X_EN: 1
; COMPUTE_PGM_RSRC2:TGID_Y_EN: 0
; COMPUTE_PGM_RSRC2:TGID_Z_EN: 0
; COMPUTE_PGM_RSRC2:TIDIG_COMP_CNT: 0
	.section	.text._ZN9rocsparseL32bsr2csr_block_per_row_2_7_kernelILj256ELj2E21rocsparse_complex_numIdEilEEv20rocsparse_direction_T3_S4_21rocsparse_index_base_PKT1_PKT2_PKS4_S4_S5_PS6_PS9_PS4_,"axG",@progbits,_ZN9rocsparseL32bsr2csr_block_per_row_2_7_kernelILj256ELj2E21rocsparse_complex_numIdEilEEv20rocsparse_direction_T3_S4_21rocsparse_index_base_PKT1_PKT2_PKS4_S4_S5_PS6_PS9_PS4_,comdat
	.globl	_ZN9rocsparseL32bsr2csr_block_per_row_2_7_kernelILj256ELj2E21rocsparse_complex_numIdEilEEv20rocsparse_direction_T3_S4_21rocsparse_index_base_PKT1_PKT2_PKS4_S4_S5_PS6_PS9_PS4_ ; -- Begin function _ZN9rocsparseL32bsr2csr_block_per_row_2_7_kernelILj256ELj2E21rocsparse_complex_numIdEilEEv20rocsparse_direction_T3_S4_21rocsparse_index_base_PKT1_PKT2_PKS4_S4_S5_PS6_PS9_PS4_
	.p2align	8
	.type	_ZN9rocsparseL32bsr2csr_block_per_row_2_7_kernelILj256ELj2E21rocsparse_complex_numIdEilEEv20rocsparse_direction_T3_S4_21rocsparse_index_base_PKT1_PKT2_PKS4_S4_S5_PS6_PS9_PS4_,@function
_ZN9rocsparseL32bsr2csr_block_per_row_2_7_kernelILj256ELj2E21rocsparse_complex_numIdEilEEv20rocsparse_direction_T3_S4_21rocsparse_index_base_PKT1_PKT2_PKS4_S4_S5_PS6_PS9_PS4_: ; @_ZN9rocsparseL32bsr2csr_block_per_row_2_7_kernelILj256ELj2E21rocsparse_complex_numIdEilEEv20rocsparse_direction_T3_S4_21rocsparse_index_base_PKT1_PKT2_PKS4_S4_S5_PS6_PS9_PS4_
; %bb.0:
	s_load_dwordx2 s[0:1], s[4:5], 0x28
	s_mov_b32 s7, 0
	s_clause 0x1
	s_load_dword s12, s[4:5], 0x40
	s_load_dwordx2 s[2:3], s[4:5], 0x50
	s_lshl_b64 s[8:9], s[6:7], 2
	v_or_b32_e32 v1, s6, v0
	s_waitcnt lgkmcnt(0)
	s_add_u32 s0, s0, s8
	s_addc_u32 s1, s1, s9
	s_mov_b32 s8, exec_lo
	s_load_dwordx2 s[0:1], s[0:1], 0x0
	v_cmpx_eq_u32_e32 0, v1
	s_cbranch_execz .LBB287_2
; %bb.1:
	v_mov_b32_e32 v1, 0
	v_mov_b32_e32 v2, s12
	global_store_dword v1, v2, s[2:3]
.LBB287_2:
	s_or_b32 exec_lo, exec_lo, s8
	s_load_dword s13, s[4:5], 0x18
	v_and_b32_e32 v8, 1, v0
	v_lshrrev_b32_e32 v2, 1, v0
	s_lshl_b64 s[6:7], s[6:7], 3
	v_lshlrev_b32_e32 v4, 2, v8
	s_waitcnt lgkmcnt(0)
	s_sub_i32 s8, s0, s13
	s_sub_i32 s14, s1, s13
	s_lshl_b32 s9, s8, 2
	s_sub_i32 s1, s14, s8
	v_add_nc_u32_e32 v0, s8, v2
	s_lshl_b32 s1, s1, 1
	v_mul_lo_u32 v1, s1, v8
	s_add_i32 s1, s1, s12
	s_add_u32 s2, s2, s6
	s_addc_u32 s3, s3, s7
	v_add3_u32 v3, s1, s9, v1
	s_mov_b32 s1, exec_lo
	global_store_dword v4, v3, s[2:3] offset:4
	v_cmpx_gt_i32_e64 s14, v0
	s_cbranch_execz .LBB287_5
; %bb.3:
	s_clause 0x4
	s_load_dwordx2 s[6:7], s[4:5], 0x30
	s_load_dwordx2 s[8:9], s[4:5], 0x48
	s_load_dword s1, s[4:5], 0x0
	s_load_dwordx2 s[10:11], s[4:5], 0x20
	s_load_dwordx2 s[4:5], s[4:5], 0x58
	v_lshlrev_b32_e32 v2, 1, v2
	v_lshlrev_b32_e32 v4, 5, v8
	v_mov_b32_e32 v3, 0
	v_lshlrev_b32_e32 v6, 2, v0
	s_mov_b32 s3, 0
	s_waitcnt lgkmcnt(0)
	s_cmp_eq_u32 s1, 0
	s_cselect_b32 vcc_lo, -1, 0
	s_lshl_b32 s0, s0, 2
	s_lshl_b32 s1, s13, 2
	v_add3_u32 v1, v1, s0, v2
	v_add_co_u32 v9, s0, s10, v4
	v_add_co_ci_u32_e64 v10, null, s11, 0, s0
	v_subrev_nc_u32_e32 v4, s1, v1
.LBB287_4:                              ; =>This Inner Loop Header: Depth=1
	v_ashrrev_i32_e32 v1, 31, v0
	v_mov_b32_e32 v7, v3
	v_add_nc_u32_e32 v2, v8, v6
	v_lshlrev_b64 v[11:12], 3, v[0:1]
	v_lshlrev_b64 v[13:14], 4, v[6:7]
	;; [unrolled: 1-line block ×3, first 2 shown]
	v_add_nc_u32_e32 v0, 0x80, v0
	v_add_nc_u32_e32 v6, 0x200, v6
	v_add_co_u32 v11, s0, s6, v11
	v_add_co_ci_u32_e64 v12, null, s7, v12, s0
	v_add_co_u32 v5, s1, v9, v13
	v_add_co_u32 v1, s0, s10, v1
	global_load_dwordx2 v[19:20], v[11:12], off
	v_add_co_ci_u32_e64 v7, null, v10, v14, s1
	v_add_co_ci_u32_e64 v2, null, s11, v2, s0
	v_add_co_u32 v11, s0, v5, 16
	v_add_co_ci_u32_e64 v12, null, 0, v7, s0
	v_add_co_u32 v13, s0, v1, 32
	v_add_co_ci_u32_e64 v14, null, 0, v2, s0
	v_cndmask_b32_e32 v2, v2, v7, vcc_lo
	v_cndmask_b32_e32 v1, v1, v5, vcc_lo
	;; [unrolled: 1-line block ×4, first 2 shown]
	global_load_dwordx4 v[11:14], v[1:2], off
	global_load_dwordx4 v[15:18], v[15:16], off
	v_ashrrev_i32_e32 v5, 31, v4
	v_cmp_le_i32_e64 s0, s14, v0
	v_lshlrev_b64 v[1:2], 3, v[4:5]
	v_lshlrev_b64 v[21:22], 4, v[4:5]
	v_add_nc_u32_e32 v4, 0x100, v4
	s_or_b32 s3, s0, s3
	v_add_co_u32 v1, s1, s4, v1
	v_add_co_ci_u32_e64 v2, null, s5, v2, s1
	v_add_co_u32 v23, s1, s8, v21
	v_add_co_ci_u32_e64 v24, null, s9, v22, s1
	s_waitcnt vmcnt(2)
	v_sub_co_u32 v19, s2, v19, s13
	v_subrev_co_ci_u32_e64 v20, null, 0, v20, s2
	v_lshlrev_b64 v[19:20], 1, v[19:20]
	v_add_co_u32 v19, s2, v19, s12
	v_add_co_ci_u32_e64 v20, null, 0, v20, s2
	v_add_co_u32 v21, s1, v19, 1
	v_add_co_ci_u32_e64 v22, null, 0, v20, s1
	s_waitcnt vmcnt(1)
	global_store_dwordx4 v[23:24], v[11:14], off
	s_waitcnt vmcnt(0)
	global_store_dwordx4 v[23:24], v[15:18], off offset:16
	global_store_dwordx4 v[1:2], v[19:22], off
	s_andn2_b32 exec_lo, exec_lo, s3
	s_cbranch_execnz .LBB287_4
.LBB287_5:
	s_endpgm
	.section	.rodata,"a",@progbits
	.p2align	6, 0x0
	.amdhsa_kernel _ZN9rocsparseL32bsr2csr_block_per_row_2_7_kernelILj256ELj2E21rocsparse_complex_numIdEilEEv20rocsparse_direction_T3_S4_21rocsparse_index_base_PKT1_PKT2_PKS4_S4_S5_PS6_PS9_PS4_
		.amdhsa_group_segment_fixed_size 0
		.amdhsa_private_segment_fixed_size 0
		.amdhsa_kernarg_size 96
		.amdhsa_user_sgpr_count 6
		.amdhsa_user_sgpr_private_segment_buffer 1
		.amdhsa_user_sgpr_dispatch_ptr 0
		.amdhsa_user_sgpr_queue_ptr 0
		.amdhsa_user_sgpr_kernarg_segment_ptr 1
		.amdhsa_user_sgpr_dispatch_id 0
		.amdhsa_user_sgpr_flat_scratch_init 0
		.amdhsa_user_sgpr_private_segment_size 0
		.amdhsa_wavefront_size32 1
		.amdhsa_uses_dynamic_stack 0
		.amdhsa_system_sgpr_private_segment_wavefront_offset 0
		.amdhsa_system_sgpr_workgroup_id_x 1
		.amdhsa_system_sgpr_workgroup_id_y 0
		.amdhsa_system_sgpr_workgroup_id_z 0
		.amdhsa_system_sgpr_workgroup_info 0
		.amdhsa_system_vgpr_workitem_id 0
		.amdhsa_next_free_vgpr 25
		.amdhsa_next_free_sgpr 15
		.amdhsa_reserve_vcc 1
		.amdhsa_reserve_flat_scratch 0
		.amdhsa_float_round_mode_32 0
		.amdhsa_float_round_mode_16_64 0
		.amdhsa_float_denorm_mode_32 3
		.amdhsa_float_denorm_mode_16_64 3
		.amdhsa_dx10_clamp 1
		.amdhsa_ieee_mode 1
		.amdhsa_fp16_overflow 0
		.amdhsa_workgroup_processor_mode 1
		.amdhsa_memory_ordered 1
		.amdhsa_forward_progress 1
		.amdhsa_shared_vgpr_count 0
		.amdhsa_exception_fp_ieee_invalid_op 0
		.amdhsa_exception_fp_denorm_src 0
		.amdhsa_exception_fp_ieee_div_zero 0
		.amdhsa_exception_fp_ieee_overflow 0
		.amdhsa_exception_fp_ieee_underflow 0
		.amdhsa_exception_fp_ieee_inexact 0
		.amdhsa_exception_int_div_zero 0
	.end_amdhsa_kernel
	.section	.text._ZN9rocsparseL32bsr2csr_block_per_row_2_7_kernelILj256ELj2E21rocsparse_complex_numIdEilEEv20rocsparse_direction_T3_S4_21rocsparse_index_base_PKT1_PKT2_PKS4_S4_S5_PS6_PS9_PS4_,"axG",@progbits,_ZN9rocsparseL32bsr2csr_block_per_row_2_7_kernelILj256ELj2E21rocsparse_complex_numIdEilEEv20rocsparse_direction_T3_S4_21rocsparse_index_base_PKT1_PKT2_PKS4_S4_S5_PS6_PS9_PS4_,comdat
.Lfunc_end287:
	.size	_ZN9rocsparseL32bsr2csr_block_per_row_2_7_kernelILj256ELj2E21rocsparse_complex_numIdEilEEv20rocsparse_direction_T3_S4_21rocsparse_index_base_PKT1_PKT2_PKS4_S4_S5_PS6_PS9_PS4_, .Lfunc_end287-_ZN9rocsparseL32bsr2csr_block_per_row_2_7_kernelILj256ELj2E21rocsparse_complex_numIdEilEEv20rocsparse_direction_T3_S4_21rocsparse_index_base_PKT1_PKT2_PKS4_S4_S5_PS6_PS9_PS4_
                                        ; -- End function
	.set _ZN9rocsparseL32bsr2csr_block_per_row_2_7_kernelILj256ELj2E21rocsparse_complex_numIdEilEEv20rocsparse_direction_T3_S4_21rocsparse_index_base_PKT1_PKT2_PKS4_S4_S5_PS6_PS9_PS4_.num_vgpr, 25
	.set _ZN9rocsparseL32bsr2csr_block_per_row_2_7_kernelILj256ELj2E21rocsparse_complex_numIdEilEEv20rocsparse_direction_T3_S4_21rocsparse_index_base_PKT1_PKT2_PKS4_S4_S5_PS6_PS9_PS4_.num_agpr, 0
	.set _ZN9rocsparseL32bsr2csr_block_per_row_2_7_kernelILj256ELj2E21rocsparse_complex_numIdEilEEv20rocsparse_direction_T3_S4_21rocsparse_index_base_PKT1_PKT2_PKS4_S4_S5_PS6_PS9_PS4_.numbered_sgpr, 15
	.set _ZN9rocsparseL32bsr2csr_block_per_row_2_7_kernelILj256ELj2E21rocsparse_complex_numIdEilEEv20rocsparse_direction_T3_S4_21rocsparse_index_base_PKT1_PKT2_PKS4_S4_S5_PS6_PS9_PS4_.num_named_barrier, 0
	.set _ZN9rocsparseL32bsr2csr_block_per_row_2_7_kernelILj256ELj2E21rocsparse_complex_numIdEilEEv20rocsparse_direction_T3_S4_21rocsparse_index_base_PKT1_PKT2_PKS4_S4_S5_PS6_PS9_PS4_.private_seg_size, 0
	.set _ZN9rocsparseL32bsr2csr_block_per_row_2_7_kernelILj256ELj2E21rocsparse_complex_numIdEilEEv20rocsparse_direction_T3_S4_21rocsparse_index_base_PKT1_PKT2_PKS4_S4_S5_PS6_PS9_PS4_.uses_vcc, 1
	.set _ZN9rocsparseL32bsr2csr_block_per_row_2_7_kernelILj256ELj2E21rocsparse_complex_numIdEilEEv20rocsparse_direction_T3_S4_21rocsparse_index_base_PKT1_PKT2_PKS4_S4_S5_PS6_PS9_PS4_.uses_flat_scratch, 0
	.set _ZN9rocsparseL32bsr2csr_block_per_row_2_7_kernelILj256ELj2E21rocsparse_complex_numIdEilEEv20rocsparse_direction_T3_S4_21rocsparse_index_base_PKT1_PKT2_PKS4_S4_S5_PS6_PS9_PS4_.has_dyn_sized_stack, 0
	.set _ZN9rocsparseL32bsr2csr_block_per_row_2_7_kernelILj256ELj2E21rocsparse_complex_numIdEilEEv20rocsparse_direction_T3_S4_21rocsparse_index_base_PKT1_PKT2_PKS4_S4_S5_PS6_PS9_PS4_.has_recursion, 0
	.set _ZN9rocsparseL32bsr2csr_block_per_row_2_7_kernelILj256ELj2E21rocsparse_complex_numIdEilEEv20rocsparse_direction_T3_S4_21rocsparse_index_base_PKT1_PKT2_PKS4_S4_S5_PS6_PS9_PS4_.has_indirect_call, 0
	.section	.AMDGPU.csdata,"",@progbits
; Kernel info:
; codeLenInByte = 656
; TotalNumSgprs: 17
; NumVgprs: 25
; ScratchSize: 0
; MemoryBound: 0
; FloatMode: 240
; IeeeMode: 1
; LDSByteSize: 0 bytes/workgroup (compile time only)
; SGPRBlocks: 0
; VGPRBlocks: 3
; NumSGPRsForWavesPerEU: 17
; NumVGPRsForWavesPerEU: 25
; Occupancy: 16
; WaveLimiterHint : 0
; COMPUTE_PGM_RSRC2:SCRATCH_EN: 0
; COMPUTE_PGM_RSRC2:USER_SGPR: 6
; COMPUTE_PGM_RSRC2:TRAP_HANDLER: 0
; COMPUTE_PGM_RSRC2:TGID_X_EN: 1
; COMPUTE_PGM_RSRC2:TGID_Y_EN: 0
; COMPUTE_PGM_RSRC2:TGID_Z_EN: 0
; COMPUTE_PGM_RSRC2:TIDIG_COMP_CNT: 0
	.section	.text._ZN9rocsparseL32bsr2csr_block_per_row_2_7_kernelILj256ELj3E21rocsparse_complex_numIdEilEEv20rocsparse_direction_T3_S4_21rocsparse_index_base_PKT1_PKT2_PKS4_S4_S5_PS6_PS9_PS4_,"axG",@progbits,_ZN9rocsparseL32bsr2csr_block_per_row_2_7_kernelILj256ELj3E21rocsparse_complex_numIdEilEEv20rocsparse_direction_T3_S4_21rocsparse_index_base_PKT1_PKT2_PKS4_S4_S5_PS6_PS9_PS4_,comdat
	.globl	_ZN9rocsparseL32bsr2csr_block_per_row_2_7_kernelILj256ELj3E21rocsparse_complex_numIdEilEEv20rocsparse_direction_T3_S4_21rocsparse_index_base_PKT1_PKT2_PKS4_S4_S5_PS6_PS9_PS4_ ; -- Begin function _ZN9rocsparseL32bsr2csr_block_per_row_2_7_kernelILj256ELj3E21rocsparse_complex_numIdEilEEv20rocsparse_direction_T3_S4_21rocsparse_index_base_PKT1_PKT2_PKS4_S4_S5_PS6_PS9_PS4_
	.p2align	8
	.type	_ZN9rocsparseL32bsr2csr_block_per_row_2_7_kernelILj256ELj3E21rocsparse_complex_numIdEilEEv20rocsparse_direction_T3_S4_21rocsparse_index_base_PKT1_PKT2_PKS4_S4_S5_PS6_PS9_PS4_,@function
_ZN9rocsparseL32bsr2csr_block_per_row_2_7_kernelILj256ELj3E21rocsparse_complex_numIdEilEEv20rocsparse_direction_T3_S4_21rocsparse_index_base_PKT1_PKT2_PKS4_S4_S5_PS6_PS9_PS4_: ; @_ZN9rocsparseL32bsr2csr_block_per_row_2_7_kernelILj256ELj3E21rocsparse_complex_numIdEilEEv20rocsparse_direction_T3_S4_21rocsparse_index_base_PKT1_PKT2_PKS4_S4_S5_PS6_PS9_PS4_
; %bb.0:
	s_clause 0x2
	s_load_dwordx2 s[2:3], s[4:5], 0x28
	s_load_dword s8, s[4:5], 0x40
	s_load_dwordx2 s[0:1], s[4:5], 0x50
	s_mov_b32 s7, 0
	v_or_b32_e32 v1, s6, v0
	s_lshl_b64 s[10:11], s[6:7], 2
	s_mov_b32 s7, exec_lo
	s_waitcnt lgkmcnt(0)
	s_add_u32 s2, s2, s10
	s_addc_u32 s3, s3, s11
	v_cmpx_eq_u32_e32 0, v1
	s_cbranch_execz .LBB288_2
; %bb.1:
	v_mov_b32_e32 v1, 0
	v_mov_b32_e32 v2, s8
	global_store_dword v1, v2, s[0:1]
.LBB288_2:
	s_or_b32 exec_lo, exec_lo, s7
	v_and_b32_e32 v1, 3, v0
	s_mov_b32 s7, exec_lo
	v_cmpx_ne_u32_e32 3, v1
	s_cbranch_execz .LBB288_6
; %bb.3:
	s_load_dwordx2 s[2:3], s[2:3], 0x0
	s_load_dword s12, s[4:5], 0x18
	v_lshrrev_b32_e32 v2, 2, v0
	s_mul_hi_u32 s10, s6, 12
	s_mul_i32 s6, s6, 12
	v_lshlrev_b32_e32 v5, 2, v1
	s_waitcnt lgkmcnt(0)
	s_sub_i32 s7, s2, s12
	s_sub_i32 s3, s3, s12
	v_add_nc_u32_e32 v0, s7, v2
	s_sub_i32 s9, s3, s7
	s_mul_i32 s11, s7, 9
	s_mul_i32 s9, s9, 3
	v_mul_lo_u32 v4, s9, v1
	s_add_i32 s9, s9, s8
	v_cmp_gt_i32_e32 vcc_lo, s3, v0
	s_add_u32 s0, s0, s6
	s_addc_u32 s1, s1, s10
	v_add3_u32 v3, s9, s11, v4
	global_store_dword v5, v3, s[0:1] offset:4
	s_and_b32 exec_lo, exec_lo, vcc_lo
	s_cbranch_execz .LBB288_6
; %bb.4:
	s_clause 0x4
	s_load_dwordx2 s[0:1], s[4:5], 0x20
	s_load_dwordx2 s[6:7], s[4:5], 0x30
	;; [unrolled: 1-line block ×3, first 2 shown]
	s_load_dword s9, s[4:5], 0x0
	s_load_dwordx2 s[4:5], s[4:5], 0x58
	v_lshlrev_b32_e32 v5, 4, v1
	v_mul_u32_u24_e32 v6, 3, v2
	s_mul_i32 s2, s2, 9
	v_lshlrev_b32_e32 v1, 5, v1
	s_mul_i32 s13, s12, 9
	v_mov_b32_e32 v3, 0
	v_add3_u32 v4, v4, s2, v6
	v_lshl_add_u32 v2, v0, 3, v0
	v_subrev_nc_u32_e32 v4, s13, v4
	s_waitcnt lgkmcnt(0)
	v_add_co_u32 v6, s0, s0, v5
	v_add_co_ci_u32_e64 v7, null, s1, 0, s0
	s_cmp_eq_u32 s9, 0
	v_add_co_u32 v8, vcc_lo, v6, v1
	v_add_co_ci_u32_e64 v9, null, 0, v7, vcc_lo
	s_mov_b32 s9, 0
	s_cselect_b32 vcc_lo, -1, 0
	s_mov_b32 s13, s9
.LBB288_5:                              ; =>This Inner Loop Header: Depth=1
	v_ashrrev_i32_e32 v1, 31, v0
	v_lshlrev_b64 v[10:11], 4, v[2:3]
	v_add_nc_u32_e32 v2, 0x240, v2
	v_lshlrev_b64 v[12:13], 3, v[0:1]
	v_add_nc_u32_e32 v0, 64, v0
	v_add_co_u32 v5, s1, v8, v10
	v_add_co_u32 v1, s0, v6, v10
	;; [unrolled: 1-line block ×3, first 2 shown]
	v_add_co_ci_u32_e64 v13, null, s7, v13, s2
	v_add_co_ci_u32_e64 v10, null, v9, v11, s1
	;; [unrolled: 1-line block ×3, first 2 shown]
	global_load_dwordx2 v[22:23], v[12:13], off
	v_add_co_u32 v12, s0, v5, 16
	v_add_co_ci_u32_e64 v13, null, 0, v10, s0
	v_add_co_u32 v14, s0, v1, 48
	v_add_co_ci_u32_e64 v15, null, 0, v11, s0
	;; [unrolled: 2-line block ×4, first 2 shown]
	v_cndmask_b32_e32 v11, v11, v10, vcc_lo
	v_cndmask_b32_e32 v10, v1, v5, vcc_lo
	;; [unrolled: 1-line block ×6, first 2 shown]
	global_load_dwordx4 v[10:13], v[10:11], off
	global_load_dwordx4 v[14:17], v[14:15], off
	;; [unrolled: 1-line block ×3, first 2 shown]
	v_ashrrev_i32_e32 v5, 31, v4
	v_cmp_le_i32_e64 s0, s3, v0
	v_lshlrev_b64 v[24:25], 3, v[4:5]
	v_lshlrev_b64 v[26:27], 4, v[4:5]
	v_add_nc_u32_e32 v4, 0xc0, v4
	s_or_b32 s13, s0, s13
	v_add_co_u32 v28, s1, s4, v24
	v_add_co_ci_u32_e64 v29, null, s5, v25, s1
	v_add_co_u32 v26, s1, s10, v26
	v_add_co_ci_u32_e64 v27, null, s11, v27, s1
	s_waitcnt vmcnt(3)
	v_sub_co_u32 v1, s2, v22, s12
	v_subrev_co_ci_u32_e64 v5, null, 0, v23, s2
	v_mad_u64_u32 v[22:23], null, v1, 3, s[8:9]
	v_mov_b32_e32 v1, v23
	v_add_co_u32 v30, s0, v22, 2
	v_mad_u64_u32 v[23:24], null, v5, 3, v[1:2]
	v_add_co_u32 v24, s1, v22, 1
	v_add_co_ci_u32_e64 v25, null, 0, v23, s1
	v_add_co_ci_u32_e64 v31, null, 0, v23, s0
	s_waitcnt vmcnt(2)
	global_store_dwordx4 v[26:27], v[10:13], off
	s_waitcnt vmcnt(1)
	global_store_dwordx4 v[26:27], v[14:17], off offset:16
	s_waitcnt vmcnt(0)
	global_store_dwordx4 v[26:27], v[18:21], off offset:32
	global_store_dwordx4 v[28:29], v[22:25], off
	global_store_dwordx2 v[28:29], v[30:31], off offset:16
	s_andn2_b32 exec_lo, exec_lo, s13
	s_cbranch_execnz .LBB288_5
.LBB288_6:
	s_endpgm
	.section	.rodata,"a",@progbits
	.p2align	6, 0x0
	.amdhsa_kernel _ZN9rocsparseL32bsr2csr_block_per_row_2_7_kernelILj256ELj3E21rocsparse_complex_numIdEilEEv20rocsparse_direction_T3_S4_21rocsparse_index_base_PKT1_PKT2_PKS4_S4_S5_PS6_PS9_PS4_
		.amdhsa_group_segment_fixed_size 0
		.amdhsa_private_segment_fixed_size 0
		.amdhsa_kernarg_size 96
		.amdhsa_user_sgpr_count 6
		.amdhsa_user_sgpr_private_segment_buffer 1
		.amdhsa_user_sgpr_dispatch_ptr 0
		.amdhsa_user_sgpr_queue_ptr 0
		.amdhsa_user_sgpr_kernarg_segment_ptr 1
		.amdhsa_user_sgpr_dispatch_id 0
		.amdhsa_user_sgpr_flat_scratch_init 0
		.amdhsa_user_sgpr_private_segment_size 0
		.amdhsa_wavefront_size32 1
		.amdhsa_uses_dynamic_stack 0
		.amdhsa_system_sgpr_private_segment_wavefront_offset 0
		.amdhsa_system_sgpr_workgroup_id_x 1
		.amdhsa_system_sgpr_workgroup_id_y 0
		.amdhsa_system_sgpr_workgroup_id_z 0
		.amdhsa_system_sgpr_workgroup_info 0
		.amdhsa_system_vgpr_workitem_id 0
		.amdhsa_next_free_vgpr 32
		.amdhsa_next_free_sgpr 14
		.amdhsa_reserve_vcc 1
		.amdhsa_reserve_flat_scratch 0
		.amdhsa_float_round_mode_32 0
		.amdhsa_float_round_mode_16_64 0
		.amdhsa_float_denorm_mode_32 3
		.amdhsa_float_denorm_mode_16_64 3
		.amdhsa_dx10_clamp 1
		.amdhsa_ieee_mode 1
		.amdhsa_fp16_overflow 0
		.amdhsa_workgroup_processor_mode 1
		.amdhsa_memory_ordered 1
		.amdhsa_forward_progress 1
		.amdhsa_shared_vgpr_count 0
		.amdhsa_exception_fp_ieee_invalid_op 0
		.amdhsa_exception_fp_denorm_src 0
		.amdhsa_exception_fp_ieee_div_zero 0
		.amdhsa_exception_fp_ieee_overflow 0
		.amdhsa_exception_fp_ieee_underflow 0
		.amdhsa_exception_fp_ieee_inexact 0
		.amdhsa_exception_int_div_zero 0
	.end_amdhsa_kernel
	.section	.text._ZN9rocsparseL32bsr2csr_block_per_row_2_7_kernelILj256ELj3E21rocsparse_complex_numIdEilEEv20rocsparse_direction_T3_S4_21rocsparse_index_base_PKT1_PKT2_PKS4_S4_S5_PS6_PS9_PS4_,"axG",@progbits,_ZN9rocsparseL32bsr2csr_block_per_row_2_7_kernelILj256ELj3E21rocsparse_complex_numIdEilEEv20rocsparse_direction_T3_S4_21rocsparse_index_base_PKT1_PKT2_PKS4_S4_S5_PS6_PS9_PS4_,comdat
.Lfunc_end288:
	.size	_ZN9rocsparseL32bsr2csr_block_per_row_2_7_kernelILj256ELj3E21rocsparse_complex_numIdEilEEv20rocsparse_direction_T3_S4_21rocsparse_index_base_PKT1_PKT2_PKS4_S4_S5_PS6_PS9_PS4_, .Lfunc_end288-_ZN9rocsparseL32bsr2csr_block_per_row_2_7_kernelILj256ELj3E21rocsparse_complex_numIdEilEEv20rocsparse_direction_T3_S4_21rocsparse_index_base_PKT1_PKT2_PKS4_S4_S5_PS6_PS9_PS4_
                                        ; -- End function
	.set _ZN9rocsparseL32bsr2csr_block_per_row_2_7_kernelILj256ELj3E21rocsparse_complex_numIdEilEEv20rocsparse_direction_T3_S4_21rocsparse_index_base_PKT1_PKT2_PKS4_S4_S5_PS6_PS9_PS4_.num_vgpr, 32
	.set _ZN9rocsparseL32bsr2csr_block_per_row_2_7_kernelILj256ELj3E21rocsparse_complex_numIdEilEEv20rocsparse_direction_T3_S4_21rocsparse_index_base_PKT1_PKT2_PKS4_S4_S5_PS6_PS9_PS4_.num_agpr, 0
	.set _ZN9rocsparseL32bsr2csr_block_per_row_2_7_kernelILj256ELj3E21rocsparse_complex_numIdEilEEv20rocsparse_direction_T3_S4_21rocsparse_index_base_PKT1_PKT2_PKS4_S4_S5_PS6_PS9_PS4_.numbered_sgpr, 14
	.set _ZN9rocsparseL32bsr2csr_block_per_row_2_7_kernelILj256ELj3E21rocsparse_complex_numIdEilEEv20rocsparse_direction_T3_S4_21rocsparse_index_base_PKT1_PKT2_PKS4_S4_S5_PS6_PS9_PS4_.num_named_barrier, 0
	.set _ZN9rocsparseL32bsr2csr_block_per_row_2_7_kernelILj256ELj3E21rocsparse_complex_numIdEilEEv20rocsparse_direction_T3_S4_21rocsparse_index_base_PKT1_PKT2_PKS4_S4_S5_PS6_PS9_PS4_.private_seg_size, 0
	.set _ZN9rocsparseL32bsr2csr_block_per_row_2_7_kernelILj256ELj3E21rocsparse_complex_numIdEilEEv20rocsparse_direction_T3_S4_21rocsparse_index_base_PKT1_PKT2_PKS4_S4_S5_PS6_PS9_PS4_.uses_vcc, 1
	.set _ZN9rocsparseL32bsr2csr_block_per_row_2_7_kernelILj256ELj3E21rocsparse_complex_numIdEilEEv20rocsparse_direction_T3_S4_21rocsparse_index_base_PKT1_PKT2_PKS4_S4_S5_PS6_PS9_PS4_.uses_flat_scratch, 0
	.set _ZN9rocsparseL32bsr2csr_block_per_row_2_7_kernelILj256ELj3E21rocsparse_complex_numIdEilEEv20rocsparse_direction_T3_S4_21rocsparse_index_base_PKT1_PKT2_PKS4_S4_S5_PS6_PS9_PS4_.has_dyn_sized_stack, 0
	.set _ZN9rocsparseL32bsr2csr_block_per_row_2_7_kernelILj256ELj3E21rocsparse_complex_numIdEilEEv20rocsparse_direction_T3_S4_21rocsparse_index_base_PKT1_PKT2_PKS4_S4_S5_PS6_PS9_PS4_.has_recursion, 0
	.set _ZN9rocsparseL32bsr2csr_block_per_row_2_7_kernelILj256ELj3E21rocsparse_complex_numIdEilEEv20rocsparse_direction_T3_S4_21rocsparse_index_base_PKT1_PKT2_PKS4_S4_S5_PS6_PS9_PS4_.has_indirect_call, 0
	.section	.AMDGPU.csdata,"",@progbits
; Kernel info:
; codeLenInByte = 760
; TotalNumSgprs: 16
; NumVgprs: 32
; ScratchSize: 0
; MemoryBound: 0
; FloatMode: 240
; IeeeMode: 1
; LDSByteSize: 0 bytes/workgroup (compile time only)
; SGPRBlocks: 0
; VGPRBlocks: 3
; NumSGPRsForWavesPerEU: 16
; NumVGPRsForWavesPerEU: 32
; Occupancy: 16
; WaveLimiterHint : 0
; COMPUTE_PGM_RSRC2:SCRATCH_EN: 0
; COMPUTE_PGM_RSRC2:USER_SGPR: 6
; COMPUTE_PGM_RSRC2:TRAP_HANDLER: 0
; COMPUTE_PGM_RSRC2:TGID_X_EN: 1
; COMPUTE_PGM_RSRC2:TGID_Y_EN: 0
; COMPUTE_PGM_RSRC2:TGID_Z_EN: 0
; COMPUTE_PGM_RSRC2:TIDIG_COMP_CNT: 0
	.section	.text._ZN9rocsparseL32bsr2csr_block_per_row_2_7_kernelILj256ELj4E21rocsparse_complex_numIdEilEEv20rocsparse_direction_T3_S4_21rocsparse_index_base_PKT1_PKT2_PKS4_S4_S5_PS6_PS9_PS4_,"axG",@progbits,_ZN9rocsparseL32bsr2csr_block_per_row_2_7_kernelILj256ELj4E21rocsparse_complex_numIdEilEEv20rocsparse_direction_T3_S4_21rocsparse_index_base_PKT1_PKT2_PKS4_S4_S5_PS6_PS9_PS4_,comdat
	.globl	_ZN9rocsparseL32bsr2csr_block_per_row_2_7_kernelILj256ELj4E21rocsparse_complex_numIdEilEEv20rocsparse_direction_T3_S4_21rocsparse_index_base_PKT1_PKT2_PKS4_S4_S5_PS6_PS9_PS4_ ; -- Begin function _ZN9rocsparseL32bsr2csr_block_per_row_2_7_kernelILj256ELj4E21rocsparse_complex_numIdEilEEv20rocsparse_direction_T3_S4_21rocsparse_index_base_PKT1_PKT2_PKS4_S4_S5_PS6_PS9_PS4_
	.p2align	8
	.type	_ZN9rocsparseL32bsr2csr_block_per_row_2_7_kernelILj256ELj4E21rocsparse_complex_numIdEilEEv20rocsparse_direction_T3_S4_21rocsparse_index_base_PKT1_PKT2_PKS4_S4_S5_PS6_PS9_PS4_,@function
_ZN9rocsparseL32bsr2csr_block_per_row_2_7_kernelILj256ELj4E21rocsparse_complex_numIdEilEEv20rocsparse_direction_T3_S4_21rocsparse_index_base_PKT1_PKT2_PKS4_S4_S5_PS6_PS9_PS4_: ; @_ZN9rocsparseL32bsr2csr_block_per_row_2_7_kernelILj256ELj4E21rocsparse_complex_numIdEilEEv20rocsparse_direction_T3_S4_21rocsparse_index_base_PKT1_PKT2_PKS4_S4_S5_PS6_PS9_PS4_
; %bb.0:
	s_load_dwordx2 s[0:1], s[4:5], 0x28
	s_mov_b32 s7, 0
	s_clause 0x1
	s_load_dword s10, s[4:5], 0x40
	s_load_dwordx2 s[2:3], s[4:5], 0x50
	s_lshl_b64 s[8:9], s[6:7], 2
	v_or_b32_e32 v1, s6, v0
	s_waitcnt lgkmcnt(0)
	s_add_u32 s0, s0, s8
	s_addc_u32 s1, s1, s9
	s_mov_b32 s8, exec_lo
	s_load_dwordx2 s[0:1], s[0:1], 0x0
	v_cmpx_eq_u32_e32 0, v1
	s_cbranch_execz .LBB289_2
; %bb.1:
	v_mov_b32_e32 v1, 0
	v_mov_b32_e32 v2, s10
	global_store_dword v1, v2, s[2:3]
.LBB289_2:
	s_or_b32 exec_lo, exec_lo, s8
	s_load_dword s11, s[4:5], 0x18
	v_and_b32_e32 v8, 3, v0
	v_lshrrev_b32_e32 v2, 2, v0
	s_lshl_b64 s[6:7], s[6:7], 4
	v_lshlrev_b32_e32 v4, 2, v8
	s_waitcnt lgkmcnt(0)
	s_sub_i32 s8, s0, s11
	s_sub_i32 s12, s1, s11
	s_lshl_b32 s9, s8, 4
	s_sub_i32 s1, s12, s8
	v_add_nc_u32_e32 v0, s8, v2
	s_lshl_b32 s1, s1, 2
	v_mul_lo_u32 v1, s1, v8
	s_add_i32 s1, s1, s10
	s_add_u32 s2, s2, s6
	s_addc_u32 s3, s3, s7
	v_add3_u32 v3, s1, s9, v1
	s_mov_b32 s1, exec_lo
	global_store_dword v4, v3, s[2:3] offset:4
	v_cmpx_gt_i32_e64 s12, v0
	s_cbranch_execz .LBB289_5
; %bb.3:
	s_clause 0x4
	s_load_dwordx2 s[2:3], s[4:5], 0x30
	s_load_dwordx2 s[6:7], s[4:5], 0x48
	s_load_dword s1, s[4:5], 0x0
	s_load_dwordx2 s[8:9], s[4:5], 0x20
	s_load_dwordx2 s[4:5], s[4:5], 0x58
	v_lshlrev_b32_e32 v2, 2, v2
	v_lshlrev_b32_e32 v4, 6, v8
	v_mov_b32_e32 v3, 0
	v_lshlrev_b32_e32 v6, 4, v0
	s_mov_b32 s13, 0
	s_waitcnt lgkmcnt(0)
	s_cmp_eq_u32 s1, 0
	s_cselect_b32 vcc_lo, -1, 0
	s_lshl_b32 s0, s0, 4
	s_lshl_b32 s1, s11, 4
	v_add3_u32 v1, v1, s0, v2
	v_add_co_u32 v9, s0, s8, v4
	v_add_co_ci_u32_e64 v10, null, s9, 0, s0
	v_subrev_nc_u32_e32 v4, s1, v1
.LBB289_4:                              ; =>This Inner Loop Header: Depth=1
	v_ashrrev_i32_e32 v1, 31, v0
	v_add_nc_u32_e32 v2, v8, v6
	v_mov_b32_e32 v7, v3
	v_lshlrev_b64 v[11:12], 3, v[0:1]
	v_lshlrev_b64 v[1:2], 4, v[2:3]
	;; [unrolled: 1-line block ×3, first 2 shown]
	v_add_nc_u32_e32 v0, 64, v0
	v_add_nc_u32_e32 v6, 0x400, v6
	v_add_co_u32 v11, s0, s2, v11
	v_add_co_ci_u32_e64 v12, null, s3, v12, s0
	v_add_co_u32 v5, s0, s8, v1
	v_add_co_ci_u32_e64 v7, null, s9, v2, s0
	v_add_co_u32 v13, s0, v9, v13
	v_add_co_ci_u32_e64 v14, null, v10, v14, s0
	global_load_dwordx2 v[1:2], v[11:12], off
	v_add_co_u32 v15, s0, v13, 16
	v_add_co_ci_u32_e64 v16, null, 0, v14, s0
	v_add_co_u32 v17, s0, v5, 64
	v_add_co_ci_u32_e64 v18, null, 0, v7, s0
	v_add_co_u32 v19, s0, v13, 32
	v_cndmask_b32_e32 v12, v7, v14, vcc_lo
	v_cndmask_b32_e32 v11, v5, v13, vcc_lo
	v_add_co_ci_u32_e64 v20, null, 0, v14, s0
	v_add_co_u32 v21, s0, 0x80, v5
	v_add_co_ci_u32_e64 v22, null, 0, v7, s0
	v_add_co_u32 v23, s0, v13, 48
	v_add_co_ci_u32_e64 v24, null, 0, v14, s0
	global_load_dwordx4 v[11:14], v[11:12], off
	v_add_co_u32 v5, s0, 0xc0, v5
	v_add_co_ci_u32_e64 v7, null, 0, v7, s0
	v_cndmask_b32_e32 v16, v18, v16, vcc_lo
	v_cndmask_b32_e32 v15, v17, v15, vcc_lo
	;; [unrolled: 1-line block ×6, first 2 shown]
	global_load_dwordx4 v[15:18], v[15:16], off
	global_load_dwordx4 v[19:22], v[19:20], off
	;; [unrolled: 1-line block ×3, first 2 shown]
	v_ashrrev_i32_e32 v5, 31, v4
	v_cmp_le_i32_e64 s0, s12, v0
	v_lshlrev_b64 v[27:28], 3, v[4:5]
	v_lshlrev_b64 v[29:30], 4, v[4:5]
	s_or_b32 s13, s0, s13
	v_add_nc_u32_e32 v4, 0x100, v4
	v_add_co_u32 v31, s1, s4, v27
	v_add_co_ci_u32_e64 v32, null, s5, v28, s1
	v_add_co_u32 v33, s1, s6, v29
	v_add_co_ci_u32_e64 v34, null, s7, v30, s1
	s_waitcnt vmcnt(4)
	v_sub_co_u32 v1, s0, v1, s11
	v_subrev_co_ci_u32_e64 v2, null, 0, v2, s0
	v_lshlrev_b64 v[1:2], 2, v[1:2]
	s_waitcnt vmcnt(3)
	global_store_dwordx4 v[33:34], v[11:14], off
	v_add_co_u32 v11, s0, v1, s10
	v_add_co_ci_u32_e64 v12, null, 0, v2, s0
	v_add_co_u32 v13, s0, v11, 1
	v_add_co_ci_u32_e64 v14, null, 0, v12, s0
	;; [unrolled: 2-line block ×4, first 2 shown]
	s_waitcnt vmcnt(2)
	global_store_dwordx4 v[33:34], v[15:18], off offset:16
	s_waitcnt vmcnt(1)
	global_store_dwordx4 v[33:34], v[19:22], off offset:32
	;; [unrolled: 2-line block ×3, first 2 shown]
	global_store_dwordx4 v[31:32], v[11:14], off
	global_store_dwordx4 v[31:32], v[27:30], off offset:16
	s_andn2_b32 exec_lo, exec_lo, s13
	s_cbranch_execnz .LBB289_4
.LBB289_5:
	s_endpgm
	.section	.rodata,"a",@progbits
	.p2align	6, 0x0
	.amdhsa_kernel _ZN9rocsparseL32bsr2csr_block_per_row_2_7_kernelILj256ELj4E21rocsparse_complex_numIdEilEEv20rocsparse_direction_T3_S4_21rocsparse_index_base_PKT1_PKT2_PKS4_S4_S5_PS6_PS9_PS4_
		.amdhsa_group_segment_fixed_size 0
		.amdhsa_private_segment_fixed_size 0
		.amdhsa_kernarg_size 96
		.amdhsa_user_sgpr_count 6
		.amdhsa_user_sgpr_private_segment_buffer 1
		.amdhsa_user_sgpr_dispatch_ptr 0
		.amdhsa_user_sgpr_queue_ptr 0
		.amdhsa_user_sgpr_kernarg_segment_ptr 1
		.amdhsa_user_sgpr_dispatch_id 0
		.amdhsa_user_sgpr_flat_scratch_init 0
		.amdhsa_user_sgpr_private_segment_size 0
		.amdhsa_wavefront_size32 1
		.amdhsa_uses_dynamic_stack 0
		.amdhsa_system_sgpr_private_segment_wavefront_offset 0
		.amdhsa_system_sgpr_workgroup_id_x 1
		.amdhsa_system_sgpr_workgroup_id_y 0
		.amdhsa_system_sgpr_workgroup_id_z 0
		.amdhsa_system_sgpr_workgroup_info 0
		.amdhsa_system_vgpr_workitem_id 0
		.amdhsa_next_free_vgpr 35
		.amdhsa_next_free_sgpr 14
		.amdhsa_reserve_vcc 1
		.amdhsa_reserve_flat_scratch 0
		.amdhsa_float_round_mode_32 0
		.amdhsa_float_round_mode_16_64 0
		.amdhsa_float_denorm_mode_32 3
		.amdhsa_float_denorm_mode_16_64 3
		.amdhsa_dx10_clamp 1
		.amdhsa_ieee_mode 1
		.amdhsa_fp16_overflow 0
		.amdhsa_workgroup_processor_mode 1
		.amdhsa_memory_ordered 1
		.amdhsa_forward_progress 1
		.amdhsa_shared_vgpr_count 0
		.amdhsa_exception_fp_ieee_invalid_op 0
		.amdhsa_exception_fp_denorm_src 0
		.amdhsa_exception_fp_ieee_div_zero 0
		.amdhsa_exception_fp_ieee_overflow 0
		.amdhsa_exception_fp_ieee_underflow 0
		.amdhsa_exception_fp_ieee_inexact 0
		.amdhsa_exception_int_div_zero 0
	.end_amdhsa_kernel
	.section	.text._ZN9rocsparseL32bsr2csr_block_per_row_2_7_kernelILj256ELj4E21rocsparse_complex_numIdEilEEv20rocsparse_direction_T3_S4_21rocsparse_index_base_PKT1_PKT2_PKS4_S4_S5_PS6_PS9_PS4_,"axG",@progbits,_ZN9rocsparseL32bsr2csr_block_per_row_2_7_kernelILj256ELj4E21rocsparse_complex_numIdEilEEv20rocsparse_direction_T3_S4_21rocsparse_index_base_PKT1_PKT2_PKS4_S4_S5_PS6_PS9_PS4_,comdat
.Lfunc_end289:
	.size	_ZN9rocsparseL32bsr2csr_block_per_row_2_7_kernelILj256ELj4E21rocsparse_complex_numIdEilEEv20rocsparse_direction_T3_S4_21rocsparse_index_base_PKT1_PKT2_PKS4_S4_S5_PS6_PS9_PS4_, .Lfunc_end289-_ZN9rocsparseL32bsr2csr_block_per_row_2_7_kernelILj256ELj4E21rocsparse_complex_numIdEilEEv20rocsparse_direction_T3_S4_21rocsparse_index_base_PKT1_PKT2_PKS4_S4_S5_PS6_PS9_PS4_
                                        ; -- End function
	.set _ZN9rocsparseL32bsr2csr_block_per_row_2_7_kernelILj256ELj4E21rocsparse_complex_numIdEilEEv20rocsparse_direction_T3_S4_21rocsparse_index_base_PKT1_PKT2_PKS4_S4_S5_PS6_PS9_PS4_.num_vgpr, 35
	.set _ZN9rocsparseL32bsr2csr_block_per_row_2_7_kernelILj256ELj4E21rocsparse_complex_numIdEilEEv20rocsparse_direction_T3_S4_21rocsparse_index_base_PKT1_PKT2_PKS4_S4_S5_PS6_PS9_PS4_.num_agpr, 0
	.set _ZN9rocsparseL32bsr2csr_block_per_row_2_7_kernelILj256ELj4E21rocsparse_complex_numIdEilEEv20rocsparse_direction_T3_S4_21rocsparse_index_base_PKT1_PKT2_PKS4_S4_S5_PS6_PS9_PS4_.numbered_sgpr, 14
	.set _ZN9rocsparseL32bsr2csr_block_per_row_2_7_kernelILj256ELj4E21rocsparse_complex_numIdEilEEv20rocsparse_direction_T3_S4_21rocsparse_index_base_PKT1_PKT2_PKS4_S4_S5_PS6_PS9_PS4_.num_named_barrier, 0
	.set _ZN9rocsparseL32bsr2csr_block_per_row_2_7_kernelILj256ELj4E21rocsparse_complex_numIdEilEEv20rocsparse_direction_T3_S4_21rocsparse_index_base_PKT1_PKT2_PKS4_S4_S5_PS6_PS9_PS4_.private_seg_size, 0
	.set _ZN9rocsparseL32bsr2csr_block_per_row_2_7_kernelILj256ELj4E21rocsparse_complex_numIdEilEEv20rocsparse_direction_T3_S4_21rocsparse_index_base_PKT1_PKT2_PKS4_S4_S5_PS6_PS9_PS4_.uses_vcc, 1
	.set _ZN9rocsparseL32bsr2csr_block_per_row_2_7_kernelILj256ELj4E21rocsparse_complex_numIdEilEEv20rocsparse_direction_T3_S4_21rocsparse_index_base_PKT1_PKT2_PKS4_S4_S5_PS6_PS9_PS4_.uses_flat_scratch, 0
	.set _ZN9rocsparseL32bsr2csr_block_per_row_2_7_kernelILj256ELj4E21rocsparse_complex_numIdEilEEv20rocsparse_direction_T3_S4_21rocsparse_index_base_PKT1_PKT2_PKS4_S4_S5_PS6_PS9_PS4_.has_dyn_sized_stack, 0
	.set _ZN9rocsparseL32bsr2csr_block_per_row_2_7_kernelILj256ELj4E21rocsparse_complex_numIdEilEEv20rocsparse_direction_T3_S4_21rocsparse_index_base_PKT1_PKT2_PKS4_S4_S5_PS6_PS9_PS4_.has_recursion, 0
	.set _ZN9rocsparseL32bsr2csr_block_per_row_2_7_kernelILj256ELj4E21rocsparse_complex_numIdEilEEv20rocsparse_direction_T3_S4_21rocsparse_index_base_PKT1_PKT2_PKS4_S4_S5_PS6_PS9_PS4_.has_indirect_call, 0
	.section	.AMDGPU.csdata,"",@progbits
; Kernel info:
; codeLenInByte = 820
; TotalNumSgprs: 16
; NumVgprs: 35
; ScratchSize: 0
; MemoryBound: 0
; FloatMode: 240
; IeeeMode: 1
; LDSByteSize: 0 bytes/workgroup (compile time only)
; SGPRBlocks: 0
; VGPRBlocks: 4
; NumSGPRsForWavesPerEU: 16
; NumVGPRsForWavesPerEU: 35
; Occupancy: 16
; WaveLimiterHint : 0
; COMPUTE_PGM_RSRC2:SCRATCH_EN: 0
; COMPUTE_PGM_RSRC2:USER_SGPR: 6
; COMPUTE_PGM_RSRC2:TRAP_HANDLER: 0
; COMPUTE_PGM_RSRC2:TGID_X_EN: 1
; COMPUTE_PGM_RSRC2:TGID_Y_EN: 0
; COMPUTE_PGM_RSRC2:TGID_Z_EN: 0
; COMPUTE_PGM_RSRC2:TIDIG_COMP_CNT: 0
	.section	.text._ZN9rocsparseL32bsr2csr_block_per_row_2_7_kernelILj256ELj5E21rocsparse_complex_numIdEilEEv20rocsparse_direction_T3_S4_21rocsparse_index_base_PKT1_PKT2_PKS4_S4_S5_PS6_PS9_PS4_,"axG",@progbits,_ZN9rocsparseL32bsr2csr_block_per_row_2_7_kernelILj256ELj5E21rocsparse_complex_numIdEilEEv20rocsparse_direction_T3_S4_21rocsparse_index_base_PKT1_PKT2_PKS4_S4_S5_PS6_PS9_PS4_,comdat
	.globl	_ZN9rocsparseL32bsr2csr_block_per_row_2_7_kernelILj256ELj5E21rocsparse_complex_numIdEilEEv20rocsparse_direction_T3_S4_21rocsparse_index_base_PKT1_PKT2_PKS4_S4_S5_PS6_PS9_PS4_ ; -- Begin function _ZN9rocsparseL32bsr2csr_block_per_row_2_7_kernelILj256ELj5E21rocsparse_complex_numIdEilEEv20rocsparse_direction_T3_S4_21rocsparse_index_base_PKT1_PKT2_PKS4_S4_S5_PS6_PS9_PS4_
	.p2align	8
	.type	_ZN9rocsparseL32bsr2csr_block_per_row_2_7_kernelILj256ELj5E21rocsparse_complex_numIdEilEEv20rocsparse_direction_T3_S4_21rocsparse_index_base_PKT1_PKT2_PKS4_S4_S5_PS6_PS9_PS4_,@function
_ZN9rocsparseL32bsr2csr_block_per_row_2_7_kernelILj256ELj5E21rocsparse_complex_numIdEilEEv20rocsparse_direction_T3_S4_21rocsparse_index_base_PKT1_PKT2_PKS4_S4_S5_PS6_PS9_PS4_: ; @_ZN9rocsparseL32bsr2csr_block_per_row_2_7_kernelILj256ELj5E21rocsparse_complex_numIdEilEEv20rocsparse_direction_T3_S4_21rocsparse_index_base_PKT1_PKT2_PKS4_S4_S5_PS6_PS9_PS4_
; %bb.0:
	s_clause 0x2
	s_load_dwordx2 s[2:3], s[4:5], 0x28
	s_load_dword s8, s[4:5], 0x40
	s_load_dwordx2 s[0:1], s[4:5], 0x50
	s_mov_b32 s7, 0
	v_or_b32_e32 v1, s6, v0
	s_lshl_b64 s[10:11], s[6:7], 2
	s_mov_b32 s7, exec_lo
	s_waitcnt lgkmcnt(0)
	s_add_u32 s2, s2, s10
	s_addc_u32 s3, s3, s11
	v_cmpx_eq_u32_e32 0, v1
	s_cbranch_execz .LBB290_2
; %bb.1:
	v_mov_b32_e32 v1, 0
	v_mov_b32_e32 v2, s8
	global_store_dword v1, v2, s[0:1]
.LBB290_2:
	s_or_b32 exec_lo, exec_lo, s7
	v_and_b32_e32 v1, 7, v0
	s_mov_b32 s7, exec_lo
	v_cmpx_gt_u32_e32 5, v1
	s_cbranch_execz .LBB290_6
; %bb.3:
	s_load_dwordx2 s[2:3], s[2:3], 0x0
	s_load_dword s12, s[4:5], 0x18
	v_lshrrev_b32_e32 v2, 3, v0
	s_mul_hi_u32 s9, s6, 20
	s_mul_i32 s6, s6, 20
	v_lshlrev_b32_e32 v5, 2, v1
	s_waitcnt lgkmcnt(0)
	s_sub_i32 s7, s2, s12
	s_sub_i32 s13, s3, s12
	v_add_nc_u32_e32 v0, s7, v2
	s_sub_i32 s3, s13, s7
	s_mul_i32 s10, s7, 25
	s_mul_i32 s3, s3, 5
	v_mul_lo_u32 v4, s3, v1
	s_add_i32 s3, s3, s8
	v_cmp_gt_i32_e32 vcc_lo, s13, v0
	s_add_u32 s0, s0, s6
	s_addc_u32 s1, s1, s9
	v_add3_u32 v3, s3, s10, v4
	global_store_dword v5, v3, s[0:1] offset:4
	s_and_b32 exec_lo, exec_lo, vcc_lo
	s_cbranch_execz .LBB290_6
; %bb.4:
	s_clause 0x4
	s_load_dwordx2 s[0:1], s[4:5], 0x20
	s_load_dwordx2 s[6:7], s[4:5], 0x30
	;; [unrolled: 1-line block ×3, first 2 shown]
	s_load_dword s3, s[4:5], 0x0
	s_load_dwordx2 s[4:5], s[4:5], 0x58
	v_lshlrev_b32_e32 v5, 4, v1
	v_mul_u32_u24_e32 v6, 5, v2
	s_mul_i32 s2, s2, 25
	v_lshlrev_b32_e32 v1, 6, v1
	v_mul_lo_u32 v2, v0, 25
	s_mul_i32 s9, s12, 25
	v_add3_u32 v4, v4, s2, v6
	v_mov_b32_e32 v3, 0
	v_subrev_nc_u32_e32 v4, s9, v4
	s_mov_b32 s9, 0
	s_mov_b32 s14, s9
	s_waitcnt lgkmcnt(0)
	v_add_co_u32 v6, s0, s0, v5
	v_add_co_ci_u32_e64 v7, null, s1, 0, s0
	s_cmp_eq_u32 s3, 0
	v_add_co_u32 v8, vcc_lo, v6, v1
	v_add_co_ci_u32_e64 v9, null, 0, v7, vcc_lo
	s_cselect_b32 vcc_lo, -1, 0
.LBB290_5:                              ; =>This Inner Loop Header: Depth=1
	v_lshlrev_b64 v[10:11], 4, v[2:3]
	v_ashrrev_i32_e32 v1, 31, v0
	v_add_nc_u32_e32 v2, 0x320, v2
	v_lshlrev_b64 v[12:13], 3, v[0:1]
	v_add_co_u32 v1, s0, v6, v10
	v_add_co_ci_u32_e64 v5, null, v7, v11, s0
	v_add_co_u32 v14, s0, v8, v10
	v_add_co_ci_u32_e64 v15, null, v9, v11, s0
	v_add_co_u32 v10, s0, s6, v12
	v_add_co_ci_u32_e64 v11, null, s7, v13, s0
	v_cndmask_b32_e32 v13, v5, v15, vcc_lo
	v_cndmask_b32_e32 v12, v1, v14, vcc_lo
	global_load_dwordx2 v[30:31], v[10:11], off
	global_load_dwordx4 v[10:13], v[12:13], off
	v_add_co_u32 v16, s0, v14, 16
	v_add_co_ci_u32_e64 v17, null, 0, v15, s0
	v_add_co_u32 v18, s0, 0x50, v1
	v_add_co_ci_u32_e64 v19, null, 0, v5, s0
	;; [unrolled: 2-line block ×8, first 2 shown]
	v_cndmask_b32_e32 v15, v19, v17, vcc_lo
	v_cndmask_b32_e32 v14, v18, v16, vcc_lo
	v_cndmask_b32_e32 v19, v23, v21, vcc_lo
	v_cndmask_b32_e32 v18, v22, v20, vcc_lo
	v_cndmask_b32_e32 v23, v27, v25, vcc_lo
	v_cndmask_b32_e32 v22, v26, v24, vcc_lo
	v_cndmask_b32_e32 v27, v5, v29, vcc_lo
	v_cndmask_b32_e32 v26, v1, v28, vcc_lo
	global_load_dwordx4 v[14:17], v[14:15], off
	global_load_dwordx4 v[18:21], v[18:19], off
	;; [unrolled: 1-line block ×4, first 2 shown]
	v_ashrrev_i32_e32 v5, 31, v4
	v_add_nc_u32_e32 v0, 32, v0
	v_lshlrev_b64 v[32:33], 3, v[4:5]
	v_lshlrev_b64 v[34:35], 4, v[4:5]
	v_cmp_le_i32_e64 s0, s13, v0
	v_add_nc_u32_e32 v4, 0xa0, v4
	v_add_co_u32 v32, s1, s4, v32
	v_add_co_ci_u32_e64 v33, null, s5, v33, s1
	v_add_co_u32 v34, s1, s10, v34
	v_add_co_ci_u32_e64 v35, null, s11, v35, s1
	s_or_b32 s14, s0, s14
	s_waitcnt vmcnt(5)
	v_sub_co_u32 v1, s0, v30, s12
	s_waitcnt vmcnt(4)
	global_store_dwordx4 v[34:35], v[10:13], off
	v_subrev_co_ci_u32_e64 v5, null, 0, v31, s0
	v_mad_u64_u32 v[10:11], null, v1, 5, s[8:9]
	s_waitcnt vmcnt(3)
	global_store_dwordx4 v[34:35], v[14:17], off offset:16
	s_waitcnt vmcnt(2)
	global_store_dwordx4 v[34:35], v[18:21], off offset:32
	v_mov_b32_e32 v1, v11
	v_add_co_u32 v14, s0, v10, 2
	v_add_co_u32 v16, s1, v10, 3
	v_mad_u64_u32 v[11:12], null, v5, 5, v[1:2]
	v_add_co_u32 v12, s3, v10, 1
	v_add_co_u32 v18, s2, v10, 4
	v_add_co_ci_u32_e64 v13, null, 0, v11, s3
	v_add_co_ci_u32_e64 v15, null, 0, v11, s0
	;; [unrolled: 1-line block ×4, first 2 shown]
	s_waitcnt vmcnt(1)
	global_store_dwordx4 v[34:35], v[22:25], off offset:48
	s_waitcnt vmcnt(0)
	global_store_dwordx4 v[34:35], v[26:29], off offset:64
	global_store_dwordx4 v[32:33], v[10:13], off
	global_store_dwordx4 v[32:33], v[14:17], off offset:16
	global_store_dwordx2 v[32:33], v[18:19], off offset:32
	s_andn2_b32 exec_lo, exec_lo, s14
	s_cbranch_execnz .LBB290_5
.LBB290_6:
	s_endpgm
	.section	.rodata,"a",@progbits
	.p2align	6, 0x0
	.amdhsa_kernel _ZN9rocsparseL32bsr2csr_block_per_row_2_7_kernelILj256ELj5E21rocsparse_complex_numIdEilEEv20rocsparse_direction_T3_S4_21rocsparse_index_base_PKT1_PKT2_PKS4_S4_S5_PS6_PS9_PS4_
		.amdhsa_group_segment_fixed_size 0
		.amdhsa_private_segment_fixed_size 0
		.amdhsa_kernarg_size 96
		.amdhsa_user_sgpr_count 6
		.amdhsa_user_sgpr_private_segment_buffer 1
		.amdhsa_user_sgpr_dispatch_ptr 0
		.amdhsa_user_sgpr_queue_ptr 0
		.amdhsa_user_sgpr_kernarg_segment_ptr 1
		.amdhsa_user_sgpr_dispatch_id 0
		.amdhsa_user_sgpr_flat_scratch_init 0
		.amdhsa_user_sgpr_private_segment_size 0
		.amdhsa_wavefront_size32 1
		.amdhsa_uses_dynamic_stack 0
		.amdhsa_system_sgpr_private_segment_wavefront_offset 0
		.amdhsa_system_sgpr_workgroup_id_x 1
		.amdhsa_system_sgpr_workgroup_id_y 0
		.amdhsa_system_sgpr_workgroup_id_z 0
		.amdhsa_system_sgpr_workgroup_info 0
		.amdhsa_system_vgpr_workitem_id 0
		.amdhsa_next_free_vgpr 36
		.amdhsa_next_free_sgpr 15
		.amdhsa_reserve_vcc 1
		.amdhsa_reserve_flat_scratch 0
		.amdhsa_float_round_mode_32 0
		.amdhsa_float_round_mode_16_64 0
		.amdhsa_float_denorm_mode_32 3
		.amdhsa_float_denorm_mode_16_64 3
		.amdhsa_dx10_clamp 1
		.amdhsa_ieee_mode 1
		.amdhsa_fp16_overflow 0
		.amdhsa_workgroup_processor_mode 1
		.amdhsa_memory_ordered 1
		.amdhsa_forward_progress 1
		.amdhsa_shared_vgpr_count 0
		.amdhsa_exception_fp_ieee_invalid_op 0
		.amdhsa_exception_fp_denorm_src 0
		.amdhsa_exception_fp_ieee_div_zero 0
		.amdhsa_exception_fp_ieee_overflow 0
		.amdhsa_exception_fp_ieee_underflow 0
		.amdhsa_exception_fp_ieee_inexact 0
		.amdhsa_exception_int_div_zero 0
	.end_amdhsa_kernel
	.section	.text._ZN9rocsparseL32bsr2csr_block_per_row_2_7_kernelILj256ELj5E21rocsparse_complex_numIdEilEEv20rocsparse_direction_T3_S4_21rocsparse_index_base_PKT1_PKT2_PKS4_S4_S5_PS6_PS9_PS4_,"axG",@progbits,_ZN9rocsparseL32bsr2csr_block_per_row_2_7_kernelILj256ELj5E21rocsparse_complex_numIdEilEEv20rocsparse_direction_T3_S4_21rocsparse_index_base_PKT1_PKT2_PKS4_S4_S5_PS6_PS9_PS4_,comdat
.Lfunc_end290:
	.size	_ZN9rocsparseL32bsr2csr_block_per_row_2_7_kernelILj256ELj5E21rocsparse_complex_numIdEilEEv20rocsparse_direction_T3_S4_21rocsparse_index_base_PKT1_PKT2_PKS4_S4_S5_PS6_PS9_PS4_, .Lfunc_end290-_ZN9rocsparseL32bsr2csr_block_per_row_2_7_kernelILj256ELj5E21rocsparse_complex_numIdEilEEv20rocsparse_direction_T3_S4_21rocsparse_index_base_PKT1_PKT2_PKS4_S4_S5_PS6_PS9_PS4_
                                        ; -- End function
	.set _ZN9rocsparseL32bsr2csr_block_per_row_2_7_kernelILj256ELj5E21rocsparse_complex_numIdEilEEv20rocsparse_direction_T3_S4_21rocsparse_index_base_PKT1_PKT2_PKS4_S4_S5_PS6_PS9_PS4_.num_vgpr, 36
	.set _ZN9rocsparseL32bsr2csr_block_per_row_2_7_kernelILj256ELj5E21rocsparse_complex_numIdEilEEv20rocsparse_direction_T3_S4_21rocsparse_index_base_PKT1_PKT2_PKS4_S4_S5_PS6_PS9_PS4_.num_agpr, 0
	.set _ZN9rocsparseL32bsr2csr_block_per_row_2_7_kernelILj256ELj5E21rocsparse_complex_numIdEilEEv20rocsparse_direction_T3_S4_21rocsparse_index_base_PKT1_PKT2_PKS4_S4_S5_PS6_PS9_PS4_.numbered_sgpr, 15
	.set _ZN9rocsparseL32bsr2csr_block_per_row_2_7_kernelILj256ELj5E21rocsparse_complex_numIdEilEEv20rocsparse_direction_T3_S4_21rocsparse_index_base_PKT1_PKT2_PKS4_S4_S5_PS6_PS9_PS4_.num_named_barrier, 0
	.set _ZN9rocsparseL32bsr2csr_block_per_row_2_7_kernelILj256ELj5E21rocsparse_complex_numIdEilEEv20rocsparse_direction_T3_S4_21rocsparse_index_base_PKT1_PKT2_PKS4_S4_S5_PS6_PS9_PS4_.private_seg_size, 0
	.set _ZN9rocsparseL32bsr2csr_block_per_row_2_7_kernelILj256ELj5E21rocsparse_complex_numIdEilEEv20rocsparse_direction_T3_S4_21rocsparse_index_base_PKT1_PKT2_PKS4_S4_S5_PS6_PS9_PS4_.uses_vcc, 1
	.set _ZN9rocsparseL32bsr2csr_block_per_row_2_7_kernelILj256ELj5E21rocsparse_complex_numIdEilEEv20rocsparse_direction_T3_S4_21rocsparse_index_base_PKT1_PKT2_PKS4_S4_S5_PS6_PS9_PS4_.uses_flat_scratch, 0
	.set _ZN9rocsparseL32bsr2csr_block_per_row_2_7_kernelILj256ELj5E21rocsparse_complex_numIdEilEEv20rocsparse_direction_T3_S4_21rocsparse_index_base_PKT1_PKT2_PKS4_S4_S5_PS6_PS9_PS4_.has_dyn_sized_stack, 0
	.set _ZN9rocsparseL32bsr2csr_block_per_row_2_7_kernelILj256ELj5E21rocsparse_complex_numIdEilEEv20rocsparse_direction_T3_S4_21rocsparse_index_base_PKT1_PKT2_PKS4_S4_S5_PS6_PS9_PS4_.has_recursion, 0
	.set _ZN9rocsparseL32bsr2csr_block_per_row_2_7_kernelILj256ELj5E21rocsparse_complex_numIdEilEEv20rocsparse_direction_T3_S4_21rocsparse_index_base_PKT1_PKT2_PKS4_S4_S5_PS6_PS9_PS4_.has_indirect_call, 0
	.section	.AMDGPU.csdata,"",@progbits
; Kernel info:
; codeLenInByte = 932
; TotalNumSgprs: 17
; NumVgprs: 36
; ScratchSize: 0
; MemoryBound: 0
; FloatMode: 240
; IeeeMode: 1
; LDSByteSize: 0 bytes/workgroup (compile time only)
; SGPRBlocks: 0
; VGPRBlocks: 4
; NumSGPRsForWavesPerEU: 17
; NumVGPRsForWavesPerEU: 36
; Occupancy: 16
; WaveLimiterHint : 0
; COMPUTE_PGM_RSRC2:SCRATCH_EN: 0
; COMPUTE_PGM_RSRC2:USER_SGPR: 6
; COMPUTE_PGM_RSRC2:TRAP_HANDLER: 0
; COMPUTE_PGM_RSRC2:TGID_X_EN: 1
; COMPUTE_PGM_RSRC2:TGID_Y_EN: 0
; COMPUTE_PGM_RSRC2:TGID_Z_EN: 0
; COMPUTE_PGM_RSRC2:TIDIG_COMP_CNT: 0
	.section	.text._ZN9rocsparseL32bsr2csr_block_per_row_2_7_kernelILj256ELj6E21rocsparse_complex_numIdEilEEv20rocsparse_direction_T3_S4_21rocsparse_index_base_PKT1_PKT2_PKS4_S4_S5_PS6_PS9_PS4_,"axG",@progbits,_ZN9rocsparseL32bsr2csr_block_per_row_2_7_kernelILj256ELj6E21rocsparse_complex_numIdEilEEv20rocsparse_direction_T3_S4_21rocsparse_index_base_PKT1_PKT2_PKS4_S4_S5_PS6_PS9_PS4_,comdat
	.globl	_ZN9rocsparseL32bsr2csr_block_per_row_2_7_kernelILj256ELj6E21rocsparse_complex_numIdEilEEv20rocsparse_direction_T3_S4_21rocsparse_index_base_PKT1_PKT2_PKS4_S4_S5_PS6_PS9_PS4_ ; -- Begin function _ZN9rocsparseL32bsr2csr_block_per_row_2_7_kernelILj256ELj6E21rocsparse_complex_numIdEilEEv20rocsparse_direction_T3_S4_21rocsparse_index_base_PKT1_PKT2_PKS4_S4_S5_PS6_PS9_PS4_
	.p2align	8
	.type	_ZN9rocsparseL32bsr2csr_block_per_row_2_7_kernelILj256ELj6E21rocsparse_complex_numIdEilEEv20rocsparse_direction_T3_S4_21rocsparse_index_base_PKT1_PKT2_PKS4_S4_S5_PS6_PS9_PS4_,@function
_ZN9rocsparseL32bsr2csr_block_per_row_2_7_kernelILj256ELj6E21rocsparse_complex_numIdEilEEv20rocsparse_direction_T3_S4_21rocsparse_index_base_PKT1_PKT2_PKS4_S4_S5_PS6_PS9_PS4_: ; @_ZN9rocsparseL32bsr2csr_block_per_row_2_7_kernelILj256ELj6E21rocsparse_complex_numIdEilEEv20rocsparse_direction_T3_S4_21rocsparse_index_base_PKT1_PKT2_PKS4_S4_S5_PS6_PS9_PS4_
; %bb.0:
	s_clause 0x2
	s_load_dwordx2 s[2:3], s[4:5], 0x28
	s_load_dword s8, s[4:5], 0x40
	s_load_dwordx2 s[0:1], s[4:5], 0x50
	s_mov_b32 s7, 0
	v_or_b32_e32 v1, s6, v0
	s_lshl_b64 s[10:11], s[6:7], 2
	s_mov_b32 s7, exec_lo
	s_waitcnt lgkmcnt(0)
	s_add_u32 s2, s2, s10
	s_addc_u32 s3, s3, s11
	v_cmpx_eq_u32_e32 0, v1
	s_cbranch_execz .LBB291_2
; %bb.1:
	v_mov_b32_e32 v1, 0
	v_mov_b32_e32 v2, s8
	global_store_dword v1, v2, s[0:1]
.LBB291_2:
	s_or_b32 exec_lo, exec_lo, s7
	v_and_b32_e32 v1, 7, v0
	s_mov_b32 s7, exec_lo
	v_cmpx_gt_u32_e32 6, v1
	s_cbranch_execz .LBB291_6
; %bb.3:
	s_load_dwordx2 s[2:3], s[2:3], 0x0
	s_load_dword s14, s[4:5], 0x18
	v_lshrrev_b32_e32 v2, 3, v0
	s_mul_hi_u32 s9, s6, 24
	s_mul_i32 s6, s6, 24
	v_lshlrev_b32_e32 v5, 2, v1
	s_waitcnt lgkmcnt(0)
	s_sub_i32 s7, s2, s14
	s_sub_i32 s15, s3, s14
	v_add_nc_u32_e32 v0, s7, v2
	s_sub_i32 s3, s15, s7
	s_mul_i32 s10, s7, 36
	s_mul_i32 s3, s3, 6
	v_mul_lo_u32 v4, s3, v1
	s_add_i32 s3, s3, s8
	v_cmp_gt_i32_e32 vcc_lo, s15, v0
	s_add_u32 s0, s0, s6
	s_addc_u32 s1, s1, s9
	v_add3_u32 v3, s3, s10, v4
	global_store_dword v5, v3, s[0:1] offset:4
	s_and_b32 exec_lo, exec_lo, vcc_lo
	s_cbranch_execz .LBB291_6
; %bb.4:
	s_clause 0x3
	s_load_dwordx2 s[0:1], s[4:5], 0x20
	s_load_dwordx2 s[6:7], s[4:5], 0x30
	;; [unrolled: 1-line block ×3, first 2 shown]
	s_load_dword s3, s[4:5], 0x0
	v_lshlrev_b32_e32 v3, 4, v1
	s_load_dwordx2 s[12:13], s[4:5], 0x58
	v_mul_u32_u24_e32 v6, 6, v2
	v_mov_b32_e32 v5, 0
	s_mov_b32 s9, 0
	s_mov_b32 s5, s9
	s_waitcnt lgkmcnt(0)
	v_add_co_u32 v2, s0, s0, v3
	v_add_co_ci_u32_e64 v3, null, s1, 0, s0
	s_mul_i32 s0, s2, 36
	s_cmp_eq_u32 s3, 0
	v_add3_u32 v8, v4, s0, v6
	v_mad_u64_u32 v[6:7], null, 0x50, v1, v[2:3]
	v_mul_lo_u32 v4, v0, 36
	s_mul_i32 s0, s14, 36
	s_cselect_b32 vcc_lo, -1, 0
	v_subrev_nc_u32_e32 v8, s0, v8
.LBB291_5:                              ; =>This Inner Loop Header: Depth=1
	v_ashrrev_i32_e32 v1, 31, v0
	v_lshlrev_b64 v[9:10], 4, v[4:5]
	v_add_nc_u32_e32 v4, 0x480, v4
	v_lshlrev_b64 v[11:12], 3, v[0:1]
	v_add_nc_u32_e32 v0, 32, v0
	v_add_co_u32 v1, s0, v2, v9
	v_add_co_ci_u32_e64 v13, null, v3, v10, s0
	v_add_co_u32 v14, s0, v6, v9
	v_add_co_ci_u32_e64 v15, null, v7, v10, s0
	;; [unrolled: 2-line block ×10, first 2 shown]
	v_add_co_u32 v30, s0, 0x180, v1
	v_cndmask_b32_e32 v12, v13, v15, vcc_lo
	v_cndmask_b32_e32 v11, v1, v14, vcc_lo
	v_add_co_ci_u32_e64 v31, null, 0, v13, s0
	v_add_co_u32 v32, s0, 0x50, v14
	v_add_co_ci_u32_e64 v33, null, 0, v15, s0
	v_add_co_u32 v1, s0, 0x1e0, v1
	v_add_co_ci_u32_e64 v36, null, 0, v13, s0
	global_load_dwordx2 v[34:35], v[9:10], off
	global_load_dwordx4 v[10:13], v[11:12], off
	v_cndmask_b32_e32 v15, v19, v17, vcc_lo
	v_cndmask_b32_e32 v14, v18, v16, vcc_lo
	;; [unrolled: 1-line block ×10, first 2 shown]
	global_load_dwordx4 v[14:17], v[14:15], off
	global_load_dwordx4 v[18:21], v[18:19], off
	global_load_dwordx4 v[22:25], v[22:23], off
	global_load_dwordx4 v[26:29], v[26:27], off
	global_load_dwordx4 v[30:33], v[30:31], off
	v_ashrrev_i32_e32 v9, 31, v8
	v_cmp_le_i32_e64 s0, s15, v0
	v_lshlrev_b64 v[36:37], 3, v[8:9]
	v_lshlrev_b64 v[38:39], 4, v[8:9]
	s_or_b32 s5, s0, s5
	v_add_nc_u32_e32 v8, 0xc0, v8
	v_add_co_u32 v36, s1, s12, v36
	v_add_co_ci_u32_e64 v37, null, s13, v37, s1
	v_add_co_u32 v38, s1, s10, v38
	v_add_co_ci_u32_e64 v39, null, s11, v39, s1
	s_waitcnt vmcnt(6)
	v_sub_co_u32 v1, s0, v34, s14
	s_waitcnt vmcnt(5)
	global_store_dwordx4 v[38:39], v[10:13], off
	v_subrev_co_ci_u32_e64 v34, null, 0, v35, s0
	v_mad_u64_u32 v[9:10], null, v1, 6, s[8:9]
	s_waitcnt vmcnt(4)
	global_store_dwordx4 v[38:39], v[14:17], off offset:16
	s_waitcnt vmcnt(3)
	global_store_dwordx4 v[38:39], v[18:21], off offset:32
	;; [unrolled: 2-line block ×3, first 2 shown]
	v_mov_b32_e32 v1, v10
	v_add_co_u32 v13, s0, v9, 2
	v_add_co_u32 v15, s1, v9, 3
	v_mad_u64_u32 v[10:11], null, v34, 6, v[1:2]
	v_add_co_u32 v11, s4, v9, 1
	v_add_co_u32 v17, s2, v9, 4
	;; [unrolled: 1-line block ×3, first 2 shown]
	v_add_co_ci_u32_e64 v12, null, 0, v10, s4
	v_add_co_ci_u32_e64 v14, null, 0, v10, s0
	;; [unrolled: 1-line block ×5, first 2 shown]
	s_waitcnt vmcnt(1)
	global_store_dwordx4 v[38:39], v[26:29], off offset:64
	s_waitcnt vmcnt(0)
	global_store_dwordx4 v[38:39], v[30:33], off offset:80
	global_store_dwordx4 v[36:37], v[9:12], off
	global_store_dwordx4 v[36:37], v[13:16], off offset:16
	global_store_dwordx4 v[36:37], v[17:20], off offset:32
	s_andn2_b32 exec_lo, exec_lo, s5
	s_cbranch_execnz .LBB291_5
.LBB291_6:
	s_endpgm
	.section	.rodata,"a",@progbits
	.p2align	6, 0x0
	.amdhsa_kernel _ZN9rocsparseL32bsr2csr_block_per_row_2_7_kernelILj256ELj6E21rocsparse_complex_numIdEilEEv20rocsparse_direction_T3_S4_21rocsparse_index_base_PKT1_PKT2_PKS4_S4_S5_PS6_PS9_PS4_
		.amdhsa_group_segment_fixed_size 0
		.amdhsa_private_segment_fixed_size 0
		.amdhsa_kernarg_size 96
		.amdhsa_user_sgpr_count 6
		.amdhsa_user_sgpr_private_segment_buffer 1
		.amdhsa_user_sgpr_dispatch_ptr 0
		.amdhsa_user_sgpr_queue_ptr 0
		.amdhsa_user_sgpr_kernarg_segment_ptr 1
		.amdhsa_user_sgpr_dispatch_id 0
		.amdhsa_user_sgpr_flat_scratch_init 0
		.amdhsa_user_sgpr_private_segment_size 0
		.amdhsa_wavefront_size32 1
		.amdhsa_uses_dynamic_stack 0
		.amdhsa_system_sgpr_private_segment_wavefront_offset 0
		.amdhsa_system_sgpr_workgroup_id_x 1
		.amdhsa_system_sgpr_workgroup_id_y 0
		.amdhsa_system_sgpr_workgroup_id_z 0
		.amdhsa_system_sgpr_workgroup_info 0
		.amdhsa_system_vgpr_workitem_id 0
		.amdhsa_next_free_vgpr 40
		.amdhsa_next_free_sgpr 16
		.amdhsa_reserve_vcc 1
		.amdhsa_reserve_flat_scratch 0
		.amdhsa_float_round_mode_32 0
		.amdhsa_float_round_mode_16_64 0
		.amdhsa_float_denorm_mode_32 3
		.amdhsa_float_denorm_mode_16_64 3
		.amdhsa_dx10_clamp 1
		.amdhsa_ieee_mode 1
		.amdhsa_fp16_overflow 0
		.amdhsa_workgroup_processor_mode 1
		.amdhsa_memory_ordered 1
		.amdhsa_forward_progress 1
		.amdhsa_shared_vgpr_count 0
		.amdhsa_exception_fp_ieee_invalid_op 0
		.amdhsa_exception_fp_denorm_src 0
		.amdhsa_exception_fp_ieee_div_zero 0
		.amdhsa_exception_fp_ieee_overflow 0
		.amdhsa_exception_fp_ieee_underflow 0
		.amdhsa_exception_fp_ieee_inexact 0
		.amdhsa_exception_int_div_zero 0
	.end_amdhsa_kernel
	.section	.text._ZN9rocsparseL32bsr2csr_block_per_row_2_7_kernelILj256ELj6E21rocsparse_complex_numIdEilEEv20rocsparse_direction_T3_S4_21rocsparse_index_base_PKT1_PKT2_PKS4_S4_S5_PS6_PS9_PS4_,"axG",@progbits,_ZN9rocsparseL32bsr2csr_block_per_row_2_7_kernelILj256ELj6E21rocsparse_complex_numIdEilEEv20rocsparse_direction_T3_S4_21rocsparse_index_base_PKT1_PKT2_PKS4_S4_S5_PS6_PS9_PS4_,comdat
.Lfunc_end291:
	.size	_ZN9rocsparseL32bsr2csr_block_per_row_2_7_kernelILj256ELj6E21rocsparse_complex_numIdEilEEv20rocsparse_direction_T3_S4_21rocsparse_index_base_PKT1_PKT2_PKS4_S4_S5_PS6_PS9_PS4_, .Lfunc_end291-_ZN9rocsparseL32bsr2csr_block_per_row_2_7_kernelILj256ELj6E21rocsparse_complex_numIdEilEEv20rocsparse_direction_T3_S4_21rocsparse_index_base_PKT1_PKT2_PKS4_S4_S5_PS6_PS9_PS4_
                                        ; -- End function
	.set _ZN9rocsparseL32bsr2csr_block_per_row_2_7_kernelILj256ELj6E21rocsparse_complex_numIdEilEEv20rocsparse_direction_T3_S4_21rocsparse_index_base_PKT1_PKT2_PKS4_S4_S5_PS6_PS9_PS4_.num_vgpr, 40
	.set _ZN9rocsparseL32bsr2csr_block_per_row_2_7_kernelILj256ELj6E21rocsparse_complex_numIdEilEEv20rocsparse_direction_T3_S4_21rocsparse_index_base_PKT1_PKT2_PKS4_S4_S5_PS6_PS9_PS4_.num_agpr, 0
	.set _ZN9rocsparseL32bsr2csr_block_per_row_2_7_kernelILj256ELj6E21rocsparse_complex_numIdEilEEv20rocsparse_direction_T3_S4_21rocsparse_index_base_PKT1_PKT2_PKS4_S4_S5_PS6_PS9_PS4_.numbered_sgpr, 16
	.set _ZN9rocsparseL32bsr2csr_block_per_row_2_7_kernelILj256ELj6E21rocsparse_complex_numIdEilEEv20rocsparse_direction_T3_S4_21rocsparse_index_base_PKT1_PKT2_PKS4_S4_S5_PS6_PS9_PS4_.num_named_barrier, 0
	.set _ZN9rocsparseL32bsr2csr_block_per_row_2_7_kernelILj256ELj6E21rocsparse_complex_numIdEilEEv20rocsparse_direction_T3_S4_21rocsparse_index_base_PKT1_PKT2_PKS4_S4_S5_PS6_PS9_PS4_.private_seg_size, 0
	.set _ZN9rocsparseL32bsr2csr_block_per_row_2_7_kernelILj256ELj6E21rocsparse_complex_numIdEilEEv20rocsparse_direction_T3_S4_21rocsparse_index_base_PKT1_PKT2_PKS4_S4_S5_PS6_PS9_PS4_.uses_vcc, 1
	.set _ZN9rocsparseL32bsr2csr_block_per_row_2_7_kernelILj256ELj6E21rocsparse_complex_numIdEilEEv20rocsparse_direction_T3_S4_21rocsparse_index_base_PKT1_PKT2_PKS4_S4_S5_PS6_PS9_PS4_.uses_flat_scratch, 0
	.set _ZN9rocsparseL32bsr2csr_block_per_row_2_7_kernelILj256ELj6E21rocsparse_complex_numIdEilEEv20rocsparse_direction_T3_S4_21rocsparse_index_base_PKT1_PKT2_PKS4_S4_S5_PS6_PS9_PS4_.has_dyn_sized_stack, 0
	.set _ZN9rocsparseL32bsr2csr_block_per_row_2_7_kernelILj256ELj6E21rocsparse_complex_numIdEilEEv20rocsparse_direction_T3_S4_21rocsparse_index_base_PKT1_PKT2_PKS4_S4_S5_PS6_PS9_PS4_.has_recursion, 0
	.set _ZN9rocsparseL32bsr2csr_block_per_row_2_7_kernelILj256ELj6E21rocsparse_complex_numIdEilEEv20rocsparse_direction_T3_S4_21rocsparse_index_base_PKT1_PKT2_PKS4_S4_S5_PS6_PS9_PS4_.has_indirect_call, 0
	.section	.AMDGPU.csdata,"",@progbits
; Kernel info:
; codeLenInByte = 1008
; TotalNumSgprs: 18
; NumVgprs: 40
; ScratchSize: 0
; MemoryBound: 0
; FloatMode: 240
; IeeeMode: 1
; LDSByteSize: 0 bytes/workgroup (compile time only)
; SGPRBlocks: 0
; VGPRBlocks: 4
; NumSGPRsForWavesPerEU: 18
; NumVGPRsForWavesPerEU: 40
; Occupancy: 16
; WaveLimiterHint : 0
; COMPUTE_PGM_RSRC2:SCRATCH_EN: 0
; COMPUTE_PGM_RSRC2:USER_SGPR: 6
; COMPUTE_PGM_RSRC2:TRAP_HANDLER: 0
; COMPUTE_PGM_RSRC2:TGID_X_EN: 1
; COMPUTE_PGM_RSRC2:TGID_Y_EN: 0
; COMPUTE_PGM_RSRC2:TGID_Z_EN: 0
; COMPUTE_PGM_RSRC2:TIDIG_COMP_CNT: 0
	.section	.text._ZN9rocsparseL32bsr2csr_block_per_row_2_7_kernelILj256ELj7E21rocsparse_complex_numIdEilEEv20rocsparse_direction_T3_S4_21rocsparse_index_base_PKT1_PKT2_PKS4_S4_S5_PS6_PS9_PS4_,"axG",@progbits,_ZN9rocsparseL32bsr2csr_block_per_row_2_7_kernelILj256ELj7E21rocsparse_complex_numIdEilEEv20rocsparse_direction_T3_S4_21rocsparse_index_base_PKT1_PKT2_PKS4_S4_S5_PS6_PS9_PS4_,comdat
	.globl	_ZN9rocsparseL32bsr2csr_block_per_row_2_7_kernelILj256ELj7E21rocsparse_complex_numIdEilEEv20rocsparse_direction_T3_S4_21rocsparse_index_base_PKT1_PKT2_PKS4_S4_S5_PS6_PS9_PS4_ ; -- Begin function _ZN9rocsparseL32bsr2csr_block_per_row_2_7_kernelILj256ELj7E21rocsparse_complex_numIdEilEEv20rocsparse_direction_T3_S4_21rocsparse_index_base_PKT1_PKT2_PKS4_S4_S5_PS6_PS9_PS4_
	.p2align	8
	.type	_ZN9rocsparseL32bsr2csr_block_per_row_2_7_kernelILj256ELj7E21rocsparse_complex_numIdEilEEv20rocsparse_direction_T3_S4_21rocsparse_index_base_PKT1_PKT2_PKS4_S4_S5_PS6_PS9_PS4_,@function
_ZN9rocsparseL32bsr2csr_block_per_row_2_7_kernelILj256ELj7E21rocsparse_complex_numIdEilEEv20rocsparse_direction_T3_S4_21rocsparse_index_base_PKT1_PKT2_PKS4_S4_S5_PS6_PS9_PS4_: ; @_ZN9rocsparseL32bsr2csr_block_per_row_2_7_kernelILj256ELj7E21rocsparse_complex_numIdEilEEv20rocsparse_direction_T3_S4_21rocsparse_index_base_PKT1_PKT2_PKS4_S4_S5_PS6_PS9_PS4_
; %bb.0:
	s_clause 0x2
	s_load_dwordx2 s[2:3], s[4:5], 0x28
	s_load_dword s8, s[4:5], 0x40
	s_load_dwordx2 s[0:1], s[4:5], 0x50
	s_mov_b32 s7, 0
	v_or_b32_e32 v1, s6, v0
	s_lshl_b64 s[10:11], s[6:7], 2
	s_mov_b32 s7, exec_lo
	s_waitcnt lgkmcnt(0)
	s_add_u32 s2, s2, s10
	s_addc_u32 s3, s3, s11
	v_cmpx_eq_u32_e32 0, v1
	s_cbranch_execz .LBB292_2
; %bb.1:
	v_mov_b32_e32 v1, 0
	v_mov_b32_e32 v2, s8
	global_store_dword v1, v2, s[0:1]
.LBB292_2:
	s_or_b32 exec_lo, exec_lo, s7
	v_and_b32_e32 v1, 7, v0
	s_mov_b32 s7, exec_lo
	v_cmpx_ne_u32_e32 7, v1
	s_cbranch_execz .LBB292_6
; %bb.3:
	s_load_dwordx2 s[2:3], s[2:3], 0x0
	s_load_dword s14, s[4:5], 0x18
	v_lshrrev_b32_e32 v2, 3, v0
	s_mul_hi_u32 s9, s6, 28
	s_mul_i32 s6, s6, 28
	v_lshlrev_b32_e32 v5, 2, v1
	s_waitcnt lgkmcnt(0)
	s_sub_i32 s7, s2, s14
	s_sub_i32 s15, s3, s14
	v_add_nc_u32_e32 v0, s7, v2
	s_sub_i32 s3, s15, s7
	s_mul_i32 s10, s7, 49
	s_mul_i32 s3, s3, 7
	v_mul_lo_u32 v4, s3, v1
	s_add_i32 s3, s3, s8
	v_cmp_gt_i32_e32 vcc_lo, s15, v0
	s_add_u32 s0, s0, s6
	s_addc_u32 s1, s1, s9
	v_add3_u32 v3, s3, s10, v4
	global_store_dword v5, v3, s[0:1] offset:4
	s_and_b32 exec_lo, exec_lo, vcc_lo
	s_cbranch_execz .LBB292_6
; %bb.4:
	s_clause 0x3
	s_load_dwordx2 s[0:1], s[4:5], 0x20
	s_load_dwordx2 s[6:7], s[4:5], 0x30
	;; [unrolled: 1-line block ×3, first 2 shown]
	s_load_dword s3, s[4:5], 0x0
	v_lshlrev_b32_e32 v3, 4, v1
	s_load_dwordx2 s[12:13], s[4:5], 0x58
	v_mul_u32_u24_e32 v6, 7, v2
	v_mov_b32_e32 v5, 0
	s_mov_b32 s9, 0
	s_mov_b32 s16, s9
	s_waitcnt lgkmcnt(0)
	v_add_co_u32 v2, s0, s0, v3
	v_add_co_ci_u32_e64 v3, null, s1, 0, s0
	s_mul_i32 s0, s2, 49
	s_cmp_eq_u32 s3, 0
	v_add3_u32 v8, v4, s0, v6
	v_mad_u64_u32 v[6:7], null, 0x60, v1, v[2:3]
	v_mul_lo_u32 v4, v0, 49
	s_mul_i32 s0, s14, 49
	s_cselect_b32 vcc_lo, -1, 0
	v_subrev_nc_u32_e32 v8, s0, v8
.LBB292_5:                              ; =>This Inner Loop Header: Depth=1
	v_ashrrev_i32_e32 v1, 31, v0
	v_lshlrev_b64 v[9:10], 4, v[4:5]
	v_add_nc_u32_e32 v4, 0x620, v4
	v_lshlrev_b64 v[11:12], 3, v[0:1]
	v_add_nc_u32_e32 v0, 32, v0
	v_add_co_u32 v1, s0, v2, v9
	v_add_co_ci_u32_e64 v13, null, v3, v10, s0
	v_add_co_u32 v14, s0, v6, v9
	v_add_co_ci_u32_e64 v15, null, v7, v10, s0
	;; [unrolled: 2-line block ×12, first 2 shown]
	v_add_co_u32 v34, s0, 0x230, v1
	v_cndmask_b32_e32 v12, v13, v15, vcc_lo
	v_cndmask_b32_e32 v11, v1, v14, vcc_lo
	v_add_co_ci_u32_e64 v35, null, 0, v13, s0
	v_add_co_u32 v36, s0, 0x60, v14
	v_add_co_ci_u32_e64 v37, null, 0, v15, s0
	v_add_co_u32 v1, s0, 0x2a0, v1
	v_add_co_ci_u32_e64 v40, null, 0, v13, s0
	global_load_dwordx2 v[38:39], v[9:10], off
	global_load_dwordx4 v[10:13], v[11:12], off
	v_cndmask_b32_e32 v15, v19, v17, vcc_lo
	v_cndmask_b32_e32 v14, v18, v16, vcc_lo
	;; [unrolled: 1-line block ×12, first 2 shown]
	global_load_dwordx4 v[14:17], v[14:15], off
	global_load_dwordx4 v[18:21], v[18:19], off
	;; [unrolled: 1-line block ×6, first 2 shown]
	v_ashrrev_i32_e32 v9, 31, v8
	v_cmp_le_i32_e64 s0, s15, v0
	v_lshlrev_b64 v[40:41], 3, v[8:9]
	v_lshlrev_b64 v[42:43], 4, v[8:9]
	s_or_b32 s16, s0, s16
	v_add_nc_u32_e32 v8, 0xe0, v8
	v_add_co_u32 v40, s1, s12, v40
	v_add_co_ci_u32_e64 v41, null, s13, v41, s1
	v_add_co_u32 v42, s1, s10, v42
	v_add_co_ci_u32_e64 v43, null, s11, v43, s1
	s_waitcnt vmcnt(7)
	v_sub_co_u32 v1, s0, v38, s14
	s_waitcnt vmcnt(6)
	global_store_dwordx4 v[42:43], v[10:13], off
	v_subrev_co_ci_u32_e64 v38, null, 0, v39, s0
	v_mad_u64_u32 v[9:10], null, v1, 7, s[8:9]
	s_waitcnt vmcnt(5)
	global_store_dwordx4 v[42:43], v[14:17], off offset:16
	s_waitcnt vmcnt(4)
	global_store_dwordx4 v[42:43], v[18:21], off offset:32
	;; [unrolled: 2-line block ×5, first 2 shown]
	v_mov_b32_e32 v1, v10
	v_add_co_u32 v13, s0, v9, 2
	v_add_co_u32 v15, s1, v9, 3
	v_mad_u64_u32 v[10:11], null, v38, 7, v[1:2]
	v_add_co_u32 v11, s5, v9, 1
	v_add_co_u32 v17, s2, v9, 4
	;; [unrolled: 1-line block ×3, first 2 shown]
	v_add_co_ci_u32_e64 v12, null, 0, v10, s5
	v_add_co_u32 v21, s4, v9, 6
	v_add_co_ci_u32_e64 v14, null, 0, v10, s0
	v_add_co_ci_u32_e64 v16, null, 0, v10, s1
	;; [unrolled: 1-line block ×5, first 2 shown]
	s_waitcnt vmcnt(0)
	global_store_dwordx4 v[42:43], v[34:37], off offset:96
	global_store_dwordx4 v[40:41], v[9:12], off
	global_store_dwordx4 v[40:41], v[13:16], off offset:16
	global_store_dwordx4 v[40:41], v[17:20], off offset:32
	global_store_dwordx2 v[40:41], v[21:22], off offset:48
	s_andn2_b32 exec_lo, exec_lo, s16
	s_cbranch_execnz .LBB292_5
.LBB292_6:
	s_endpgm
	.section	.rodata,"a",@progbits
	.p2align	6, 0x0
	.amdhsa_kernel _ZN9rocsparseL32bsr2csr_block_per_row_2_7_kernelILj256ELj7E21rocsparse_complex_numIdEilEEv20rocsparse_direction_T3_S4_21rocsparse_index_base_PKT1_PKT2_PKS4_S4_S5_PS6_PS9_PS4_
		.amdhsa_group_segment_fixed_size 0
		.amdhsa_private_segment_fixed_size 0
		.amdhsa_kernarg_size 96
		.amdhsa_user_sgpr_count 6
		.amdhsa_user_sgpr_private_segment_buffer 1
		.amdhsa_user_sgpr_dispatch_ptr 0
		.amdhsa_user_sgpr_queue_ptr 0
		.amdhsa_user_sgpr_kernarg_segment_ptr 1
		.amdhsa_user_sgpr_dispatch_id 0
		.amdhsa_user_sgpr_flat_scratch_init 0
		.amdhsa_user_sgpr_private_segment_size 0
		.amdhsa_wavefront_size32 1
		.amdhsa_uses_dynamic_stack 0
		.amdhsa_system_sgpr_private_segment_wavefront_offset 0
		.amdhsa_system_sgpr_workgroup_id_x 1
		.amdhsa_system_sgpr_workgroup_id_y 0
		.amdhsa_system_sgpr_workgroup_id_z 0
		.amdhsa_system_sgpr_workgroup_info 0
		.amdhsa_system_vgpr_workitem_id 0
		.amdhsa_next_free_vgpr 44
		.amdhsa_next_free_sgpr 17
		.amdhsa_reserve_vcc 1
		.amdhsa_reserve_flat_scratch 0
		.amdhsa_float_round_mode_32 0
		.amdhsa_float_round_mode_16_64 0
		.amdhsa_float_denorm_mode_32 3
		.amdhsa_float_denorm_mode_16_64 3
		.amdhsa_dx10_clamp 1
		.amdhsa_ieee_mode 1
		.amdhsa_fp16_overflow 0
		.amdhsa_workgroup_processor_mode 1
		.amdhsa_memory_ordered 1
		.amdhsa_forward_progress 1
		.amdhsa_shared_vgpr_count 0
		.amdhsa_exception_fp_ieee_invalid_op 0
		.amdhsa_exception_fp_denorm_src 0
		.amdhsa_exception_fp_ieee_div_zero 0
		.amdhsa_exception_fp_ieee_overflow 0
		.amdhsa_exception_fp_ieee_underflow 0
		.amdhsa_exception_fp_ieee_inexact 0
		.amdhsa_exception_int_div_zero 0
	.end_amdhsa_kernel
	.section	.text._ZN9rocsparseL32bsr2csr_block_per_row_2_7_kernelILj256ELj7E21rocsparse_complex_numIdEilEEv20rocsparse_direction_T3_S4_21rocsparse_index_base_PKT1_PKT2_PKS4_S4_S5_PS6_PS9_PS4_,"axG",@progbits,_ZN9rocsparseL32bsr2csr_block_per_row_2_7_kernelILj256ELj7E21rocsparse_complex_numIdEilEEv20rocsparse_direction_T3_S4_21rocsparse_index_base_PKT1_PKT2_PKS4_S4_S5_PS6_PS9_PS4_,comdat
.Lfunc_end292:
	.size	_ZN9rocsparseL32bsr2csr_block_per_row_2_7_kernelILj256ELj7E21rocsparse_complex_numIdEilEEv20rocsparse_direction_T3_S4_21rocsparse_index_base_PKT1_PKT2_PKS4_S4_S5_PS6_PS9_PS4_, .Lfunc_end292-_ZN9rocsparseL32bsr2csr_block_per_row_2_7_kernelILj256ELj7E21rocsparse_complex_numIdEilEEv20rocsparse_direction_T3_S4_21rocsparse_index_base_PKT1_PKT2_PKS4_S4_S5_PS6_PS9_PS4_
                                        ; -- End function
	.set _ZN9rocsparseL32bsr2csr_block_per_row_2_7_kernelILj256ELj7E21rocsparse_complex_numIdEilEEv20rocsparse_direction_T3_S4_21rocsparse_index_base_PKT1_PKT2_PKS4_S4_S5_PS6_PS9_PS4_.num_vgpr, 44
	.set _ZN9rocsparseL32bsr2csr_block_per_row_2_7_kernelILj256ELj7E21rocsparse_complex_numIdEilEEv20rocsparse_direction_T3_S4_21rocsparse_index_base_PKT1_PKT2_PKS4_S4_S5_PS6_PS9_PS4_.num_agpr, 0
	.set _ZN9rocsparseL32bsr2csr_block_per_row_2_7_kernelILj256ELj7E21rocsparse_complex_numIdEilEEv20rocsparse_direction_T3_S4_21rocsparse_index_base_PKT1_PKT2_PKS4_S4_S5_PS6_PS9_PS4_.numbered_sgpr, 17
	.set _ZN9rocsparseL32bsr2csr_block_per_row_2_7_kernelILj256ELj7E21rocsparse_complex_numIdEilEEv20rocsparse_direction_T3_S4_21rocsparse_index_base_PKT1_PKT2_PKS4_S4_S5_PS6_PS9_PS4_.num_named_barrier, 0
	.set _ZN9rocsparseL32bsr2csr_block_per_row_2_7_kernelILj256ELj7E21rocsparse_complex_numIdEilEEv20rocsparse_direction_T3_S4_21rocsparse_index_base_PKT1_PKT2_PKS4_S4_S5_PS6_PS9_PS4_.private_seg_size, 0
	.set _ZN9rocsparseL32bsr2csr_block_per_row_2_7_kernelILj256ELj7E21rocsparse_complex_numIdEilEEv20rocsparse_direction_T3_S4_21rocsparse_index_base_PKT1_PKT2_PKS4_S4_S5_PS6_PS9_PS4_.uses_vcc, 1
	.set _ZN9rocsparseL32bsr2csr_block_per_row_2_7_kernelILj256ELj7E21rocsparse_complex_numIdEilEEv20rocsparse_direction_T3_S4_21rocsparse_index_base_PKT1_PKT2_PKS4_S4_S5_PS6_PS9_PS4_.uses_flat_scratch, 0
	.set _ZN9rocsparseL32bsr2csr_block_per_row_2_7_kernelILj256ELj7E21rocsparse_complex_numIdEilEEv20rocsparse_direction_T3_S4_21rocsparse_index_base_PKT1_PKT2_PKS4_S4_S5_PS6_PS9_PS4_.has_dyn_sized_stack, 0
	.set _ZN9rocsparseL32bsr2csr_block_per_row_2_7_kernelILj256ELj7E21rocsparse_complex_numIdEilEEv20rocsparse_direction_T3_S4_21rocsparse_index_base_PKT1_PKT2_PKS4_S4_S5_PS6_PS9_PS4_.has_recursion, 0
	.set _ZN9rocsparseL32bsr2csr_block_per_row_2_7_kernelILj256ELj7E21rocsparse_complex_numIdEilEEv20rocsparse_direction_T3_S4_21rocsparse_index_base_PKT1_PKT2_PKS4_S4_S5_PS6_PS9_PS4_.has_indirect_call, 0
	.section	.AMDGPU.csdata,"",@progbits
; Kernel info:
; codeLenInByte = 1100
; TotalNumSgprs: 19
; NumVgprs: 44
; ScratchSize: 0
; MemoryBound: 0
; FloatMode: 240
; IeeeMode: 1
; LDSByteSize: 0 bytes/workgroup (compile time only)
; SGPRBlocks: 0
; VGPRBlocks: 5
; NumSGPRsForWavesPerEU: 19
; NumVGPRsForWavesPerEU: 44
; Occupancy: 16
; WaveLimiterHint : 0
; COMPUTE_PGM_RSRC2:SCRATCH_EN: 0
; COMPUTE_PGM_RSRC2:USER_SGPR: 6
; COMPUTE_PGM_RSRC2:TRAP_HANDLER: 0
; COMPUTE_PGM_RSRC2:TGID_X_EN: 1
; COMPUTE_PGM_RSRC2:TGID_Y_EN: 0
; COMPUTE_PGM_RSRC2:TGID_Z_EN: 0
; COMPUTE_PGM_RSRC2:TIDIG_COMP_CNT: 0
	.section	.text._ZN9rocsparseL33bsr2csr_block_per_row_8_32_kernelILj1024ELj8E21rocsparse_complex_numIdEilEEv20rocsparse_direction_T3_S4_21rocsparse_index_base_PKT1_PKT2_PKS4_S4_S5_PS6_PS9_PS4_,"axG",@progbits,_ZN9rocsparseL33bsr2csr_block_per_row_8_32_kernelILj1024ELj8E21rocsparse_complex_numIdEilEEv20rocsparse_direction_T3_S4_21rocsparse_index_base_PKT1_PKT2_PKS4_S4_S5_PS6_PS9_PS4_,comdat
	.globl	_ZN9rocsparseL33bsr2csr_block_per_row_8_32_kernelILj1024ELj8E21rocsparse_complex_numIdEilEEv20rocsparse_direction_T3_S4_21rocsparse_index_base_PKT1_PKT2_PKS4_S4_S5_PS6_PS9_PS4_ ; -- Begin function _ZN9rocsparseL33bsr2csr_block_per_row_8_32_kernelILj1024ELj8E21rocsparse_complex_numIdEilEEv20rocsparse_direction_T3_S4_21rocsparse_index_base_PKT1_PKT2_PKS4_S4_S5_PS6_PS9_PS4_
	.p2align	8
	.type	_ZN9rocsparseL33bsr2csr_block_per_row_8_32_kernelILj1024ELj8E21rocsparse_complex_numIdEilEEv20rocsparse_direction_T3_S4_21rocsparse_index_base_PKT1_PKT2_PKS4_S4_S5_PS6_PS9_PS4_,@function
_ZN9rocsparseL33bsr2csr_block_per_row_8_32_kernelILj1024ELj8E21rocsparse_complex_numIdEilEEv20rocsparse_direction_T3_S4_21rocsparse_index_base_PKT1_PKT2_PKS4_S4_S5_PS6_PS9_PS4_: ; @_ZN9rocsparseL33bsr2csr_block_per_row_8_32_kernelILj1024ELj8E21rocsparse_complex_numIdEilEEv20rocsparse_direction_T3_S4_21rocsparse_index_base_PKT1_PKT2_PKS4_S4_S5_PS6_PS9_PS4_
; %bb.0:
	s_clause 0x2
	s_load_dwordx2 s[2:3], s[4:5], 0x28
	s_load_dword s1, s[4:5], 0x40
	s_load_dwordx2 s[8:9], s[4:5], 0x50
	s_mov_b32 s7, 0
	v_or_b32_e32 v1, s6, v0
	s_lshl_b64 s[10:11], s[6:7], 2
	s_mov_b32 s0, exec_lo
	s_waitcnt lgkmcnt(0)
	s_add_u32 s10, s2, s10
	s_addc_u32 s11, s3, s11
	v_cmpx_eq_u32_e32 0, v1
	s_cbranch_execz .LBB293_2
; %bb.1:
	v_mov_b32_e32 v1, 0
	v_mov_b32_e32 v2, s1
	global_store_dword v1, v2, s[8:9]
.LBB293_2:
	s_or_b32 exec_lo, exec_lo, s0
	s_load_dwordx2 s[2:3], s[4:5], 0x38
	v_mov_b32_e32 v2, 0
	v_bfe_u32 v3, v0, 3, 3
	v_and_b32_e32 v1, 7, v0
	v_mov_b32_e32 v4, v2
	s_waitcnt lgkmcnt(0)
	v_cmp_gt_i64_e32 vcc_lo, s[2:3], v[3:4]
	v_cmp_gt_i64_e64 s0, s[2:3], v[1:2]
	s_and_b32 s0, vcc_lo, s0
	s_and_saveexec_b32 s7, s0
	s_cbranch_execz .LBB293_6
; %bb.3:
	s_load_dwordx2 s[10:11], s[10:11], 0x0
	s_load_dword s12, s[4:5], 0x18
	v_lshrrev_b32_e32 v2, 6, v0
	s_mul_i32 s14, s2, s2
	s_mul_i32 s7, s3, s6
	v_lshlrev_b32_e32 v5, 2, v3
	s_waitcnt lgkmcnt(0)
	s_sub_i32 s0, s10, s12
	s_sub_i32 s13, s11, s12
	v_add_nc_u32_e32 v0, s0, v2
	s_sub_i32 s15, s13, s0
	s_mul_hi_u32 s11, s2, s6
	s_mul_i32 s10, s2, s15
	s_mul_i32 s6, s2, s6
	v_mul_lo_u32 v4, s10, v3
	s_add_i32 s7, s11, s7
	s_mul_i32 s11, s14, s0
	s_add_i32 s10, s1, s10
	s_lshl_b64 s[6:7], s[6:7], 2
	v_cmp_gt_i32_e32 vcc_lo, s13, v0
	s_add_u32 s6, s8, s6
	s_addc_u32 s7, s9, s7
	v_add3_u32 v4, s10, s11, v4
	global_store_dword v5, v4, s[6:7] offset:4
	s_and_b32 exec_lo, exec_lo, vcc_lo
	s_cbranch_execz .LBB293_6
; %bb.4:
	v_mad_u64_u32 v[4:5], null, s2, v1, 0
	v_mad_u64_u32 v[6:7], null, s2, v3, 0
	s_clause 0x4
	s_load_dwordx2 s[16:17], s[4:5], 0x20
	s_load_dwordx2 s[6:7], s[4:5], 0x58
	;; [unrolled: 1-line block ×4, first 2 shown]
	s_load_dword s5, s[4:5], 0x0
	v_mul_lo_u32 v10, s15, v3
	s_mul_i32 s0, s2, s0
	s_mul_i32 s18, s2, s3
	v_mad_u64_u32 v[8:9], null, s3, v1, v[5:6]
	v_lshlrev_b32_e32 v9, 4, v1
	s_mul_hi_u32 s19, s2, s2
	v_add3_u32 v2, v2, s0, v10
	s_add_i32 s4, s19, s18
	v_mov_b32_e32 v5, v8
	v_mad_u64_u32 v[7:8], null, s3, v3, v[7:8]
	v_lshlrev_b32_e32 v8, 4, v3
	s_add_i32 s4, s4, s18
	v_lshlrev_b64 v[4:5], 4, v[4:5]
	s_waitcnt lgkmcnt(0)
	s_cmp_eq_u32 s5, 0
	s_mov_b32 s5, 0
	v_add_co_u32 v11, vcc_lo, s16, v4
	v_lshlrev_b64 v[3:4], 4, v[6:7]
	v_add_co_ci_u32_e64 v5, null, s17, v5, vcc_lo
	v_add_co_u32 v7, vcc_lo, v11, v8
	v_add_co_ci_u32_e64 v8, null, 0, v5, vcc_lo
	v_add_co_u32 v3, vcc_lo, s16, v3
	v_add_co_ci_u32_e64 v4, null, s17, v4, vcc_lo
	v_mad_u64_u32 v[5:6], null, s2, v2, v[1:2]
	v_add_co_u32 v9, vcc_lo, v3, v9
	v_add_co_ci_u32_e64 v10, null, 0, v4, vcc_lo
	v_add_co_u32 v2, s0, v1, s1
	s_cselect_b32 vcc_lo, -1, 0
	v_add_co_ci_u32_e64 v3, null, 0, 0, s0
	v_mov_b32_e32 v4, 0
	v_cndmask_b32_e32 v6, v8, v10, vcc_lo
	v_cndmask_b32_e32 v7, v7, v9, vcc_lo
	s_lshl_b32 s15, s2, 4
.LBB293_5:                              ; =>This Inner Loop Header: Depth=1
	v_ashrrev_i32_e32 v1, 31, v0
	v_mul_lo_u32 v14, s4, v0
	v_mad_u64_u32 v[8:9], null, s14, v0, 0
	v_ashrrev_i64 v[16:17], 28, v[4:5]
	v_lshlrev_b64 v[10:11], 3, v[0:1]
	v_mul_lo_u32 v1, s14, v1
	v_add_nc_u32_e32 v0, 16, v0
	v_add_co_u32 v10, vcc_lo, s8, v10
	v_add_co_ci_u32_e64 v11, null, s9, v11, vcc_lo
	v_add3_u32 v9, v9, v1, v14
	v_ashrrev_i64 v[14:15], 29, v[4:5]
	global_load_dwordx2 v[12:13], v[10:11], off
	v_lshlrev_b64 v[8:9], 4, v[8:9]
	v_add_co_u32 v14, s0, s6, v14
	v_add_co_ci_u32_e64 v15, null, s7, v15, s0
	v_add_co_u32 v8, vcc_lo, v7, v8
	v_add_co_ci_u32_e64 v9, null, v6, v9, vcc_lo
	v_add_co_u32 v16, s0, s10, v16
	v_add_co_u32 v4, vcc_lo, v4, 0
	global_load_dwordx4 v[8:11], v[8:9], off
	v_add_co_ci_u32_e64 v17, null, s11, v17, s0
	v_cmp_le_i32_e64 s0, s13, v0
	v_add_co_ci_u32_e64 v5, null, s15, v5, vcc_lo
	s_or_b32 s5, s0, s5
	s_waitcnt vmcnt(1)
	v_sub_co_u32 v1, s1, v12, s12
	v_subrev_co_ci_u32_e64 v12, null, 0, v13, s1
	v_mul_lo_u32 v18, v1, s3
	v_mul_lo_u32 v19, v12, s2
	v_mad_u64_u32 v[12:13], null, v1, s2, v[2:3]
	v_add3_u32 v13, v19, v13, v18
	s_waitcnt vmcnt(0)
	global_store_dwordx4 v[16:17], v[8:11], off
	global_store_dwordx2 v[14:15], v[12:13], off
	s_andn2_b32 exec_lo, exec_lo, s5
	s_cbranch_execnz .LBB293_5
.LBB293_6:
	s_endpgm
	.section	.rodata,"a",@progbits
	.p2align	6, 0x0
	.amdhsa_kernel _ZN9rocsparseL33bsr2csr_block_per_row_8_32_kernelILj1024ELj8E21rocsparse_complex_numIdEilEEv20rocsparse_direction_T3_S4_21rocsparse_index_base_PKT1_PKT2_PKS4_S4_S5_PS6_PS9_PS4_
		.amdhsa_group_segment_fixed_size 0
		.amdhsa_private_segment_fixed_size 0
		.amdhsa_kernarg_size 96
		.amdhsa_user_sgpr_count 6
		.amdhsa_user_sgpr_private_segment_buffer 1
		.amdhsa_user_sgpr_dispatch_ptr 0
		.amdhsa_user_sgpr_queue_ptr 0
		.amdhsa_user_sgpr_kernarg_segment_ptr 1
		.amdhsa_user_sgpr_dispatch_id 0
		.amdhsa_user_sgpr_flat_scratch_init 0
		.amdhsa_user_sgpr_private_segment_size 0
		.amdhsa_wavefront_size32 1
		.amdhsa_uses_dynamic_stack 0
		.amdhsa_system_sgpr_private_segment_wavefront_offset 0
		.amdhsa_system_sgpr_workgroup_id_x 1
		.amdhsa_system_sgpr_workgroup_id_y 0
		.amdhsa_system_sgpr_workgroup_id_z 0
		.amdhsa_system_sgpr_workgroup_info 0
		.amdhsa_system_vgpr_workitem_id 0
		.amdhsa_next_free_vgpr 20
		.amdhsa_next_free_sgpr 20
		.amdhsa_reserve_vcc 1
		.amdhsa_reserve_flat_scratch 0
		.amdhsa_float_round_mode_32 0
		.amdhsa_float_round_mode_16_64 0
		.amdhsa_float_denorm_mode_32 3
		.amdhsa_float_denorm_mode_16_64 3
		.amdhsa_dx10_clamp 1
		.amdhsa_ieee_mode 1
		.amdhsa_fp16_overflow 0
		.amdhsa_workgroup_processor_mode 1
		.amdhsa_memory_ordered 1
		.amdhsa_forward_progress 1
		.amdhsa_shared_vgpr_count 0
		.amdhsa_exception_fp_ieee_invalid_op 0
		.amdhsa_exception_fp_denorm_src 0
		.amdhsa_exception_fp_ieee_div_zero 0
		.amdhsa_exception_fp_ieee_overflow 0
		.amdhsa_exception_fp_ieee_underflow 0
		.amdhsa_exception_fp_ieee_inexact 0
		.amdhsa_exception_int_div_zero 0
	.end_amdhsa_kernel
	.section	.text._ZN9rocsparseL33bsr2csr_block_per_row_8_32_kernelILj1024ELj8E21rocsparse_complex_numIdEilEEv20rocsparse_direction_T3_S4_21rocsparse_index_base_PKT1_PKT2_PKS4_S4_S5_PS6_PS9_PS4_,"axG",@progbits,_ZN9rocsparseL33bsr2csr_block_per_row_8_32_kernelILj1024ELj8E21rocsparse_complex_numIdEilEEv20rocsparse_direction_T3_S4_21rocsparse_index_base_PKT1_PKT2_PKS4_S4_S5_PS6_PS9_PS4_,comdat
.Lfunc_end293:
	.size	_ZN9rocsparseL33bsr2csr_block_per_row_8_32_kernelILj1024ELj8E21rocsparse_complex_numIdEilEEv20rocsparse_direction_T3_S4_21rocsparse_index_base_PKT1_PKT2_PKS4_S4_S5_PS6_PS9_PS4_, .Lfunc_end293-_ZN9rocsparseL33bsr2csr_block_per_row_8_32_kernelILj1024ELj8E21rocsparse_complex_numIdEilEEv20rocsparse_direction_T3_S4_21rocsparse_index_base_PKT1_PKT2_PKS4_S4_S5_PS6_PS9_PS4_
                                        ; -- End function
	.set _ZN9rocsparseL33bsr2csr_block_per_row_8_32_kernelILj1024ELj8E21rocsparse_complex_numIdEilEEv20rocsparse_direction_T3_S4_21rocsparse_index_base_PKT1_PKT2_PKS4_S4_S5_PS6_PS9_PS4_.num_vgpr, 20
	.set _ZN9rocsparseL33bsr2csr_block_per_row_8_32_kernelILj1024ELj8E21rocsparse_complex_numIdEilEEv20rocsparse_direction_T3_S4_21rocsparse_index_base_PKT1_PKT2_PKS4_S4_S5_PS6_PS9_PS4_.num_agpr, 0
	.set _ZN9rocsparseL33bsr2csr_block_per_row_8_32_kernelILj1024ELj8E21rocsparse_complex_numIdEilEEv20rocsparse_direction_T3_S4_21rocsparse_index_base_PKT1_PKT2_PKS4_S4_S5_PS6_PS9_PS4_.numbered_sgpr, 20
	.set _ZN9rocsparseL33bsr2csr_block_per_row_8_32_kernelILj1024ELj8E21rocsparse_complex_numIdEilEEv20rocsparse_direction_T3_S4_21rocsparse_index_base_PKT1_PKT2_PKS4_S4_S5_PS6_PS9_PS4_.num_named_barrier, 0
	.set _ZN9rocsparseL33bsr2csr_block_per_row_8_32_kernelILj1024ELj8E21rocsparse_complex_numIdEilEEv20rocsparse_direction_T3_S4_21rocsparse_index_base_PKT1_PKT2_PKS4_S4_S5_PS6_PS9_PS4_.private_seg_size, 0
	.set _ZN9rocsparseL33bsr2csr_block_per_row_8_32_kernelILj1024ELj8E21rocsparse_complex_numIdEilEEv20rocsparse_direction_T3_S4_21rocsparse_index_base_PKT1_PKT2_PKS4_S4_S5_PS6_PS9_PS4_.uses_vcc, 1
	.set _ZN9rocsparseL33bsr2csr_block_per_row_8_32_kernelILj1024ELj8E21rocsparse_complex_numIdEilEEv20rocsparse_direction_T3_S4_21rocsparse_index_base_PKT1_PKT2_PKS4_S4_S5_PS6_PS9_PS4_.uses_flat_scratch, 0
	.set _ZN9rocsparseL33bsr2csr_block_per_row_8_32_kernelILj1024ELj8E21rocsparse_complex_numIdEilEEv20rocsparse_direction_T3_S4_21rocsparse_index_base_PKT1_PKT2_PKS4_S4_S5_PS6_PS9_PS4_.has_dyn_sized_stack, 0
	.set _ZN9rocsparseL33bsr2csr_block_per_row_8_32_kernelILj1024ELj8E21rocsparse_complex_numIdEilEEv20rocsparse_direction_T3_S4_21rocsparse_index_base_PKT1_PKT2_PKS4_S4_S5_PS6_PS9_PS4_.has_recursion, 0
	.set _ZN9rocsparseL33bsr2csr_block_per_row_8_32_kernelILj1024ELj8E21rocsparse_complex_numIdEilEEv20rocsparse_direction_T3_S4_21rocsparse_index_base_PKT1_PKT2_PKS4_S4_S5_PS6_PS9_PS4_.has_indirect_call, 0
	.section	.AMDGPU.csdata,"",@progbits
; Kernel info:
; codeLenInByte = 788
; TotalNumSgprs: 22
; NumVgprs: 20
; ScratchSize: 0
; MemoryBound: 0
; FloatMode: 240
; IeeeMode: 1
; LDSByteSize: 0 bytes/workgroup (compile time only)
; SGPRBlocks: 0
; VGPRBlocks: 2
; NumSGPRsForWavesPerEU: 22
; NumVGPRsForWavesPerEU: 20
; Occupancy: 16
; WaveLimiterHint : 0
; COMPUTE_PGM_RSRC2:SCRATCH_EN: 0
; COMPUTE_PGM_RSRC2:USER_SGPR: 6
; COMPUTE_PGM_RSRC2:TRAP_HANDLER: 0
; COMPUTE_PGM_RSRC2:TGID_X_EN: 1
; COMPUTE_PGM_RSRC2:TGID_Y_EN: 0
; COMPUTE_PGM_RSRC2:TGID_Z_EN: 0
; COMPUTE_PGM_RSRC2:TIDIG_COMP_CNT: 0
	.section	.text._ZN9rocsparseL33bsr2csr_block_per_row_8_32_kernelILj1024ELj16E21rocsparse_complex_numIdEilEEv20rocsparse_direction_T3_S4_21rocsparse_index_base_PKT1_PKT2_PKS4_S4_S5_PS6_PS9_PS4_,"axG",@progbits,_ZN9rocsparseL33bsr2csr_block_per_row_8_32_kernelILj1024ELj16E21rocsparse_complex_numIdEilEEv20rocsparse_direction_T3_S4_21rocsparse_index_base_PKT1_PKT2_PKS4_S4_S5_PS6_PS9_PS4_,comdat
	.globl	_ZN9rocsparseL33bsr2csr_block_per_row_8_32_kernelILj1024ELj16E21rocsparse_complex_numIdEilEEv20rocsparse_direction_T3_S4_21rocsparse_index_base_PKT1_PKT2_PKS4_S4_S5_PS6_PS9_PS4_ ; -- Begin function _ZN9rocsparseL33bsr2csr_block_per_row_8_32_kernelILj1024ELj16E21rocsparse_complex_numIdEilEEv20rocsparse_direction_T3_S4_21rocsparse_index_base_PKT1_PKT2_PKS4_S4_S5_PS6_PS9_PS4_
	.p2align	8
	.type	_ZN9rocsparseL33bsr2csr_block_per_row_8_32_kernelILj1024ELj16E21rocsparse_complex_numIdEilEEv20rocsparse_direction_T3_S4_21rocsparse_index_base_PKT1_PKT2_PKS4_S4_S5_PS6_PS9_PS4_,@function
_ZN9rocsparseL33bsr2csr_block_per_row_8_32_kernelILj1024ELj16E21rocsparse_complex_numIdEilEEv20rocsparse_direction_T3_S4_21rocsparse_index_base_PKT1_PKT2_PKS4_S4_S5_PS6_PS9_PS4_: ; @_ZN9rocsparseL33bsr2csr_block_per_row_8_32_kernelILj1024ELj16E21rocsparse_complex_numIdEilEEv20rocsparse_direction_T3_S4_21rocsparse_index_base_PKT1_PKT2_PKS4_S4_S5_PS6_PS9_PS4_
; %bb.0:
	s_clause 0x2
	s_load_dwordx2 s[2:3], s[4:5], 0x28
	s_load_dword s1, s[4:5], 0x40
	s_load_dwordx2 s[8:9], s[4:5], 0x50
	s_mov_b32 s7, 0
	v_or_b32_e32 v1, s6, v0
	s_lshl_b64 s[10:11], s[6:7], 2
	s_mov_b32 s0, exec_lo
	s_waitcnt lgkmcnt(0)
	s_add_u32 s10, s2, s10
	s_addc_u32 s11, s3, s11
	v_cmpx_eq_u32_e32 0, v1
	s_cbranch_execz .LBB294_2
; %bb.1:
	v_mov_b32_e32 v1, 0
	v_mov_b32_e32 v2, s1
	global_store_dword v1, v2, s[8:9]
.LBB294_2:
	s_or_b32 exec_lo, exec_lo, s0
	s_load_dwordx2 s[2:3], s[4:5], 0x38
	v_mov_b32_e32 v2, 0
	v_bfe_u32 v3, v0, 4, 4
	v_and_b32_e32 v1, 15, v0
	v_mov_b32_e32 v4, v2
	s_waitcnt lgkmcnt(0)
	v_cmp_gt_i64_e32 vcc_lo, s[2:3], v[3:4]
	v_cmp_gt_i64_e64 s0, s[2:3], v[1:2]
	s_and_b32 s0, vcc_lo, s0
	s_and_saveexec_b32 s7, s0
	s_cbranch_execz .LBB294_6
; %bb.3:
	s_load_dwordx2 s[10:11], s[10:11], 0x0
	s_load_dword s12, s[4:5], 0x18
	v_lshrrev_b32_e32 v2, 8, v0
	s_mul_i32 s14, s2, s2
	s_mul_i32 s7, s3, s6
	v_lshlrev_b32_e32 v5, 2, v3
	s_waitcnt lgkmcnt(0)
	s_sub_i32 s0, s10, s12
	s_sub_i32 s13, s11, s12
	v_add_nc_u32_e32 v0, s0, v2
	s_sub_i32 s15, s13, s0
	s_mul_hi_u32 s11, s2, s6
	s_mul_i32 s10, s2, s15
	s_mul_i32 s6, s2, s6
	v_mul_lo_u32 v4, s10, v3
	s_add_i32 s7, s11, s7
	s_mul_i32 s11, s14, s0
	s_add_i32 s10, s1, s10
	s_lshl_b64 s[6:7], s[6:7], 2
	v_cmp_gt_i32_e32 vcc_lo, s13, v0
	s_add_u32 s6, s8, s6
	s_addc_u32 s7, s9, s7
	v_add3_u32 v4, s10, s11, v4
	global_store_dword v5, v4, s[6:7] offset:4
	s_and_b32 exec_lo, exec_lo, vcc_lo
	s_cbranch_execz .LBB294_6
; %bb.4:
	v_mad_u64_u32 v[4:5], null, s2, v1, 0
	v_mad_u64_u32 v[6:7], null, s2, v3, 0
	s_clause 0x4
	s_load_dwordx2 s[16:17], s[4:5], 0x20
	s_load_dwordx2 s[6:7], s[4:5], 0x58
	;; [unrolled: 1-line block ×4, first 2 shown]
	s_load_dword s5, s[4:5], 0x0
	v_mul_lo_u32 v10, s15, v3
	s_mul_i32 s0, s2, s0
	s_mul_i32 s18, s2, s3
	v_mad_u64_u32 v[8:9], null, s3, v1, v[5:6]
	v_lshlrev_b32_e32 v9, 4, v1
	s_mul_hi_u32 s19, s2, s2
	v_add3_u32 v2, v2, s0, v10
	s_add_i32 s4, s19, s18
	v_mov_b32_e32 v5, v8
	v_mad_u64_u32 v[7:8], null, s3, v3, v[7:8]
	v_lshlrev_b32_e32 v8, 4, v3
	s_add_i32 s4, s4, s18
	v_lshlrev_b64 v[4:5], 4, v[4:5]
	s_waitcnt lgkmcnt(0)
	s_cmp_eq_u32 s5, 0
	s_mov_b32 s5, 0
	v_add_co_u32 v11, vcc_lo, s16, v4
	v_lshlrev_b64 v[3:4], 4, v[6:7]
	v_add_co_ci_u32_e64 v5, null, s17, v5, vcc_lo
	v_add_co_u32 v7, vcc_lo, v11, v8
	v_add_co_ci_u32_e64 v8, null, 0, v5, vcc_lo
	v_add_co_u32 v3, vcc_lo, s16, v3
	v_add_co_ci_u32_e64 v4, null, s17, v4, vcc_lo
	v_mad_u64_u32 v[5:6], null, s2, v2, v[1:2]
	v_add_co_u32 v9, vcc_lo, v3, v9
	v_add_co_ci_u32_e64 v10, null, 0, v4, vcc_lo
	v_add_co_u32 v2, s0, v1, s1
	s_cselect_b32 vcc_lo, -1, 0
	v_add_co_ci_u32_e64 v3, null, 0, 0, s0
	v_mov_b32_e32 v4, 0
	v_cndmask_b32_e32 v6, v8, v10, vcc_lo
	v_cndmask_b32_e32 v7, v7, v9, vcc_lo
	s_lshl_b32 s15, s2, 2
.LBB294_5:                              ; =>This Inner Loop Header: Depth=1
	v_ashrrev_i32_e32 v1, 31, v0
	v_mul_lo_u32 v14, s4, v0
	v_mad_u64_u32 v[8:9], null, s14, v0, 0
	v_ashrrev_i64 v[16:17], 28, v[4:5]
	v_lshlrev_b64 v[10:11], 3, v[0:1]
	v_mul_lo_u32 v1, s14, v1
	v_add_nc_u32_e32 v0, 4, v0
	v_add_co_u32 v10, vcc_lo, s8, v10
	v_add_co_ci_u32_e64 v11, null, s9, v11, vcc_lo
	v_add3_u32 v9, v9, v1, v14
	v_ashrrev_i64 v[14:15], 29, v[4:5]
	global_load_dwordx2 v[12:13], v[10:11], off
	v_lshlrev_b64 v[8:9], 4, v[8:9]
	v_add_co_u32 v14, s0, s6, v14
	v_add_co_ci_u32_e64 v15, null, s7, v15, s0
	v_add_co_u32 v8, vcc_lo, v7, v8
	v_add_co_ci_u32_e64 v9, null, v6, v9, vcc_lo
	v_add_co_u32 v16, s0, s10, v16
	v_add_co_u32 v4, vcc_lo, v4, 0
	global_load_dwordx4 v[8:11], v[8:9], off
	v_add_co_ci_u32_e64 v17, null, s11, v17, s0
	v_cmp_le_i32_e64 s0, s13, v0
	v_add_co_ci_u32_e64 v5, null, s15, v5, vcc_lo
	s_or_b32 s5, s0, s5
	s_waitcnt vmcnt(1)
	v_sub_co_u32 v1, s1, v12, s12
	v_subrev_co_ci_u32_e64 v12, null, 0, v13, s1
	v_mul_lo_u32 v18, v1, s3
	v_mul_lo_u32 v19, v12, s2
	v_mad_u64_u32 v[12:13], null, v1, s2, v[2:3]
	v_add3_u32 v13, v19, v13, v18
	s_waitcnt vmcnt(0)
	global_store_dwordx4 v[16:17], v[8:11], off
	global_store_dwordx2 v[14:15], v[12:13], off
	s_andn2_b32 exec_lo, exec_lo, s5
	s_cbranch_execnz .LBB294_5
.LBB294_6:
	s_endpgm
	.section	.rodata,"a",@progbits
	.p2align	6, 0x0
	.amdhsa_kernel _ZN9rocsparseL33bsr2csr_block_per_row_8_32_kernelILj1024ELj16E21rocsparse_complex_numIdEilEEv20rocsparse_direction_T3_S4_21rocsparse_index_base_PKT1_PKT2_PKS4_S4_S5_PS6_PS9_PS4_
		.amdhsa_group_segment_fixed_size 0
		.amdhsa_private_segment_fixed_size 0
		.amdhsa_kernarg_size 96
		.amdhsa_user_sgpr_count 6
		.amdhsa_user_sgpr_private_segment_buffer 1
		.amdhsa_user_sgpr_dispatch_ptr 0
		.amdhsa_user_sgpr_queue_ptr 0
		.amdhsa_user_sgpr_kernarg_segment_ptr 1
		.amdhsa_user_sgpr_dispatch_id 0
		.amdhsa_user_sgpr_flat_scratch_init 0
		.amdhsa_user_sgpr_private_segment_size 0
		.amdhsa_wavefront_size32 1
		.amdhsa_uses_dynamic_stack 0
		.amdhsa_system_sgpr_private_segment_wavefront_offset 0
		.amdhsa_system_sgpr_workgroup_id_x 1
		.amdhsa_system_sgpr_workgroup_id_y 0
		.amdhsa_system_sgpr_workgroup_id_z 0
		.amdhsa_system_sgpr_workgroup_info 0
		.amdhsa_system_vgpr_workitem_id 0
		.amdhsa_next_free_vgpr 20
		.amdhsa_next_free_sgpr 20
		.amdhsa_reserve_vcc 1
		.amdhsa_reserve_flat_scratch 0
		.amdhsa_float_round_mode_32 0
		.amdhsa_float_round_mode_16_64 0
		.amdhsa_float_denorm_mode_32 3
		.amdhsa_float_denorm_mode_16_64 3
		.amdhsa_dx10_clamp 1
		.amdhsa_ieee_mode 1
		.amdhsa_fp16_overflow 0
		.amdhsa_workgroup_processor_mode 1
		.amdhsa_memory_ordered 1
		.amdhsa_forward_progress 1
		.amdhsa_shared_vgpr_count 0
		.amdhsa_exception_fp_ieee_invalid_op 0
		.amdhsa_exception_fp_denorm_src 0
		.amdhsa_exception_fp_ieee_div_zero 0
		.amdhsa_exception_fp_ieee_overflow 0
		.amdhsa_exception_fp_ieee_underflow 0
		.amdhsa_exception_fp_ieee_inexact 0
		.amdhsa_exception_int_div_zero 0
	.end_amdhsa_kernel
	.section	.text._ZN9rocsparseL33bsr2csr_block_per_row_8_32_kernelILj1024ELj16E21rocsparse_complex_numIdEilEEv20rocsparse_direction_T3_S4_21rocsparse_index_base_PKT1_PKT2_PKS4_S4_S5_PS6_PS9_PS4_,"axG",@progbits,_ZN9rocsparseL33bsr2csr_block_per_row_8_32_kernelILj1024ELj16E21rocsparse_complex_numIdEilEEv20rocsparse_direction_T3_S4_21rocsparse_index_base_PKT1_PKT2_PKS4_S4_S5_PS6_PS9_PS4_,comdat
.Lfunc_end294:
	.size	_ZN9rocsparseL33bsr2csr_block_per_row_8_32_kernelILj1024ELj16E21rocsparse_complex_numIdEilEEv20rocsparse_direction_T3_S4_21rocsparse_index_base_PKT1_PKT2_PKS4_S4_S5_PS6_PS9_PS4_, .Lfunc_end294-_ZN9rocsparseL33bsr2csr_block_per_row_8_32_kernelILj1024ELj16E21rocsparse_complex_numIdEilEEv20rocsparse_direction_T3_S4_21rocsparse_index_base_PKT1_PKT2_PKS4_S4_S5_PS6_PS9_PS4_
                                        ; -- End function
	.set _ZN9rocsparseL33bsr2csr_block_per_row_8_32_kernelILj1024ELj16E21rocsparse_complex_numIdEilEEv20rocsparse_direction_T3_S4_21rocsparse_index_base_PKT1_PKT2_PKS4_S4_S5_PS6_PS9_PS4_.num_vgpr, 20
	.set _ZN9rocsparseL33bsr2csr_block_per_row_8_32_kernelILj1024ELj16E21rocsparse_complex_numIdEilEEv20rocsparse_direction_T3_S4_21rocsparse_index_base_PKT1_PKT2_PKS4_S4_S5_PS6_PS9_PS4_.num_agpr, 0
	.set _ZN9rocsparseL33bsr2csr_block_per_row_8_32_kernelILj1024ELj16E21rocsparse_complex_numIdEilEEv20rocsparse_direction_T3_S4_21rocsparse_index_base_PKT1_PKT2_PKS4_S4_S5_PS6_PS9_PS4_.numbered_sgpr, 20
	.set _ZN9rocsparseL33bsr2csr_block_per_row_8_32_kernelILj1024ELj16E21rocsparse_complex_numIdEilEEv20rocsparse_direction_T3_S4_21rocsparse_index_base_PKT1_PKT2_PKS4_S4_S5_PS6_PS9_PS4_.num_named_barrier, 0
	.set _ZN9rocsparseL33bsr2csr_block_per_row_8_32_kernelILj1024ELj16E21rocsparse_complex_numIdEilEEv20rocsparse_direction_T3_S4_21rocsparse_index_base_PKT1_PKT2_PKS4_S4_S5_PS6_PS9_PS4_.private_seg_size, 0
	.set _ZN9rocsparseL33bsr2csr_block_per_row_8_32_kernelILj1024ELj16E21rocsparse_complex_numIdEilEEv20rocsparse_direction_T3_S4_21rocsparse_index_base_PKT1_PKT2_PKS4_S4_S5_PS6_PS9_PS4_.uses_vcc, 1
	.set _ZN9rocsparseL33bsr2csr_block_per_row_8_32_kernelILj1024ELj16E21rocsparse_complex_numIdEilEEv20rocsparse_direction_T3_S4_21rocsparse_index_base_PKT1_PKT2_PKS4_S4_S5_PS6_PS9_PS4_.uses_flat_scratch, 0
	.set _ZN9rocsparseL33bsr2csr_block_per_row_8_32_kernelILj1024ELj16E21rocsparse_complex_numIdEilEEv20rocsparse_direction_T3_S4_21rocsparse_index_base_PKT1_PKT2_PKS4_S4_S5_PS6_PS9_PS4_.has_dyn_sized_stack, 0
	.set _ZN9rocsparseL33bsr2csr_block_per_row_8_32_kernelILj1024ELj16E21rocsparse_complex_numIdEilEEv20rocsparse_direction_T3_S4_21rocsparse_index_base_PKT1_PKT2_PKS4_S4_S5_PS6_PS9_PS4_.has_recursion, 0
	.set _ZN9rocsparseL33bsr2csr_block_per_row_8_32_kernelILj1024ELj16E21rocsparse_complex_numIdEilEEv20rocsparse_direction_T3_S4_21rocsparse_index_base_PKT1_PKT2_PKS4_S4_S5_PS6_PS9_PS4_.has_indirect_call, 0
	.section	.AMDGPU.csdata,"",@progbits
; Kernel info:
; codeLenInByte = 788
; TotalNumSgprs: 22
; NumVgprs: 20
; ScratchSize: 0
; MemoryBound: 0
; FloatMode: 240
; IeeeMode: 1
; LDSByteSize: 0 bytes/workgroup (compile time only)
; SGPRBlocks: 0
; VGPRBlocks: 2
; NumSGPRsForWavesPerEU: 22
; NumVGPRsForWavesPerEU: 20
; Occupancy: 16
; WaveLimiterHint : 0
; COMPUTE_PGM_RSRC2:SCRATCH_EN: 0
; COMPUTE_PGM_RSRC2:USER_SGPR: 6
; COMPUTE_PGM_RSRC2:TRAP_HANDLER: 0
; COMPUTE_PGM_RSRC2:TGID_X_EN: 1
; COMPUTE_PGM_RSRC2:TGID_Y_EN: 0
; COMPUTE_PGM_RSRC2:TGID_Z_EN: 0
; COMPUTE_PGM_RSRC2:TIDIG_COMP_CNT: 0
	.section	.text._ZN9rocsparseL33bsr2csr_block_per_row_8_32_kernelILj1024ELj32E21rocsparse_complex_numIdEilEEv20rocsparse_direction_T3_S4_21rocsparse_index_base_PKT1_PKT2_PKS4_S4_S5_PS6_PS9_PS4_,"axG",@progbits,_ZN9rocsparseL33bsr2csr_block_per_row_8_32_kernelILj1024ELj32E21rocsparse_complex_numIdEilEEv20rocsparse_direction_T3_S4_21rocsparse_index_base_PKT1_PKT2_PKS4_S4_S5_PS6_PS9_PS4_,comdat
	.globl	_ZN9rocsparseL33bsr2csr_block_per_row_8_32_kernelILj1024ELj32E21rocsparse_complex_numIdEilEEv20rocsparse_direction_T3_S4_21rocsparse_index_base_PKT1_PKT2_PKS4_S4_S5_PS6_PS9_PS4_ ; -- Begin function _ZN9rocsparseL33bsr2csr_block_per_row_8_32_kernelILj1024ELj32E21rocsparse_complex_numIdEilEEv20rocsparse_direction_T3_S4_21rocsparse_index_base_PKT1_PKT2_PKS4_S4_S5_PS6_PS9_PS4_
	.p2align	8
	.type	_ZN9rocsparseL33bsr2csr_block_per_row_8_32_kernelILj1024ELj32E21rocsparse_complex_numIdEilEEv20rocsparse_direction_T3_S4_21rocsparse_index_base_PKT1_PKT2_PKS4_S4_S5_PS6_PS9_PS4_,@function
_ZN9rocsparseL33bsr2csr_block_per_row_8_32_kernelILj1024ELj32E21rocsparse_complex_numIdEilEEv20rocsparse_direction_T3_S4_21rocsparse_index_base_PKT1_PKT2_PKS4_S4_S5_PS6_PS9_PS4_: ; @_ZN9rocsparseL33bsr2csr_block_per_row_8_32_kernelILj1024ELj32E21rocsparse_complex_numIdEilEEv20rocsparse_direction_T3_S4_21rocsparse_index_base_PKT1_PKT2_PKS4_S4_S5_PS6_PS9_PS4_
; %bb.0:
	s_clause 0x2
	s_load_dwordx2 s[2:3], s[4:5], 0x28
	s_load_dword s1, s[4:5], 0x40
	s_load_dwordx2 s[10:11], s[4:5], 0x50
	s_mov_b32 s7, 0
	v_or_b32_e32 v1, s6, v0
	s_lshl_b64 s[8:9], s[6:7], 2
	s_mov_b32 s0, exec_lo
	s_waitcnt lgkmcnt(0)
	s_add_u32 s8, s2, s8
	s_addc_u32 s9, s3, s9
	v_cmpx_eq_u32_e32 0, v1
	s_cbranch_execz .LBB295_2
; %bb.1:
	v_mov_b32_e32 v1, 0
	v_mov_b32_e32 v2, s1
	global_store_dword v1, v2, s[10:11]
.LBB295_2:
	s_or_b32 exec_lo, exec_lo, s0
	s_load_dwordx2 s[2:3], s[4:5], 0x38
	v_mov_b32_e32 v1, 0
	v_lshrrev_b32_e32 v2, 5, v0
	v_and_b32_e32 v0, 31, v0
	v_mov_b32_e32 v3, v1
	s_waitcnt lgkmcnt(0)
	v_cmp_gt_i64_e32 vcc_lo, s[2:3], v[2:3]
	v_cmp_gt_i64_e64 s0, s[2:3], v[0:1]
	s_and_b32 s0, vcc_lo, s0
	s_and_saveexec_b32 s7, s0
	s_cbranch_execz .LBB295_6
; %bb.3:
	s_load_dwordx2 s[14:15], s[8:9], 0x0
	s_load_dword s12, s[4:5], 0x18
	s_mul_i32 s7, s3, s6
	s_mul_hi_u32 s17, s2, s6
	s_mul_i32 s8, s2, s2
	s_mul_i32 s6, s2, s6
	s_add_i32 s7, s17, s7
	v_lshlrev_b32_e32 v3, 2, v2
	s_lshl_b64 s[6:7], s[6:7], 2
	s_waitcnt lgkmcnt(0)
	s_sub_i32 s0, s14, s12
	s_sub_i32 s13, s15, s12
	s_mul_i32 s17, s8, s0
	s_sub_i32 s9, s13, s0
	s_mul_i32 s16, s2, s9
	v_mul_lo_u32 v1, s16, v2
	s_add_i32 s16, s1, s16
	s_add_u32 s6, s10, s6
	s_addc_u32 s7, s11, s7
	s_cmp_ge_i32 s14, s15
	v_add3_u32 v1, s16, s17, v1
	global_store_dword v3, v1, s[6:7] offset:4
	s_cbranch_scc1 .LBB295_6
; %bb.4:
	v_mad_u64_u32 v[3:4], null, s2, v0, 0
	v_mad_u64_u32 v[5:6], null, s2, v2, 0
	s_clause 0x3
	s_load_dwordx2 s[10:11], s[4:5], 0x30
	s_load_dwordx2 s[6:7], s[4:5], 0x48
	s_load_dword s16, s[4:5], 0x0
	s_load_dwordx2 s[14:15], s[4:5], 0x20
	v_lshlrev_b32_e32 v9, 4, v0
	s_mul_i32 s17, s2, s3
	s_mul_hi_u32 s18, s2, s2
	v_mov_b32_e32 v1, v4
	s_add_i32 s18, s18, s17
	v_mov_b32_e32 v4, v6
	s_load_dwordx2 s[4:5], s[4:5], 0x58
	v_mad_u64_u32 v[6:7], null, s3, v0, v[1:2]
	v_mad_u64_u32 v[7:8], null, s3, v2, v[4:5]
	v_lshlrev_b32_e32 v8, 4, v2
	v_mul_lo_u32 v1, v2, s9
	s_add_i32 s9, s18, s17
	v_mov_b32_e32 v4, v6
	v_mov_b32_e32 v6, v7
	s_waitcnt lgkmcnt(0)
	s_cmp_eq_u32 s16, 0
	v_lshlrev_b64 v[3:4], 4, v[3:4]
	v_lshlrev_b64 v[5:6], 4, v[5:6]
	v_add_co_u32 v2, vcc_lo, s14, v3
	v_add_co_ci_u32_e64 v3, null, s15, v4, vcc_lo
	v_add_co_u32 v4, vcc_lo, s14, v5
	v_add_co_ci_u32_e64 v5, null, s15, v6, vcc_lo
	;; [unrolled: 2-line block ×4, first 2 shown]
	v_mad_u64_u32 v[4:5], null, s2, s0, v[1:2]
	v_add_co_u32 v1, s1, v0, s1
	v_add_co_ci_u32_e64 v2, null, 0, 0, s1
	s_cselect_b32 vcc_lo, -1, 0
	s_ashr_i32 s1, s0, 31
	v_mad_u64_u32 v[4:5], null, s2, v4, v[0:1]
	s_lshl_b64 s[14:15], s[0:1], 3
	s_mul_i32 s1, s8, s1
	s_add_u32 s10, s10, s14
	s_mul_hi_u32 s14, s8, s0
	s_addc_u32 s11, s11, s15
	s_add_i32 s1, s14, s1
	s_mul_i32 s14, s9, s0
	v_cndmask_b32_e32 v0, v6, v8, vcc_lo
	s_add_i32 s15, s1, s14
	s_mul_i32 s14, s8, s0
	v_cndmask_b32_e32 v7, v7, v9, vcc_lo
	s_lshl_b64 s[14:15], s[14:15], 4
	v_mov_b32_e32 v3, 0
	v_add_co_u32 v5, vcc_lo, v0, s14
	v_add_co_ci_u32_e64 v6, null, s15, v7, vcc_lo
	s_mov_b32 s1, s2
	s_lshl_b64 s[8:9], s[8:9], 4
	s_inst_prefetch 0x1
	.p2align	6
.LBB295_5:                              ; =>This Inner Loop Header: Depth=1
	global_load_dwordx4 v[7:10], v[5:6], off
	s_load_dwordx2 s[14:15], s[10:11], 0x0
	v_ashrrev_i64 v[11:12], 29, v[3:4]
	v_ashrrev_i64 v[13:14], 28, v[3:4]
	v_add_co_u32 v3, vcc_lo, v3, 0
	v_add_co_ci_u32_e64 v4, null, s1, v4, vcc_lo
	v_add_co_u32 v5, vcc_lo, v5, s8
	v_add_co_ci_u32_e64 v6, null, s9, v6, vcc_lo
	;; [unrolled: 2-line block ×4, first 2 shown]
	s_waitcnt lgkmcnt(0)
	s_sub_u32 s14, s14, s12
	s_subb_u32 s15, s15, 0
	v_mad_u64_u32 v[15:16], null, s14, s2, v[1:2]
	s_mul_i32 s14, s14, s3
	s_mul_i32 s15, s15, s2
	s_add_i32 s0, s0, 1
	s_add_u32 s10, s10, 8
	s_addc_u32 s11, s11, 0
	s_cmp_lt_i32 s0, s13
	v_add3_u32 v16, s14, s15, v16
	global_store_dwordx2 v[11:12], v[15:16], off
	s_waitcnt vmcnt(0)
	global_store_dwordx4 v[13:14], v[7:10], off
	s_cbranch_scc1 .LBB295_5
.LBB295_6:
	s_inst_prefetch 0x2
	s_endpgm
	.section	.rodata,"a",@progbits
	.p2align	6, 0x0
	.amdhsa_kernel _ZN9rocsparseL33bsr2csr_block_per_row_8_32_kernelILj1024ELj32E21rocsparse_complex_numIdEilEEv20rocsparse_direction_T3_S4_21rocsparse_index_base_PKT1_PKT2_PKS4_S4_S5_PS6_PS9_PS4_
		.amdhsa_group_segment_fixed_size 0
		.amdhsa_private_segment_fixed_size 0
		.amdhsa_kernarg_size 96
		.amdhsa_user_sgpr_count 6
		.amdhsa_user_sgpr_private_segment_buffer 1
		.amdhsa_user_sgpr_dispatch_ptr 0
		.amdhsa_user_sgpr_queue_ptr 0
		.amdhsa_user_sgpr_kernarg_segment_ptr 1
		.amdhsa_user_sgpr_dispatch_id 0
		.amdhsa_user_sgpr_flat_scratch_init 0
		.amdhsa_user_sgpr_private_segment_size 0
		.amdhsa_wavefront_size32 1
		.amdhsa_uses_dynamic_stack 0
		.amdhsa_system_sgpr_private_segment_wavefront_offset 0
		.amdhsa_system_sgpr_workgroup_id_x 1
		.amdhsa_system_sgpr_workgroup_id_y 0
		.amdhsa_system_sgpr_workgroup_id_z 0
		.amdhsa_system_sgpr_workgroup_info 0
		.amdhsa_system_vgpr_workitem_id 0
		.amdhsa_next_free_vgpr 17
		.amdhsa_next_free_sgpr 19
		.amdhsa_reserve_vcc 1
		.amdhsa_reserve_flat_scratch 0
		.amdhsa_float_round_mode_32 0
		.amdhsa_float_round_mode_16_64 0
		.amdhsa_float_denorm_mode_32 3
		.amdhsa_float_denorm_mode_16_64 3
		.amdhsa_dx10_clamp 1
		.amdhsa_ieee_mode 1
		.amdhsa_fp16_overflow 0
		.amdhsa_workgroup_processor_mode 1
		.amdhsa_memory_ordered 1
		.amdhsa_forward_progress 1
		.amdhsa_shared_vgpr_count 0
		.amdhsa_exception_fp_ieee_invalid_op 0
		.amdhsa_exception_fp_denorm_src 0
		.amdhsa_exception_fp_ieee_div_zero 0
		.amdhsa_exception_fp_ieee_overflow 0
		.amdhsa_exception_fp_ieee_underflow 0
		.amdhsa_exception_fp_ieee_inexact 0
		.amdhsa_exception_int_div_zero 0
	.end_amdhsa_kernel
	.section	.text._ZN9rocsparseL33bsr2csr_block_per_row_8_32_kernelILj1024ELj32E21rocsparse_complex_numIdEilEEv20rocsparse_direction_T3_S4_21rocsparse_index_base_PKT1_PKT2_PKS4_S4_S5_PS6_PS9_PS4_,"axG",@progbits,_ZN9rocsparseL33bsr2csr_block_per_row_8_32_kernelILj1024ELj32E21rocsparse_complex_numIdEilEEv20rocsparse_direction_T3_S4_21rocsparse_index_base_PKT1_PKT2_PKS4_S4_S5_PS6_PS9_PS4_,comdat
.Lfunc_end295:
	.size	_ZN9rocsparseL33bsr2csr_block_per_row_8_32_kernelILj1024ELj32E21rocsparse_complex_numIdEilEEv20rocsparse_direction_T3_S4_21rocsparse_index_base_PKT1_PKT2_PKS4_S4_S5_PS6_PS9_PS4_, .Lfunc_end295-_ZN9rocsparseL33bsr2csr_block_per_row_8_32_kernelILj1024ELj32E21rocsparse_complex_numIdEilEEv20rocsparse_direction_T3_S4_21rocsparse_index_base_PKT1_PKT2_PKS4_S4_S5_PS6_PS9_PS4_
                                        ; -- End function
	.set _ZN9rocsparseL33bsr2csr_block_per_row_8_32_kernelILj1024ELj32E21rocsparse_complex_numIdEilEEv20rocsparse_direction_T3_S4_21rocsparse_index_base_PKT1_PKT2_PKS4_S4_S5_PS6_PS9_PS4_.num_vgpr, 17
	.set _ZN9rocsparseL33bsr2csr_block_per_row_8_32_kernelILj1024ELj32E21rocsparse_complex_numIdEilEEv20rocsparse_direction_T3_S4_21rocsparse_index_base_PKT1_PKT2_PKS4_S4_S5_PS6_PS9_PS4_.num_agpr, 0
	.set _ZN9rocsparseL33bsr2csr_block_per_row_8_32_kernelILj1024ELj32E21rocsparse_complex_numIdEilEEv20rocsparse_direction_T3_S4_21rocsparse_index_base_PKT1_PKT2_PKS4_S4_S5_PS6_PS9_PS4_.numbered_sgpr, 19
	.set _ZN9rocsparseL33bsr2csr_block_per_row_8_32_kernelILj1024ELj32E21rocsparse_complex_numIdEilEEv20rocsparse_direction_T3_S4_21rocsparse_index_base_PKT1_PKT2_PKS4_S4_S5_PS6_PS9_PS4_.num_named_barrier, 0
	.set _ZN9rocsparseL33bsr2csr_block_per_row_8_32_kernelILj1024ELj32E21rocsparse_complex_numIdEilEEv20rocsparse_direction_T3_S4_21rocsparse_index_base_PKT1_PKT2_PKS4_S4_S5_PS6_PS9_PS4_.private_seg_size, 0
	.set _ZN9rocsparseL33bsr2csr_block_per_row_8_32_kernelILj1024ELj32E21rocsparse_complex_numIdEilEEv20rocsparse_direction_T3_S4_21rocsparse_index_base_PKT1_PKT2_PKS4_S4_S5_PS6_PS9_PS4_.uses_vcc, 1
	.set _ZN9rocsparseL33bsr2csr_block_per_row_8_32_kernelILj1024ELj32E21rocsparse_complex_numIdEilEEv20rocsparse_direction_T3_S4_21rocsparse_index_base_PKT1_PKT2_PKS4_S4_S5_PS6_PS9_PS4_.uses_flat_scratch, 0
	.set _ZN9rocsparseL33bsr2csr_block_per_row_8_32_kernelILj1024ELj32E21rocsparse_complex_numIdEilEEv20rocsparse_direction_T3_S4_21rocsparse_index_base_PKT1_PKT2_PKS4_S4_S5_PS6_PS9_PS4_.has_dyn_sized_stack, 0
	.set _ZN9rocsparseL33bsr2csr_block_per_row_8_32_kernelILj1024ELj32E21rocsparse_complex_numIdEilEEv20rocsparse_direction_T3_S4_21rocsparse_index_base_PKT1_PKT2_PKS4_S4_S5_PS6_PS9_PS4_.has_recursion, 0
	.set _ZN9rocsparseL33bsr2csr_block_per_row_8_32_kernelILj1024ELj32E21rocsparse_complex_numIdEilEEv20rocsparse_direction_T3_S4_21rocsparse_index_base_PKT1_PKT2_PKS4_S4_S5_PS6_PS9_PS4_.has_indirect_call, 0
	.section	.AMDGPU.csdata,"",@progbits
; Kernel info:
; codeLenInByte = 820
; TotalNumSgprs: 21
; NumVgprs: 17
; ScratchSize: 0
; MemoryBound: 0
; FloatMode: 240
; IeeeMode: 1
; LDSByteSize: 0 bytes/workgroup (compile time only)
; SGPRBlocks: 0
; VGPRBlocks: 2
; NumSGPRsForWavesPerEU: 21
; NumVGPRsForWavesPerEU: 17
; Occupancy: 16
; WaveLimiterHint : 0
; COMPUTE_PGM_RSRC2:SCRATCH_EN: 0
; COMPUTE_PGM_RSRC2:USER_SGPR: 6
; COMPUTE_PGM_RSRC2:TRAP_HANDLER: 0
; COMPUTE_PGM_RSRC2:TGID_X_EN: 1
; COMPUTE_PGM_RSRC2:TGID_Y_EN: 0
; COMPUTE_PGM_RSRC2:TGID_Z_EN: 0
; COMPUTE_PGM_RSRC2:TIDIG_COMP_CNT: 0
	.section	.text._ZN9rocsparseL35bsr2csr_block_per_row_33_256_kernelILj1024ELj64ELj32E21rocsparse_complex_numIdEilEEv20rocsparse_direction_T4_S4_21rocsparse_index_base_PKT2_PKT3_PKS4_S4_S5_PS6_PS9_PS4_,"axG",@progbits,_ZN9rocsparseL35bsr2csr_block_per_row_33_256_kernelILj1024ELj64ELj32E21rocsparse_complex_numIdEilEEv20rocsparse_direction_T4_S4_21rocsparse_index_base_PKT2_PKT3_PKS4_S4_S5_PS6_PS9_PS4_,comdat
	.globl	_ZN9rocsparseL35bsr2csr_block_per_row_33_256_kernelILj1024ELj64ELj32E21rocsparse_complex_numIdEilEEv20rocsparse_direction_T4_S4_21rocsparse_index_base_PKT2_PKT3_PKS4_S4_S5_PS6_PS9_PS4_ ; -- Begin function _ZN9rocsparseL35bsr2csr_block_per_row_33_256_kernelILj1024ELj64ELj32E21rocsparse_complex_numIdEilEEv20rocsparse_direction_T4_S4_21rocsparse_index_base_PKT2_PKT3_PKS4_S4_S5_PS6_PS9_PS4_
	.p2align	8
	.type	_ZN9rocsparseL35bsr2csr_block_per_row_33_256_kernelILj1024ELj64ELj32E21rocsparse_complex_numIdEilEEv20rocsparse_direction_T4_S4_21rocsparse_index_base_PKT2_PKT3_PKS4_S4_S5_PS6_PS9_PS4_,@function
_ZN9rocsparseL35bsr2csr_block_per_row_33_256_kernelILj1024ELj64ELj32E21rocsparse_complex_numIdEilEEv20rocsparse_direction_T4_S4_21rocsparse_index_base_PKT2_PKT3_PKS4_S4_S5_PS6_PS9_PS4_: ; @_ZN9rocsparseL35bsr2csr_block_per_row_33_256_kernelILj1024ELj64ELj32E21rocsparse_complex_numIdEilEEv20rocsparse_direction_T4_S4_21rocsparse_index_base_PKT2_PKT3_PKS4_S4_S5_PS6_PS9_PS4_
; %bb.0:
	s_load_dwordx2 s[0:1], s[4:5], 0x28
	s_mov_b32 s7, 0
	s_clause 0x1
	s_load_dword s16, s[4:5], 0x40
	s_load_dwordx2 s[12:13], s[4:5], 0x50
	s_lshl_b64 s[2:3], s[6:7], 2
	v_or_b32_e32 v1, s6, v0
	s_waitcnt lgkmcnt(0)
	s_add_u32 s0, s0, s2
	s_addc_u32 s1, s1, s3
	s_load_dwordx2 s[2:3], s[0:1], 0x0
	s_mov_b32 s0, exec_lo
	v_cmpx_eq_u32_e32 0, v1
	s_cbranch_execz .LBB296_2
; %bb.1:
	v_mov_b32_e32 v1, 0
	v_mov_b32_e32 v2, s16
	global_store_dword v1, v2, s[12:13]
.LBB296_2:
	s_or_b32 exec_lo, exec_lo, s0
	s_clause 0x1
	s_load_dword s17, s[4:5], 0x18
	s_load_dwordx2 s[8:9], s[4:5], 0x38
	v_mov_b32_e32 v5, 0
	v_lshrrev_b32_e32 v4, 5, v0
	v_lshlrev_b32_e32 v1, 2, v4
	s_waitcnt lgkmcnt(0)
	s_sub_i32 s10, s2, s17
	s_sub_i32 s18, s3, s17
	s_mul_i32 s7, s8, s9
	s_mul_hi_u32 s1, s8, s8
	s_mul_i32 s15, s9, s6
	s_mul_hi_u32 s19, s8, s6
	s_mul_i32 s0, s8, s6
	s_add_i32 s6, s1, s7
	s_sub_i32 s22, s18, s10
	s_add_i32 s1, s19, s15
	s_add_i32 s15, s6, s7
	s_mul_i32 s19, s8, s22
	s_lshl_b64 s[6:7], s[0:1], 2
	v_cmp_gt_i64_e64 s0, s[8:9], v[4:5]
	s_mul_i32 s14, s8, s8
	s_add_i32 s20, s16, s19
	s_add_u32 s6, s12, s6
	s_mul_i32 s11, s14, s10
	s_addc_u32 s7, s13, s7
	s_and_saveexec_b32 s1, s0
	s_cbranch_execz .LBB296_4
; %bb.3:
	v_mul_lo_u32 v2, v4, s19
	v_add3_u32 v2, s20, s11, v2
	global_store_dword v1, v2, s[6:7] offset:4
.LBB296_4:
	s_or_b32 exec_lo, exec_lo, s1
	v_or_b32_e32 v6, 32, v4
	v_mov_b32_e32 v7, v5
	v_cmp_gt_i64_e64 s1, s[8:9], v[6:7]
	s_and_saveexec_b32 s12, s1
	s_cbranch_execz .LBB296_6
; %bb.5:
	v_mul_lo_u32 v2, v6, s19
	v_add3_u32 v2, s20, s11, v2
	global_store_dword v1, v2, s[6:7] offset:132
.LBB296_6:
	s_or_b32 exec_lo, exec_lo, s12
	s_cmp_lt_i32 s2, s3
	s_cbranch_scc0 .LBB296_17
; %bb.7:
	s_clause 0x2
	s_load_dwordx2 s[12:13], s[4:5], 0x30
	s_load_dwordx2 s[6:7], s[4:5], 0x48
	s_load_dword s11, s[4:5], 0x0
	v_and_b32_e32 v0, 31, v0
	v_mov_b32_e32 v1, 0
	s_mul_hi_u32 s23, s8, s10
	s_mul_i32 s24, s8, s10
	s_mul_i32 s25, s9, s10
	v_or_b32_e32 v2, 32, v0
	v_mov_b32_e32 v3, v1
	v_cmp_gt_i64_e64 s2, s[8:9], v[0:1]
	v_lshlrev_b32_e32 v9, 4, v4
	v_mad_u64_u32 v[11:12], null, v6, s22, s[24:25]
	v_cmp_gt_i64_e64 s3, s[8:9], v[2:3]
	v_mad_u64_u32 v[13:14], null, v4, s22, s[24:25]
	v_lshlrev_b32_e32 v5, 4, v0
	v_mov_b32_e32 v10, v1
	v_mov_b32_e32 v6, v1
	v_mul_lo_u32 v11, s8, v11
	s_waitcnt lgkmcnt(0)
	s_cmp_eq_u32 s11, 0
	v_mul_lo_u32 v13, s8, v13
	s_cselect_b32 vcc_lo, -1, 0
	s_ashr_i32 s11, s10, 31
	s_and_b32 s19, s0, s2
	s_and_b32 s20, s0, s3
	;; [unrolled: 1-line block ×4, first 2 shown]
	s_lshl_b64 s[2:3], s[10:11], 3
	s_mul_i32 s0, s8, s11
	s_add_u32 s2, s12, s2
	s_addc_u32 s3, s13, s3
	s_add_i32 s0, s23, s0
	s_load_dwordx2 s[12:13], s[4:5], 0x20
	s_add_i32 s25, s0, s25
	s_load_dwordx2 s[4:5], s[4:5], 0x58
	s_lshl_b64 s[22:23], s[24:25], 4
	s_mov_b32 s11, s8
	v_add_co_u32 v7, s0, s22, v9
	v_add_co_ci_u32_e64 v8, null, s23, 0, s0
	s_lshl_b64 s[14:15], s[14:15], 4
	v_add_co_u32 v3, s0, 0x200, v7
	v_add_co_ci_u32_e64 v4, null, 0, v8, s0
	v_add_co_u32 v12, s0, s22, v5
	v_add_co_ci_u32_e64 v16, null, s23, 0, s0
	v_mul_lo_u32 v14, s8, v4
	v_add_co_u32 v17, s0, 0x200, v12
	v_add_co_ci_u32_e64 v18, null, 0, v16, s0
	v_mul_lo_u32 v15, s9, v3
	v_mad_u64_u32 v[3:4], null, s8, v3, v[5:6]
	v_mul_lo_u32 v19, s8, v8
	v_mul_lo_u32 v20, s9, v7
	v_mad_u64_u32 v[5:6], null, s8, v7, v[5:6]
	v_mul_lo_u32 v18, s8, v18
	;; [unrolled: 3-line block ×3, first 2 shown]
	v_mul_lo_u32 v17, s9, v12
	v_mad_u64_u32 v[9:10], null, s8, v12, v[9:10]
	v_mov_b32_e32 v12, v0
	v_add3_u32 v4, v15, v4, v14
	v_add3_u32 v6, v20, v6, v19
	;; [unrolled: 1-line block ×4, first 2 shown]
	s_branch .LBB296_9
.LBB296_8:                              ;   in Loop: Header=BB296_9 Depth=1
	s_or_b32 exec_lo, exec_lo, s24
	s_add_i32 s10, s10, 1
	v_add_co_u32 v1, s0, v1, 0
	s_add_u32 s2, s2, 8
	v_add_co_ci_u32_e64 v12, null, s11, v12, s0
	s_addc_u32 s3, s3, 0
	s_add_u32 s12, s12, s14
	s_addc_u32 s13, s13, s15
	s_cmp_ge_i32 s10, s18
	s_cbranch_scc1 .LBB296_17
.LBB296_9:                              ; =>This Inner Loop Header: Depth=1
	s_load_dwordx2 s[22:23], s[2:3], 0x0
	s_waitcnt lgkmcnt(0)
	s_sub_u32 s0, s22, s17
	s_subb_u32 s23, s23, 0
	s_mul_i32 s22, s0, s9
	s_mul_hi_u32 s24, s0, s8
	s_mul_i32 s23, s23, s8
	s_add_i32 s22, s24, s22
	s_mul_i32 s0, s0, s8
	s_add_i32 s23, s22, s23
	s_add_u32 s22, s0, s16
	s_addc_u32 s23, s23, 0
	s_and_saveexec_b32 s24, s19
	s_cbranch_execnz .LBB296_13
; %bb.10:                               ;   in Loop: Header=BB296_9 Depth=1
	s_or_b32 exec_lo, exec_lo, s24
	s_and_saveexec_b32 s24, s20
	s_cbranch_execnz .LBB296_14
.LBB296_11:                             ;   in Loop: Header=BB296_9 Depth=1
	s_or_b32 exec_lo, exec_lo, s24
	s_and_saveexec_b32 s24, s21
	s_cbranch_execnz .LBB296_15
.LBB296_12:                             ;   in Loop: Header=BB296_9 Depth=1
	s_or_b32 exec_lo, exec_lo, s24
	s_and_saveexec_b32 s24, s1
	s_cbranch_execz .LBB296_8
	s_branch .LBB296_16
.LBB296_13:                             ;   in Loop: Header=BB296_9 Depth=1
	v_add_co_u32 v14, s0, s12, v5
	v_add_co_ci_u32_e64 v15, null, s13, v6, s0
	v_add_co_u32 v16, s0, s12, v9
	v_add_co_ci_u32_e64 v17, null, s13, v10, s0
	v_add_co_u32 v18, s0, 0, v1
	v_cndmask_b32_e32 v14, v16, v14, vcc_lo
	v_cndmask_b32_e32 v15, v17, v15, vcc_lo
	v_add_co_ci_u32_e64 v19, null, v13, v12, s0
	v_add_co_u32 v22, s0, s22, v0
	global_load_dwordx4 v[14:17], v[14:15], off
	v_ashrrev_i64 v[20:21], 29, v[18:19]
	v_ashrrev_i64 v[18:19], 28, v[18:19]
	v_add_co_ci_u32_e64 v23, null, s23, 0, s0
	v_add_co_u32 v20, s0, s4, v20
	v_add_co_ci_u32_e64 v21, null, s5, v21, s0
	v_add_co_u32 v18, s0, s6, v18
	v_add_co_ci_u32_e64 v19, null, s7, v19, s0
	global_store_dwordx2 v[20:21], v[22:23], off
	s_waitcnt vmcnt(0)
	global_store_dwordx4 v[18:19], v[14:17], off
	s_or_b32 exec_lo, exec_lo, s24
	s_and_saveexec_b32 s24, s20
	s_cbranch_execz .LBB296_11
.LBB296_14:                             ;   in Loop: Header=BB296_9 Depth=1
	v_add_co_u32 v14, s0, s12, v5
	v_add_co_ci_u32_e64 v15, null, s13, v6, s0
	v_add_co_u32 v14, s0, 0x200, v14
	v_add_co_ci_u32_e64 v15, null, 0, v15, s0
	;; [unrolled: 2-line block ×3, first 2 shown]
	v_add_co_u32 v18, s0, 0, v1
	v_cndmask_b32_e32 v14, v16, v14, vcc_lo
	v_cndmask_b32_e32 v15, v17, v15, vcc_lo
	v_add_co_ci_u32_e64 v19, null, v13, v12, s0
	v_add_co_u32 v22, s0, s22, v2
	global_load_dwordx4 v[14:17], v[14:15], off
	v_add_nc_u32_e32 v19, 32, v19
	v_add_co_ci_u32_e64 v23, null, s23, 0, s0
	v_ashrrev_i64 v[20:21], 29, v[18:19]
	v_ashrrev_i64 v[18:19], 28, v[18:19]
	v_add_co_u32 v20, s0, s4, v20
	v_add_co_ci_u32_e64 v21, null, s5, v21, s0
	v_add_co_u32 v18, s0, s6, v18
	v_add_co_ci_u32_e64 v19, null, s7, v19, s0
	global_store_dwordx2 v[20:21], v[22:23], off
	s_waitcnt vmcnt(0)
	global_store_dwordx4 v[18:19], v[14:17], off
	s_or_b32 exec_lo, exec_lo, s24
	s_and_saveexec_b32 s24, s21
	s_cbranch_execz .LBB296_12
.LBB296_15:                             ;   in Loop: Header=BB296_9 Depth=1
	v_add_co_u32 v14, s0, s12, v9
	v_add_co_ci_u32_e64 v15, null, s13, v10, s0
	v_add_co_u32 v16, s0, s12, v3
	v_add_co_ci_u32_e64 v17, null, s13, v4, s0
	;; [unrolled: 2-line block ×3, first 2 shown]
	v_add_co_u32 v18, s0, 0, v1
	v_cndmask_b32_e32 v14, v14, v16, vcc_lo
	v_cndmask_b32_e32 v15, v15, v17, vcc_lo
	v_add_co_ci_u32_e64 v19, null, v11, v12, s0
	v_add_co_u32 v22, s0, s22, v0
	global_load_dwordx4 v[14:17], v[14:15], off
	v_ashrrev_i64 v[20:21], 29, v[18:19]
	v_ashrrev_i64 v[18:19], 28, v[18:19]
	v_add_co_ci_u32_e64 v23, null, s23, 0, s0
	v_add_co_u32 v20, s0, s4, v20
	v_add_co_ci_u32_e64 v21, null, s5, v21, s0
	v_add_co_u32 v18, s0, s6, v18
	v_add_co_ci_u32_e64 v19, null, s7, v19, s0
	global_store_dwordx2 v[20:21], v[22:23], off
	s_waitcnt vmcnt(0)
	global_store_dwordx4 v[18:19], v[14:17], off
	s_or_b32 exec_lo, exec_lo, s24
	s_and_saveexec_b32 s24, s1
	s_cbranch_execz .LBB296_8
.LBB296_16:                             ;   in Loop: Header=BB296_9 Depth=1
	v_add_co_u32 v14, s0, s12, v3
	v_add_co_ci_u32_e64 v15, null, s13, v4, s0
	v_add_co_u32 v16, s0, s12, v7
	v_add_co_ci_u32_e64 v17, null, s13, v8, s0
	v_add_co_u32 v14, s0, 0x200, v14
	v_add_co_ci_u32_e64 v15, null, 0, v15, s0
	v_add_co_u32 v16, s0, 0x200, v16
	v_add_co_ci_u32_e64 v17, null, 0, v17, s0
	v_add_co_u32 v18, s0, 0, v1
	v_cndmask_b32_e32 v14, v16, v14, vcc_lo
	v_cndmask_b32_e32 v15, v17, v15, vcc_lo
	v_add_co_ci_u32_e64 v19, null, v11, v12, s0
	v_add_co_u32 v22, s0, s22, v2
	global_load_dwordx4 v[14:17], v[14:15], off
	v_add_nc_u32_e32 v19, 32, v19
	v_add_co_ci_u32_e64 v23, null, s23, 0, s0
	v_ashrrev_i64 v[20:21], 29, v[18:19]
	v_ashrrev_i64 v[18:19], 28, v[18:19]
	v_add_co_u32 v20, s0, s4, v20
	v_add_co_ci_u32_e64 v21, null, s5, v21, s0
	v_add_co_u32 v18, s0, s6, v18
	v_add_co_ci_u32_e64 v19, null, s7, v19, s0
	global_store_dwordx2 v[20:21], v[22:23], off
	s_waitcnt vmcnt(0)
	global_store_dwordx4 v[18:19], v[14:17], off
	s_branch .LBB296_8
.LBB296_17:
	s_endpgm
	.section	.rodata,"a",@progbits
	.p2align	6, 0x0
	.amdhsa_kernel _ZN9rocsparseL35bsr2csr_block_per_row_33_256_kernelILj1024ELj64ELj32E21rocsparse_complex_numIdEilEEv20rocsparse_direction_T4_S4_21rocsparse_index_base_PKT2_PKT3_PKS4_S4_S5_PS6_PS9_PS4_
		.amdhsa_group_segment_fixed_size 0
		.amdhsa_private_segment_fixed_size 0
		.amdhsa_kernarg_size 96
		.amdhsa_user_sgpr_count 6
		.amdhsa_user_sgpr_private_segment_buffer 1
		.amdhsa_user_sgpr_dispatch_ptr 0
		.amdhsa_user_sgpr_queue_ptr 0
		.amdhsa_user_sgpr_kernarg_segment_ptr 1
		.amdhsa_user_sgpr_dispatch_id 0
		.amdhsa_user_sgpr_flat_scratch_init 0
		.amdhsa_user_sgpr_private_segment_size 0
		.amdhsa_wavefront_size32 1
		.amdhsa_uses_dynamic_stack 0
		.amdhsa_system_sgpr_private_segment_wavefront_offset 0
		.amdhsa_system_sgpr_workgroup_id_x 1
		.amdhsa_system_sgpr_workgroup_id_y 0
		.amdhsa_system_sgpr_workgroup_id_z 0
		.amdhsa_system_sgpr_workgroup_info 0
		.amdhsa_system_vgpr_workitem_id 0
		.amdhsa_next_free_vgpr 24
		.amdhsa_next_free_sgpr 26
		.amdhsa_reserve_vcc 1
		.amdhsa_reserve_flat_scratch 0
		.amdhsa_float_round_mode_32 0
		.amdhsa_float_round_mode_16_64 0
		.amdhsa_float_denorm_mode_32 3
		.amdhsa_float_denorm_mode_16_64 3
		.amdhsa_dx10_clamp 1
		.amdhsa_ieee_mode 1
		.amdhsa_fp16_overflow 0
		.amdhsa_workgroup_processor_mode 1
		.amdhsa_memory_ordered 1
		.amdhsa_forward_progress 1
		.amdhsa_shared_vgpr_count 0
		.amdhsa_exception_fp_ieee_invalid_op 0
		.amdhsa_exception_fp_denorm_src 0
		.amdhsa_exception_fp_ieee_div_zero 0
		.amdhsa_exception_fp_ieee_overflow 0
		.amdhsa_exception_fp_ieee_underflow 0
		.amdhsa_exception_fp_ieee_inexact 0
		.amdhsa_exception_int_div_zero 0
	.end_amdhsa_kernel
	.section	.text._ZN9rocsparseL35bsr2csr_block_per_row_33_256_kernelILj1024ELj64ELj32E21rocsparse_complex_numIdEilEEv20rocsparse_direction_T4_S4_21rocsparse_index_base_PKT2_PKT3_PKS4_S4_S5_PS6_PS9_PS4_,"axG",@progbits,_ZN9rocsparseL35bsr2csr_block_per_row_33_256_kernelILj1024ELj64ELj32E21rocsparse_complex_numIdEilEEv20rocsparse_direction_T4_S4_21rocsparse_index_base_PKT2_PKT3_PKS4_S4_S5_PS6_PS9_PS4_,comdat
.Lfunc_end296:
	.size	_ZN9rocsparseL35bsr2csr_block_per_row_33_256_kernelILj1024ELj64ELj32E21rocsparse_complex_numIdEilEEv20rocsparse_direction_T4_S4_21rocsparse_index_base_PKT2_PKT3_PKS4_S4_S5_PS6_PS9_PS4_, .Lfunc_end296-_ZN9rocsparseL35bsr2csr_block_per_row_33_256_kernelILj1024ELj64ELj32E21rocsparse_complex_numIdEilEEv20rocsparse_direction_T4_S4_21rocsparse_index_base_PKT2_PKT3_PKS4_S4_S5_PS6_PS9_PS4_
                                        ; -- End function
	.set _ZN9rocsparseL35bsr2csr_block_per_row_33_256_kernelILj1024ELj64ELj32E21rocsparse_complex_numIdEilEEv20rocsparse_direction_T4_S4_21rocsparse_index_base_PKT2_PKT3_PKS4_S4_S5_PS6_PS9_PS4_.num_vgpr, 24
	.set _ZN9rocsparseL35bsr2csr_block_per_row_33_256_kernelILj1024ELj64ELj32E21rocsparse_complex_numIdEilEEv20rocsparse_direction_T4_S4_21rocsparse_index_base_PKT2_PKT3_PKS4_S4_S5_PS6_PS9_PS4_.num_agpr, 0
	.set _ZN9rocsparseL35bsr2csr_block_per_row_33_256_kernelILj1024ELj64ELj32E21rocsparse_complex_numIdEilEEv20rocsparse_direction_T4_S4_21rocsparse_index_base_PKT2_PKT3_PKS4_S4_S5_PS6_PS9_PS4_.numbered_sgpr, 26
	.set _ZN9rocsparseL35bsr2csr_block_per_row_33_256_kernelILj1024ELj64ELj32E21rocsparse_complex_numIdEilEEv20rocsparse_direction_T4_S4_21rocsparse_index_base_PKT2_PKT3_PKS4_S4_S5_PS6_PS9_PS4_.num_named_barrier, 0
	.set _ZN9rocsparseL35bsr2csr_block_per_row_33_256_kernelILj1024ELj64ELj32E21rocsparse_complex_numIdEilEEv20rocsparse_direction_T4_S4_21rocsparse_index_base_PKT2_PKT3_PKS4_S4_S5_PS6_PS9_PS4_.private_seg_size, 0
	.set _ZN9rocsparseL35bsr2csr_block_per_row_33_256_kernelILj1024ELj64ELj32E21rocsparse_complex_numIdEilEEv20rocsparse_direction_T4_S4_21rocsparse_index_base_PKT2_PKT3_PKS4_S4_S5_PS6_PS9_PS4_.uses_vcc, 1
	.set _ZN9rocsparseL35bsr2csr_block_per_row_33_256_kernelILj1024ELj64ELj32E21rocsparse_complex_numIdEilEEv20rocsparse_direction_T4_S4_21rocsparse_index_base_PKT2_PKT3_PKS4_S4_S5_PS6_PS9_PS4_.uses_flat_scratch, 0
	.set _ZN9rocsparseL35bsr2csr_block_per_row_33_256_kernelILj1024ELj64ELj32E21rocsparse_complex_numIdEilEEv20rocsparse_direction_T4_S4_21rocsparse_index_base_PKT2_PKT3_PKS4_S4_S5_PS6_PS9_PS4_.has_dyn_sized_stack, 0
	.set _ZN9rocsparseL35bsr2csr_block_per_row_33_256_kernelILj1024ELj64ELj32E21rocsparse_complex_numIdEilEEv20rocsparse_direction_T4_S4_21rocsparse_index_base_PKT2_PKT3_PKS4_S4_S5_PS6_PS9_PS4_.has_recursion, 0
	.set _ZN9rocsparseL35bsr2csr_block_per_row_33_256_kernelILj1024ELj64ELj32E21rocsparse_complex_numIdEilEEv20rocsparse_direction_T4_S4_21rocsparse_index_base_PKT2_PKT3_PKS4_S4_S5_PS6_PS9_PS4_.has_indirect_call, 0
	.section	.AMDGPU.csdata,"",@progbits
; Kernel info:
; codeLenInByte = 1588
; TotalNumSgprs: 28
; NumVgprs: 24
; ScratchSize: 0
; MemoryBound: 0
; FloatMode: 240
; IeeeMode: 1
; LDSByteSize: 0 bytes/workgroup (compile time only)
; SGPRBlocks: 0
; VGPRBlocks: 2
; NumSGPRsForWavesPerEU: 28
; NumVGPRsForWavesPerEU: 24
; Occupancy: 16
; WaveLimiterHint : 1
; COMPUTE_PGM_RSRC2:SCRATCH_EN: 0
; COMPUTE_PGM_RSRC2:USER_SGPR: 6
; COMPUTE_PGM_RSRC2:TRAP_HANDLER: 0
; COMPUTE_PGM_RSRC2:TGID_X_EN: 1
; COMPUTE_PGM_RSRC2:TGID_Y_EN: 0
; COMPUTE_PGM_RSRC2:TGID_Z_EN: 0
; COMPUTE_PGM_RSRC2:TIDIG_COMP_CNT: 0
	.section	.text._ZN9rocsparseL35bsr2csr_block_per_row_33_256_kernelILj1024ELj128ELj32E21rocsparse_complex_numIdEilEEv20rocsparse_direction_T4_S4_21rocsparse_index_base_PKT2_PKT3_PKS4_S4_S5_PS6_PS9_PS4_,"axG",@progbits,_ZN9rocsparseL35bsr2csr_block_per_row_33_256_kernelILj1024ELj128ELj32E21rocsparse_complex_numIdEilEEv20rocsparse_direction_T4_S4_21rocsparse_index_base_PKT2_PKT3_PKS4_S4_S5_PS6_PS9_PS4_,comdat
	.globl	_ZN9rocsparseL35bsr2csr_block_per_row_33_256_kernelILj1024ELj128ELj32E21rocsparse_complex_numIdEilEEv20rocsparse_direction_T4_S4_21rocsparse_index_base_PKT2_PKT3_PKS4_S4_S5_PS6_PS9_PS4_ ; -- Begin function _ZN9rocsparseL35bsr2csr_block_per_row_33_256_kernelILj1024ELj128ELj32E21rocsparse_complex_numIdEilEEv20rocsparse_direction_T4_S4_21rocsparse_index_base_PKT2_PKT3_PKS4_S4_S5_PS6_PS9_PS4_
	.p2align	8
	.type	_ZN9rocsparseL35bsr2csr_block_per_row_33_256_kernelILj1024ELj128ELj32E21rocsparse_complex_numIdEilEEv20rocsparse_direction_T4_S4_21rocsparse_index_base_PKT2_PKT3_PKS4_S4_S5_PS6_PS9_PS4_,@function
_ZN9rocsparseL35bsr2csr_block_per_row_33_256_kernelILj1024ELj128ELj32E21rocsparse_complex_numIdEilEEv20rocsparse_direction_T4_S4_21rocsparse_index_base_PKT2_PKT3_PKS4_S4_S5_PS6_PS9_PS4_: ; @_ZN9rocsparseL35bsr2csr_block_per_row_33_256_kernelILj1024ELj128ELj32E21rocsparse_complex_numIdEilEEv20rocsparse_direction_T4_S4_21rocsparse_index_base_PKT2_PKT3_PKS4_S4_S5_PS6_PS9_PS4_
; %bb.0:
	s_load_dwordx2 s[0:1], s[4:5], 0x28
	s_mov_b32 s7, 0
	s_clause 0x1
	s_load_dword s22, s[4:5], 0x40
	s_load_dwordx2 s[2:3], s[4:5], 0x50
	s_lshl_b64 s[8:9], s[6:7], 2
	v_or_b32_e32 v1, s6, v0
	s_waitcnt lgkmcnt(0)
	s_add_u32 s0, s0, s8
	s_addc_u32 s1, s1, s9
	s_load_dwordx2 s[8:9], s[0:1], 0x0
	s_mov_b32 s0, exec_lo
	v_cmpx_eq_u32_e32 0, v1
	s_cbranch_execz .LBB297_2
; %bb.1:
	v_mov_b32_e32 v1, 0
	v_mov_b32_e32 v2, s22
	global_store_dword v1, v2, s[2:3]
.LBB297_2:
	s_or_b32 exec_lo, exec_lo, s0
	s_clause 0x1
	s_load_dword s23, s[4:5], 0x18
	s_load_dwordx2 s[10:11], s[4:5], 0x38
	v_mov_b32_e32 v9, 0
	v_lshrrev_b32_e32 v8, 5, v0
	v_lshlrev_b32_e32 v1, 2, v8
	s_waitcnt lgkmcnt(0)
	s_sub_i32 s12, s8, s23
	s_sub_i32 s24, s9, s23
	s_mul_i32 s7, s10, s11
	s_mul_hi_u32 s1, s10, s10
	s_mul_i32 s14, s11, s6
	s_mul_hi_u32 s15, s10, s6
	s_mul_i32 s0, s10, s6
	s_add_i32 s6, s1, s7
	s_sub_i32 s39, s24, s12
	s_add_i32 s1, s15, s14
	s_add_i32 s19, s6, s7
	s_mul_i32 s14, s10, s39
	s_lshl_b64 s[6:7], s[0:1], 2
	v_cmp_gt_i64_e64 s0, s[10:11], v[8:9]
	s_mul_i32 s18, s10, s10
	s_add_i32 s15, s22, s14
	s_add_u32 s6, s2, s6
	s_mul_i32 s13, s18, s12
	s_addc_u32 s7, s3, s7
	s_and_saveexec_b32 s1, s0
	s_cbranch_execz .LBB297_4
; %bb.3:
	v_mul_lo_u32 v2, v8, s14
	v_add3_u32 v2, s15, s13, v2
	global_store_dword v1, v2, s[6:7] offset:4
.LBB297_4:
	s_or_b32 exec_lo, exec_lo, s1
	v_or_b32_e32 v10, 32, v8
	v_mov_b32_e32 v11, v9
	v_cmp_gt_i64_e64 s3, s[10:11], v[10:11]
	s_and_saveexec_b32 s1, s3
	s_cbranch_execz .LBB297_6
; %bb.5:
	v_mul_lo_u32 v2, v10, s14
	v_add3_u32 v2, s15, s13, v2
	global_store_dword v1, v2, s[6:7] offset:132
.LBB297_6:
	s_or_b32 exec_lo, exec_lo, s1
	v_or_b32_e32 v11, 64, v8
	v_mov_b32_e32 v12, v9
	v_cmp_gt_i64_e64 s1, s[10:11], v[11:12]
	;; [unrolled: 11-line block ×3, first 2 shown]
	s_and_saveexec_b32 s16, s2
	s_cbranch_execz .LBB297_10
; %bb.9:
	v_mul_lo_u32 v2, v12, s14
	v_add3_u32 v2, s15, s13, v2
	global_store_dword v1, v2, s[6:7] offset:388
.LBB297_10:
	s_or_b32 exec_lo, exec_lo, s16
	s_cmp_lt_i32 s8, s9
	s_cbranch_scc0 .LBB297_45
; %bb.11:
	s_clause 0x2
	s_load_dwordx2 s[20:21], s[4:5], 0x30
	s_load_dwordx2 s[14:15], s[4:5], 0x48
	s_load_dword s13, s[4:5], 0x0
	v_and_b32_e32 v0, 31, v0
	v_mov_b32_e32 v1, 0
	s_mul_i32 s40, s10, s12
	v_lshlrev_b32_e32 v21, 4, v8
	v_mad_u64_u32 v[12:13], null, v12, s39, s[40:41]
	v_or_b32_e32 v2, 32, v0
	v_mov_b32_e32 v3, v1
	v_or_b32_e32 v4, 64, v0
	v_mov_b32_e32 v5, v1
	;; [unrolled: 2-line block ×3, first 2 shown]
	v_cmp_gt_i64_e64 s6, s[10:11], v[0:1]
	v_cmp_gt_i64_e64 s7, s[10:11], v[2:3]
	;; [unrolled: 1-line block ×3, first 2 shown]
	v_mad_u64_u32 v[9:10], null, v10, s39, s[40:41]
	v_cmp_gt_i64_e64 s9, s[10:11], v[6:7]
	v_mad_u64_u32 v[12:13], null, s10, v12, 0x60
	s_waitcnt lgkmcnt(0)
	s_cmp_eq_u32 s13, 0
	v_mad_u64_u32 v[13:14], null, v11, s39, s[40:41]
	s_cselect_b32 vcc_lo, -1, 0
	s_ashr_i32 s13, s12, 31
	s_and_b32 s27, s0, s8
	s_and_b32 s28, s0, s9
	s_and_b32 s29, s3, s6
	s_and_b32 s30, s3, s7
	s_and_b32 s31, s3, s8
	s_and_b32 s33, s3, s9
	s_and_b32 s34, s1, s6
	s_and_b32 s35, s1, s7
	s_and_b32 s36, s1, s8
	s_and_b32 s1, s1, s9
	s_and_b32 s37, s2, s6
	s_and_b32 s38, s2, s7
	s_and_b32 s8, s2, s8
	s_and_b32 s9, s2, s9
	s_lshl_b64 s[2:3], s[12:13], 3
	s_and_b32 s25, s0, s6
	s_and_b32 s26, s0, s7
	s_mul_hi_u32 s0, s10, s12
	s_mul_i32 s6, s10, s13
	s_add_u32 s2, s20, s2
	s_addc_u32 s3, s21, s3
	s_add_i32 s0, s0, s6
	s_mul_i32 s6, s11, s12
	v_mul_lo_u32 v26, s10, v9
	v_mad_u64_u32 v[9:10], null, v8, s39, s[40:41]
	s_add_i32 s41, s0, s6
	v_mul_lo_u32 v24, s10, v13
	s_lshl_b64 s[6:7], s[40:41], 4
	v_lshlrev_b32_e32 v13, 4, v0
	v_add_co_u32 v15, s0, s6, v21
	v_add_co_ci_u32_e64 v16, null, s7, 0, s0
	v_mul_lo_u32 v28, s10, v9
	v_add_co_u32 v7, s0, 0x600, v15
	v_add_co_ci_u32_e64 v8, null, 0, v16, s0
	v_add_co_u32 v9, s0, 0x400, v15
	v_add_co_ci_u32_e64 v10, null, 0, v16, s0
	v_add_co_u32 v11, s0, 0x200, v15
	v_mov_b32_e32 v23, v12
	v_add_co_ci_u32_e64 v12, null, 0, v16, s0
	v_add_co_u32 v35, s0, s6, v13
	v_add_co_ci_u32_e64 v36, null, s7, 0, s0
	v_mov_b32_e32 v14, v1
	v_mov_b32_e32 v22, v1
	v_add_co_u32 v17, s0, 0x600, v35
	v_add_co_ci_u32_e64 v18, null, 0, v36, s0
	v_mov_b32_e32 v25, v1
	v_mov_b32_e32 v27, v1
	v_mov_b32_e32 v29, v1
	v_mul_lo_u32 v1, s10, v8
	v_mul_lo_u32 v30, s11, v7
	v_mad_u64_u32 v[7:8], null, s10, v7, v[13:14]
	v_mul_lo_u32 v31, s10, v10
	v_mul_lo_u32 v32, s11, v9
	v_mad_u64_u32 v[9:10], null, s10, v9, v[13:14]
	;; [unrolled: 3-line block ×4, first 2 shown]
	v_mul_lo_u32 v40, s11, v17
	v_mad_u64_u32 v[15:16], null, s10, v17, v[21:22]
	v_add_co_u32 v17, s0, 0x400, v35
	s_clause 0x1
	s_load_dwordx2 s[16:17], s[4:5], 0x20
	s_load_dwordx2 s[4:5], s[4:5], 0x58
	v_mul_lo_u32 v39, s10, v18
	v_add_co_ci_u32_e64 v18, null, 0, v36, s0
	v_add_co_u32 v19, s0, 0x200, v35
	v_add_co_ci_u32_e64 v20, null, 0, v36, s0
	v_mul_lo_u32 v41, s10, v18
	v_mul_lo_u32 v42, s11, v17
	v_mad_u64_u32 v[17:18], null, s10, v17, v[21:22]
	v_mul_lo_u32 v43, s10, v20
	v_mul_lo_u32 v44, s11, v19
	v_mad_u64_u32 v[19:20], null, s10, v19, v[21:22]
	;; [unrolled: 3-line block ×3, first 2 shown]
	v_mov_b32_e32 v3, v0
	v_add3_u32 v8, v30, v8, v1
	v_add3_u32 v10, v32, v10, v31
	;; [unrolled: 1-line block ×8, first 2 shown]
	s_mov_b32 s13, s10
	s_lshl_b64 s[6:7], s[18:19], 4
	s_branch .LBB297_13
.LBB297_12:                             ;   in Loop: Header=BB297_13 Depth=1
	s_or_b32 exec_lo, exec_lo, s20
	v_add_co_u32 v5, s0, v5, 0
	v_add_co_ci_u32_e64 v23, null, s13, v23, s0
	v_add_co_u32 v25, s0, v25, 0
	v_add_co_ci_u32_e64 v24, null, s13, v24, s0
	v_add_co_u32 v27, s0, v27, 0
	s_add_i32 s12, s12, 1
	v_add_co_ci_u32_e64 v26, null, s13, v26, s0
	v_add_co_u32 v29, s0, v29, 0
	s_add_u32 s2, s2, 8
	v_add_co_ci_u32_e64 v28, null, s13, v28, s0
	s_addc_u32 s3, s3, 0
	s_add_u32 s16, s16, s6
	s_addc_u32 s17, s17, s7
	s_cmp_ge_i32 s12, s24
	s_cbranch_scc1 .LBB297_45
.LBB297_13:                             ; =>This Inner Loop Header: Depth=1
	s_load_dwordx2 s[18:19], s[2:3], 0x0
	s_waitcnt lgkmcnt(0)
	s_sub_u32 s0, s18, s23
	s_subb_u32 s19, s19, 0
	s_mul_i32 s18, s0, s11
	s_mul_hi_u32 s20, s0, s10
	s_mul_i32 s19, s19, s10
	s_add_i32 s18, s20, s18
	s_mul_i32 s0, s0, s10
	s_add_i32 s19, s18, s19
	s_add_u32 s18, s0, s22
	s_addc_u32 s19, s19, 0
	s_and_saveexec_b32 s20, s25
	s_cbranch_execnz .LBB297_29
; %bb.14:                               ;   in Loop: Header=BB297_13 Depth=1
	s_or_b32 exec_lo, exec_lo, s20
	s_and_saveexec_b32 s20, s26
	s_cbranch_execnz .LBB297_30
.LBB297_15:                             ;   in Loop: Header=BB297_13 Depth=1
	s_or_b32 exec_lo, exec_lo, s20
	s_and_saveexec_b32 s20, s27
	s_cbranch_execnz .LBB297_31
.LBB297_16:                             ;   in Loop: Header=BB297_13 Depth=1
	s_or_b32 exec_lo, exec_lo, s20
	s_and_saveexec_b32 s20, s28
	s_cbranch_execnz .LBB297_32
.LBB297_17:                             ;   in Loop: Header=BB297_13 Depth=1
	s_or_b32 exec_lo, exec_lo, s20
	s_and_saveexec_b32 s20, s29
	s_cbranch_execnz .LBB297_33
.LBB297_18:                             ;   in Loop: Header=BB297_13 Depth=1
	s_or_b32 exec_lo, exec_lo, s20
	s_and_saveexec_b32 s20, s30
	s_cbranch_execnz .LBB297_34
.LBB297_19:                             ;   in Loop: Header=BB297_13 Depth=1
	s_or_b32 exec_lo, exec_lo, s20
	s_and_saveexec_b32 s20, s31
	s_cbranch_execnz .LBB297_35
.LBB297_20:                             ;   in Loop: Header=BB297_13 Depth=1
	s_or_b32 exec_lo, exec_lo, s20
	s_and_saveexec_b32 s20, s33
	s_cbranch_execnz .LBB297_36
.LBB297_21:                             ;   in Loop: Header=BB297_13 Depth=1
	s_or_b32 exec_lo, exec_lo, s20
	s_and_saveexec_b32 s20, s34
	s_cbranch_execnz .LBB297_37
.LBB297_22:                             ;   in Loop: Header=BB297_13 Depth=1
	s_or_b32 exec_lo, exec_lo, s20
	s_and_saveexec_b32 s20, s35
	s_cbranch_execnz .LBB297_38
.LBB297_23:                             ;   in Loop: Header=BB297_13 Depth=1
	s_or_b32 exec_lo, exec_lo, s20
	s_and_saveexec_b32 s20, s36
	s_cbranch_execnz .LBB297_39
.LBB297_24:                             ;   in Loop: Header=BB297_13 Depth=1
	s_or_b32 exec_lo, exec_lo, s20
	s_and_saveexec_b32 s20, s1
	s_cbranch_execnz .LBB297_40
.LBB297_25:                             ;   in Loop: Header=BB297_13 Depth=1
	s_or_b32 exec_lo, exec_lo, s20
	s_and_saveexec_b32 s20, s37
	s_cbranch_execnz .LBB297_41
.LBB297_26:                             ;   in Loop: Header=BB297_13 Depth=1
	s_or_b32 exec_lo, exec_lo, s20
	s_and_saveexec_b32 s20, s38
	s_cbranch_execnz .LBB297_42
.LBB297_27:                             ;   in Loop: Header=BB297_13 Depth=1
	s_or_b32 exec_lo, exec_lo, s20
	s_and_saveexec_b32 s20, s8
	s_cbranch_execnz .LBB297_43
.LBB297_28:                             ;   in Loop: Header=BB297_13 Depth=1
	s_or_b32 exec_lo, exec_lo, s20
	s_and_saveexec_b32 s20, s9
	s_cbranch_execz .LBB297_12
	s_branch .LBB297_44
.LBB297_29:                             ;   in Loop: Header=BB297_13 Depth=1
	v_add_co_u32 v1, s0, s16, v13
	v_add_co_ci_u32_e64 v30, null, s17, v14, s0
	v_add_co_u32 v32, s0, s16, v21
	v_add_co_ci_u32_e64 v31, null, s17, v22, s0
	;; [unrolled: 2-line block ×3, first 2 shown]
	v_cndmask_b32_e32 v31, v31, v30, vcc_lo
	v_cndmask_b32_e32 v30, v32, v1, vcc_lo
	v_add_co_u32 v38, s0, s18, v0
	v_ashrrev_i64 v[36:37], 29, v[34:35]
	v_ashrrev_i64 v[34:35], 28, v[34:35]
	global_load_dwordx4 v[30:33], v[30:31], off
	v_add_co_ci_u32_e64 v39, null, s19, 0, s0
	v_add_co_u32 v36, s0, s4, v36
	v_add_co_ci_u32_e64 v37, null, s5, v37, s0
	v_add_co_u32 v34, s0, s14, v34
	v_add_co_ci_u32_e64 v35, null, s15, v35, s0
	global_store_dwordx2 v[36:37], v[38:39], off
	s_waitcnt vmcnt(0)
	global_store_dwordx4 v[34:35], v[30:33], off
	s_or_b32 exec_lo, exec_lo, s20
	s_and_saveexec_b32 s20, s26
	s_cbranch_execz .LBB297_15
.LBB297_30:                             ;   in Loop: Header=BB297_13 Depth=1
	v_add_co_u32 v1, s0, s16, v13
	v_add_co_ci_u32_e64 v30, null, s17, v14, s0
	v_add_co_u32 v1, s0, 0x200, v1
	v_add_co_ci_u32_e64 v30, null, 0, v30, s0
	;; [unrolled: 2-line block ×3, first 2 shown]
	v_add_co_u32 v34, s0, 0, v29
	v_cndmask_b32_e32 v31, v31, v30, vcc_lo
	v_cndmask_b32_e32 v30, v32, v1, vcc_lo
	v_add_co_ci_u32_e64 v1, null, v3, v28, s0
	v_add_co_u32 v38, s0, s18, v2
	global_load_dwordx4 v[30:33], v[30:31], off
	v_add_nc_u32_e32 v35, 32, v1
	v_add_co_ci_u32_e64 v39, null, s19, 0, s0
	v_ashrrev_i64 v[36:37], 29, v[34:35]
	v_ashrrev_i64 v[34:35], 28, v[34:35]
	v_add_co_u32 v36, s0, s4, v36
	v_add_co_ci_u32_e64 v37, null, s5, v37, s0
	v_add_co_u32 v34, s0, s14, v34
	v_add_co_ci_u32_e64 v35, null, s15, v35, s0
	global_store_dwordx2 v[36:37], v[38:39], off
	s_waitcnt vmcnt(0)
	global_store_dwordx4 v[34:35], v[30:33], off
	s_or_b32 exec_lo, exec_lo, s20
	s_and_saveexec_b32 s20, s27
	s_cbranch_execz .LBB297_16
.LBB297_31:                             ;   in Loop: Header=BB297_13 Depth=1
	v_add_co_u32 v1, s0, s16, v13
	v_add_co_ci_u32_e64 v30, null, s17, v14, s0
	v_add_co_u32 v1, s0, 0x400, v1
	v_add_co_ci_u32_e64 v30, null, 0, v30, s0
	;; [unrolled: 2-line block ×3, first 2 shown]
	v_add_co_u32 v34, s0, 0, v29
	v_cndmask_b32_e32 v31, v31, v30, vcc_lo
	v_cndmask_b32_e32 v30, v32, v1, vcc_lo
	v_add_co_ci_u32_e64 v1, null, v3, v28, s0
	v_add_co_u32 v38, s0, s18, v4
	global_load_dwordx4 v[30:33], v[30:31], off
	v_add_nc_u32_e32 v35, 64, v1
	v_add_co_ci_u32_e64 v39, null, s19, 0, s0
	v_ashrrev_i64 v[36:37], 29, v[34:35]
	v_ashrrev_i64 v[34:35], 28, v[34:35]
	v_add_co_u32 v36, s0, s4, v36
	v_add_co_ci_u32_e64 v37, null, s5, v37, s0
	v_add_co_u32 v34, s0, s14, v34
	v_add_co_ci_u32_e64 v35, null, s15, v35, s0
	global_store_dwordx2 v[36:37], v[38:39], off
	s_waitcnt vmcnt(0)
	global_store_dwordx4 v[34:35], v[30:33], off
	s_or_b32 exec_lo, exec_lo, s20
	s_and_saveexec_b32 s20, s28
	s_cbranch_execz .LBB297_17
.LBB297_32:                             ;   in Loop: Header=BB297_13 Depth=1
	v_add_co_u32 v1, s0, s16, v13
	v_add_co_ci_u32_e64 v30, null, s17, v14, s0
	v_add_co_u32 v1, s0, 0x600, v1
	v_add_co_ci_u32_e64 v30, null, 0, v30, s0
	;; [unrolled: 2-line block ×3, first 2 shown]
	v_add_co_u32 v34, s0, 0, v29
	v_cndmask_b32_e32 v31, v31, v30, vcc_lo
	v_cndmask_b32_e32 v30, v32, v1, vcc_lo
	v_add_co_ci_u32_e64 v1, null, v3, v28, s0
	v_add_co_u32 v38, s0, s18, v6
	global_load_dwordx4 v[30:33], v[30:31], off
	v_add_nc_u32_e32 v35, 0x60, v1
	v_add_co_ci_u32_e64 v39, null, s19, 0, s0
	v_ashrrev_i64 v[36:37], 29, v[34:35]
	v_ashrrev_i64 v[34:35], 28, v[34:35]
	v_add_co_u32 v36, s0, s4, v36
	v_add_co_ci_u32_e64 v37, null, s5, v37, s0
	v_add_co_u32 v34, s0, s14, v34
	v_add_co_ci_u32_e64 v35, null, s15, v35, s0
	global_store_dwordx2 v[36:37], v[38:39], off
	s_waitcnt vmcnt(0)
	global_store_dwordx4 v[34:35], v[30:33], off
	s_or_b32 exec_lo, exec_lo, s20
	s_and_saveexec_b32 s20, s29
	s_cbranch_execz .LBB297_18
.LBB297_33:                             ;   in Loop: Header=BB297_13 Depth=1
	v_add_co_u32 v1, s0, s16, v21
	v_add_co_ci_u32_e64 v30, null, s17, v22, s0
	v_add_co_u32 v32, s0, s16, v11
	v_add_co_ci_u32_e64 v31, null, s17, v12, s0
	;; [unrolled: 2-line block ×4, first 2 shown]
	v_cndmask_b32_e32 v31, v30, v31, vcc_lo
	v_cndmask_b32_e32 v30, v1, v32, vcc_lo
	v_add_co_u32 v38, s0, s18, v0
	v_ashrrev_i64 v[36:37], 29, v[34:35]
	v_ashrrev_i64 v[34:35], 28, v[34:35]
	global_load_dwordx4 v[30:33], v[30:31], off
	v_add_co_ci_u32_e64 v39, null, s19, 0, s0
	v_add_co_u32 v36, s0, s4, v36
	v_add_co_ci_u32_e64 v37, null, s5, v37, s0
	v_add_co_u32 v34, s0, s14, v34
	v_add_co_ci_u32_e64 v35, null, s15, v35, s0
	global_store_dwordx2 v[36:37], v[38:39], off
	s_waitcnt vmcnt(0)
	global_store_dwordx4 v[34:35], v[30:33], off
	s_or_b32 exec_lo, exec_lo, s20
	s_and_saveexec_b32 s20, s30
	s_cbranch_execz .LBB297_19
.LBB297_34:                             ;   in Loop: Header=BB297_13 Depth=1
	v_add_co_u32 v1, s0, s16, v11
	v_add_co_ci_u32_e64 v30, null, s17, v12, s0
	v_add_co_u32 v31, s0, s16, v19
	v_add_co_ci_u32_e64 v32, null, s17, v20, s0
	;; [unrolled: 2-line block ×4, first 2 shown]
	v_add_co_u32 v34, s0, 0, v27
	v_cndmask_b32_e32 v31, v31, v30, vcc_lo
	v_cndmask_b32_e32 v30, v33, v1, vcc_lo
	v_add_co_ci_u32_e64 v1, null, v3, v26, s0
	v_add_co_u32 v38, s0, s18, v2
	global_load_dwordx4 v[30:33], v[30:31], off
	v_add_nc_u32_e32 v35, 32, v1
	v_add_co_ci_u32_e64 v39, null, s19, 0, s0
	v_ashrrev_i64 v[36:37], 29, v[34:35]
	v_ashrrev_i64 v[34:35], 28, v[34:35]
	v_add_co_u32 v36, s0, s4, v36
	v_add_co_ci_u32_e64 v37, null, s5, v37, s0
	v_add_co_u32 v34, s0, s14, v34
	v_add_co_ci_u32_e64 v35, null, s15, v35, s0
	global_store_dwordx2 v[36:37], v[38:39], off
	s_waitcnt vmcnt(0)
	global_store_dwordx4 v[34:35], v[30:33], off
	s_or_b32 exec_lo, exec_lo, s20
	s_and_saveexec_b32 s20, s31
	s_cbranch_execz .LBB297_20
.LBB297_35:                             ;   in Loop: Header=BB297_13 Depth=1
	v_add_co_u32 v1, s0, s16, v11
	v_add_co_ci_u32_e64 v30, null, s17, v12, s0
	v_add_co_u32 v31, s0, s16, v17
	v_add_co_ci_u32_e64 v32, null, s17, v18, s0
	;; [unrolled: 2-line block ×4, first 2 shown]
	v_add_co_u32 v34, s0, 0, v27
	v_cndmask_b32_e32 v31, v31, v30, vcc_lo
	v_cndmask_b32_e32 v30, v33, v1, vcc_lo
	v_add_co_ci_u32_e64 v1, null, v3, v26, s0
	v_add_co_u32 v38, s0, s18, v4
	global_load_dwordx4 v[30:33], v[30:31], off
	v_add_nc_u32_e32 v35, 64, v1
	v_add_co_ci_u32_e64 v39, null, s19, 0, s0
	v_ashrrev_i64 v[36:37], 29, v[34:35]
	v_ashrrev_i64 v[34:35], 28, v[34:35]
	v_add_co_u32 v36, s0, s4, v36
	v_add_co_ci_u32_e64 v37, null, s5, v37, s0
	v_add_co_u32 v34, s0, s14, v34
	v_add_co_ci_u32_e64 v35, null, s15, v35, s0
	global_store_dwordx2 v[36:37], v[38:39], off
	s_waitcnt vmcnt(0)
	global_store_dwordx4 v[34:35], v[30:33], off
	s_or_b32 exec_lo, exec_lo, s20
	s_and_saveexec_b32 s20, s33
	s_cbranch_execz .LBB297_21
.LBB297_36:                             ;   in Loop: Header=BB297_13 Depth=1
	v_add_co_u32 v1, s0, s16, v11
	v_add_co_ci_u32_e64 v30, null, s17, v12, s0
	v_add_co_u32 v31, s0, s16, v15
	v_add_co_ci_u32_e64 v32, null, s17, v16, s0
	;; [unrolled: 2-line block ×4, first 2 shown]
	v_add_co_u32 v34, s0, 0, v27
	v_cndmask_b32_e32 v31, v31, v30, vcc_lo
	v_cndmask_b32_e32 v30, v33, v1, vcc_lo
	v_add_co_ci_u32_e64 v1, null, v3, v26, s0
	v_add_co_u32 v38, s0, s18, v6
	global_load_dwordx4 v[30:33], v[30:31], off
	v_add_nc_u32_e32 v35, 0x60, v1
	v_add_co_ci_u32_e64 v39, null, s19, 0, s0
	v_ashrrev_i64 v[36:37], 29, v[34:35]
	v_ashrrev_i64 v[34:35], 28, v[34:35]
	v_add_co_u32 v36, s0, s4, v36
	v_add_co_ci_u32_e64 v37, null, s5, v37, s0
	v_add_co_u32 v34, s0, s14, v34
	v_add_co_ci_u32_e64 v35, null, s15, v35, s0
	global_store_dwordx2 v[36:37], v[38:39], off
	s_waitcnt vmcnt(0)
	global_store_dwordx4 v[34:35], v[30:33], off
	s_or_b32 exec_lo, exec_lo, s20
	s_and_saveexec_b32 s20, s34
	s_cbranch_execz .LBB297_22
.LBB297_37:                             ;   in Loop: Header=BB297_13 Depth=1
	v_add_co_u32 v1, s0, s16, v21
	v_add_co_ci_u32_e64 v30, null, s17, v22, s0
	v_add_co_u32 v32, s0, s16, v9
	v_add_co_ci_u32_e64 v31, null, s17, v10, s0
	v_add_co_u32 v1, s0, 0x400, v1
	v_add_co_ci_u32_e64 v30, null, 0, v30, s0
	v_add_co_u32 v34, s0, 0, v25
	v_add_co_ci_u32_e64 v35, null, v3, v24, s0
	v_cndmask_b32_e32 v31, v30, v31, vcc_lo
	v_cndmask_b32_e32 v30, v1, v32, vcc_lo
	v_add_co_u32 v38, s0, s18, v0
	v_ashrrev_i64 v[36:37], 29, v[34:35]
	v_ashrrev_i64 v[34:35], 28, v[34:35]
	global_load_dwordx4 v[30:33], v[30:31], off
	v_add_co_ci_u32_e64 v39, null, s19, 0, s0
	v_add_co_u32 v36, s0, s4, v36
	v_add_co_ci_u32_e64 v37, null, s5, v37, s0
	v_add_co_u32 v34, s0, s14, v34
	v_add_co_ci_u32_e64 v35, null, s15, v35, s0
	global_store_dwordx2 v[36:37], v[38:39], off
	s_waitcnt vmcnt(0)
	global_store_dwordx4 v[34:35], v[30:33], off
	s_or_b32 exec_lo, exec_lo, s20
	s_and_saveexec_b32 s20, s35
	s_cbranch_execz .LBB297_23
.LBB297_38:                             ;   in Loop: Header=BB297_13 Depth=1
	v_add_co_u32 v1, s0, s16, v9
	v_add_co_ci_u32_e64 v30, null, s17, v10, s0
	v_add_co_u32 v31, s0, s16, v19
	v_add_co_ci_u32_e64 v32, null, s17, v20, s0
	;; [unrolled: 2-line block ×4, first 2 shown]
	v_add_co_u32 v34, s0, 0, v25
	v_cndmask_b32_e32 v31, v31, v30, vcc_lo
	v_cndmask_b32_e32 v30, v33, v1, vcc_lo
	v_add_co_ci_u32_e64 v1, null, v3, v24, s0
	v_add_co_u32 v38, s0, s18, v2
	global_load_dwordx4 v[30:33], v[30:31], off
	v_add_nc_u32_e32 v35, 32, v1
	v_add_co_ci_u32_e64 v39, null, s19, 0, s0
	v_ashrrev_i64 v[36:37], 29, v[34:35]
	v_ashrrev_i64 v[34:35], 28, v[34:35]
	v_add_co_u32 v36, s0, s4, v36
	v_add_co_ci_u32_e64 v37, null, s5, v37, s0
	v_add_co_u32 v34, s0, s14, v34
	v_add_co_ci_u32_e64 v35, null, s15, v35, s0
	global_store_dwordx2 v[36:37], v[38:39], off
	s_waitcnt vmcnt(0)
	global_store_dwordx4 v[34:35], v[30:33], off
	s_or_b32 exec_lo, exec_lo, s20
	s_and_saveexec_b32 s20, s36
	s_cbranch_execz .LBB297_24
.LBB297_39:                             ;   in Loop: Header=BB297_13 Depth=1
	v_add_co_u32 v1, s0, s16, v9
	v_add_co_ci_u32_e64 v30, null, s17, v10, s0
	v_add_co_u32 v31, s0, s16, v17
	v_add_co_ci_u32_e64 v32, null, s17, v18, s0
	;; [unrolled: 2-line block ×4, first 2 shown]
	v_add_co_u32 v34, s0, 0, v25
	v_cndmask_b32_e32 v31, v31, v30, vcc_lo
	v_cndmask_b32_e32 v30, v33, v1, vcc_lo
	v_add_co_ci_u32_e64 v1, null, v3, v24, s0
	v_add_co_u32 v38, s0, s18, v4
	global_load_dwordx4 v[30:33], v[30:31], off
	v_add_nc_u32_e32 v35, 64, v1
	v_add_co_ci_u32_e64 v39, null, s19, 0, s0
	v_ashrrev_i64 v[36:37], 29, v[34:35]
	v_ashrrev_i64 v[34:35], 28, v[34:35]
	v_add_co_u32 v36, s0, s4, v36
	v_add_co_ci_u32_e64 v37, null, s5, v37, s0
	v_add_co_u32 v34, s0, s14, v34
	v_add_co_ci_u32_e64 v35, null, s15, v35, s0
	global_store_dwordx2 v[36:37], v[38:39], off
	s_waitcnt vmcnt(0)
	global_store_dwordx4 v[34:35], v[30:33], off
	s_or_b32 exec_lo, exec_lo, s20
	s_and_saveexec_b32 s20, s1
	s_cbranch_execz .LBB297_25
.LBB297_40:                             ;   in Loop: Header=BB297_13 Depth=1
	v_add_co_u32 v1, s0, s16, v9
	v_add_co_ci_u32_e64 v30, null, s17, v10, s0
	v_add_co_u32 v31, s0, s16, v15
	v_add_co_ci_u32_e64 v32, null, s17, v16, s0
	;; [unrolled: 2-line block ×4, first 2 shown]
	v_add_co_u32 v34, s0, 0, v25
	v_cndmask_b32_e32 v31, v31, v30, vcc_lo
	v_cndmask_b32_e32 v30, v33, v1, vcc_lo
	v_add_co_ci_u32_e64 v1, null, v3, v24, s0
	v_add_co_u32 v38, s0, s18, v6
	global_load_dwordx4 v[30:33], v[30:31], off
	v_add_nc_u32_e32 v35, 0x60, v1
	v_add_co_ci_u32_e64 v39, null, s19, 0, s0
	v_ashrrev_i64 v[36:37], 29, v[34:35]
	v_ashrrev_i64 v[34:35], 28, v[34:35]
	v_add_co_u32 v36, s0, s4, v36
	v_add_co_ci_u32_e64 v37, null, s5, v37, s0
	v_add_co_u32 v34, s0, s14, v34
	v_add_co_ci_u32_e64 v35, null, s15, v35, s0
	global_store_dwordx2 v[36:37], v[38:39], off
	s_waitcnt vmcnt(0)
	global_store_dwordx4 v[34:35], v[30:33], off
	s_or_b32 exec_lo, exec_lo, s20
	s_and_saveexec_b32 s20, s37
	s_cbranch_execz .LBB297_26
.LBB297_41:                             ;   in Loop: Header=BB297_13 Depth=1
	v_add_co_u32 v1, s0, s16, v21
	v_add_co_ci_u32_e64 v30, null, s17, v22, s0
	v_add_co_u32 v32, s0, s16, v7
	v_add_co_ci_u32_e64 v31, null, s17, v8, s0
	;; [unrolled: 2-line block ×3, first 2 shown]
	v_add_co_u32 v34, s0, 0, v5
	v_cndmask_b32_e32 v31, v30, v31, vcc_lo
	v_cndmask_b32_e32 v30, v1, v32, vcc_lo
	v_add_co_ci_u32_e64 v1, null, v3, v23, s0
	v_add_co_u32 v38, s0, s18, v0
	global_load_dwordx4 v[30:33], v[30:31], off
	v_add_nc_u32_e32 v35, 0xffffffa0, v1
	v_add_co_ci_u32_e64 v39, null, s19, 0, s0
	v_ashrrev_i64 v[36:37], 29, v[34:35]
	v_ashrrev_i64 v[34:35], 28, v[34:35]
	v_add_co_u32 v36, s0, s4, v36
	v_add_co_ci_u32_e64 v37, null, s5, v37, s0
	v_add_co_u32 v34, s0, s14, v34
	v_add_co_ci_u32_e64 v35, null, s15, v35, s0
	global_store_dwordx2 v[36:37], v[38:39], off
	s_waitcnt vmcnt(0)
	global_store_dwordx4 v[34:35], v[30:33], off
	s_or_b32 exec_lo, exec_lo, s20
	s_and_saveexec_b32 s20, s38
	s_cbranch_execz .LBB297_27
.LBB297_42:                             ;   in Loop: Header=BB297_13 Depth=1
	v_add_co_u32 v1, s0, s16, v7
	v_add_co_ci_u32_e64 v30, null, s17, v8, s0
	v_add_co_u32 v31, s0, s16, v19
	v_add_co_ci_u32_e64 v32, null, s17, v20, s0
	;; [unrolled: 2-line block ×4, first 2 shown]
	v_add_co_u32 v34, s0, 0, v5
	v_cndmask_b32_e32 v31, v31, v30, vcc_lo
	v_cndmask_b32_e32 v30, v33, v1, vcc_lo
	v_add_co_ci_u32_e64 v1, null, v3, v23, s0
	v_add_co_u32 v38, s0, s18, v2
	global_load_dwordx4 v[30:33], v[30:31], off
	v_subrev_nc_u32_e32 v35, 64, v1
	v_add_co_ci_u32_e64 v39, null, s19, 0, s0
	v_ashrrev_i64 v[36:37], 29, v[34:35]
	v_ashrrev_i64 v[34:35], 28, v[34:35]
	v_add_co_u32 v36, s0, s4, v36
	v_add_co_ci_u32_e64 v37, null, s5, v37, s0
	v_add_co_u32 v34, s0, s14, v34
	v_add_co_ci_u32_e64 v35, null, s15, v35, s0
	global_store_dwordx2 v[36:37], v[38:39], off
	s_waitcnt vmcnt(0)
	global_store_dwordx4 v[34:35], v[30:33], off
	s_or_b32 exec_lo, exec_lo, s20
	s_and_saveexec_b32 s20, s8
	s_cbranch_execz .LBB297_28
.LBB297_43:                             ;   in Loop: Header=BB297_13 Depth=1
	v_add_co_u32 v1, s0, s16, v7
	v_add_co_ci_u32_e64 v30, null, s17, v8, s0
	v_add_co_u32 v31, s0, s16, v17
	v_add_co_ci_u32_e64 v32, null, s17, v18, s0
	;; [unrolled: 2-line block ×4, first 2 shown]
	v_add_co_u32 v34, s0, 0, v5
	v_cndmask_b32_e32 v31, v31, v30, vcc_lo
	v_cndmask_b32_e32 v30, v33, v1, vcc_lo
	v_add_co_ci_u32_e64 v1, null, v3, v23, s0
	v_add_co_u32 v38, s0, s18, v4
	global_load_dwordx4 v[30:33], v[30:31], off
	v_subrev_nc_u32_e32 v35, 32, v1
	v_add_co_ci_u32_e64 v39, null, s19, 0, s0
	v_ashrrev_i64 v[36:37], 29, v[34:35]
	v_ashrrev_i64 v[34:35], 28, v[34:35]
	v_add_co_u32 v36, s0, s4, v36
	v_add_co_ci_u32_e64 v37, null, s5, v37, s0
	v_add_co_u32 v34, s0, s14, v34
	v_add_co_ci_u32_e64 v35, null, s15, v35, s0
	global_store_dwordx2 v[36:37], v[38:39], off
	s_waitcnt vmcnt(0)
	global_store_dwordx4 v[34:35], v[30:33], off
	s_or_b32 exec_lo, exec_lo, s20
	s_and_saveexec_b32 s20, s9
	s_cbranch_execz .LBB297_12
.LBB297_44:                             ;   in Loop: Header=BB297_13 Depth=1
	v_add_co_u32 v1, s0, s16, v7
	v_add_co_ci_u32_e64 v30, null, s17, v8, s0
	v_add_co_u32 v31, s0, s16, v15
	v_add_co_ci_u32_e64 v32, null, s17, v16, s0
	;; [unrolled: 2-line block ×5, first 2 shown]
	v_cndmask_b32_e32 v31, v31, v30, vcc_lo
	v_cndmask_b32_e32 v30, v33, v1, vcc_lo
	v_add_co_u32 v38, s0, s18, v6
	v_ashrrev_i64 v[36:37], 29, v[34:35]
	v_ashrrev_i64 v[34:35], 28, v[34:35]
	global_load_dwordx4 v[30:33], v[30:31], off
	v_add_co_ci_u32_e64 v39, null, s19, 0, s0
	v_add_co_u32 v36, s0, s4, v36
	v_add_co_ci_u32_e64 v37, null, s5, v37, s0
	v_add_co_u32 v34, s0, s14, v34
	v_add_co_ci_u32_e64 v35, null, s15, v35, s0
	global_store_dwordx2 v[36:37], v[38:39], off
	s_waitcnt vmcnt(0)
	global_store_dwordx4 v[34:35], v[30:33], off
	s_branch .LBB297_12
.LBB297_45:
	s_endpgm
	.section	.rodata,"a",@progbits
	.p2align	6, 0x0
	.amdhsa_kernel _ZN9rocsparseL35bsr2csr_block_per_row_33_256_kernelILj1024ELj128ELj32E21rocsparse_complex_numIdEilEEv20rocsparse_direction_T4_S4_21rocsparse_index_base_PKT2_PKT3_PKS4_S4_S5_PS6_PS9_PS4_
		.amdhsa_group_segment_fixed_size 0
		.amdhsa_private_segment_fixed_size 0
		.amdhsa_kernarg_size 96
		.amdhsa_user_sgpr_count 6
		.amdhsa_user_sgpr_private_segment_buffer 1
		.amdhsa_user_sgpr_dispatch_ptr 0
		.amdhsa_user_sgpr_queue_ptr 0
		.amdhsa_user_sgpr_kernarg_segment_ptr 1
		.amdhsa_user_sgpr_dispatch_id 0
		.amdhsa_user_sgpr_flat_scratch_init 0
		.amdhsa_user_sgpr_private_segment_size 0
		.amdhsa_wavefront_size32 1
		.amdhsa_uses_dynamic_stack 0
		.amdhsa_system_sgpr_private_segment_wavefront_offset 0
		.amdhsa_system_sgpr_workgroup_id_x 1
		.amdhsa_system_sgpr_workgroup_id_y 0
		.amdhsa_system_sgpr_workgroup_id_z 0
		.amdhsa_system_sgpr_workgroup_info 0
		.amdhsa_system_vgpr_workitem_id 0
		.amdhsa_next_free_vgpr 46
		.amdhsa_next_free_sgpr 42
		.amdhsa_reserve_vcc 1
		.amdhsa_reserve_flat_scratch 0
		.amdhsa_float_round_mode_32 0
		.amdhsa_float_round_mode_16_64 0
		.amdhsa_float_denorm_mode_32 3
		.amdhsa_float_denorm_mode_16_64 3
		.amdhsa_dx10_clamp 1
		.amdhsa_ieee_mode 1
		.amdhsa_fp16_overflow 0
		.amdhsa_workgroup_processor_mode 1
		.amdhsa_memory_ordered 1
		.amdhsa_forward_progress 1
		.amdhsa_shared_vgpr_count 0
		.amdhsa_exception_fp_ieee_invalid_op 0
		.amdhsa_exception_fp_denorm_src 0
		.amdhsa_exception_fp_ieee_div_zero 0
		.amdhsa_exception_fp_ieee_overflow 0
		.amdhsa_exception_fp_ieee_underflow 0
		.amdhsa_exception_fp_ieee_inexact 0
		.amdhsa_exception_int_div_zero 0
	.end_amdhsa_kernel
	.section	.text._ZN9rocsparseL35bsr2csr_block_per_row_33_256_kernelILj1024ELj128ELj32E21rocsparse_complex_numIdEilEEv20rocsparse_direction_T4_S4_21rocsparse_index_base_PKT2_PKT3_PKS4_S4_S5_PS6_PS9_PS4_,"axG",@progbits,_ZN9rocsparseL35bsr2csr_block_per_row_33_256_kernelILj1024ELj128ELj32E21rocsparse_complex_numIdEilEEv20rocsparse_direction_T4_S4_21rocsparse_index_base_PKT2_PKT3_PKS4_S4_S5_PS6_PS9_PS4_,comdat
.Lfunc_end297:
	.size	_ZN9rocsparseL35bsr2csr_block_per_row_33_256_kernelILj1024ELj128ELj32E21rocsparse_complex_numIdEilEEv20rocsparse_direction_T4_S4_21rocsparse_index_base_PKT2_PKT3_PKS4_S4_S5_PS6_PS9_PS4_, .Lfunc_end297-_ZN9rocsparseL35bsr2csr_block_per_row_33_256_kernelILj1024ELj128ELj32E21rocsparse_complex_numIdEilEEv20rocsparse_direction_T4_S4_21rocsparse_index_base_PKT2_PKT3_PKS4_S4_S5_PS6_PS9_PS4_
                                        ; -- End function
	.set _ZN9rocsparseL35bsr2csr_block_per_row_33_256_kernelILj1024ELj128ELj32E21rocsparse_complex_numIdEilEEv20rocsparse_direction_T4_S4_21rocsparse_index_base_PKT2_PKT3_PKS4_S4_S5_PS6_PS9_PS4_.num_vgpr, 46
	.set _ZN9rocsparseL35bsr2csr_block_per_row_33_256_kernelILj1024ELj128ELj32E21rocsparse_complex_numIdEilEEv20rocsparse_direction_T4_S4_21rocsparse_index_base_PKT2_PKT3_PKS4_S4_S5_PS6_PS9_PS4_.num_agpr, 0
	.set _ZN9rocsparseL35bsr2csr_block_per_row_33_256_kernelILj1024ELj128ELj32E21rocsparse_complex_numIdEilEEv20rocsparse_direction_T4_S4_21rocsparse_index_base_PKT2_PKT3_PKS4_S4_S5_PS6_PS9_PS4_.numbered_sgpr, 42
	.set _ZN9rocsparseL35bsr2csr_block_per_row_33_256_kernelILj1024ELj128ELj32E21rocsparse_complex_numIdEilEEv20rocsparse_direction_T4_S4_21rocsparse_index_base_PKT2_PKT3_PKS4_S4_S5_PS6_PS9_PS4_.num_named_barrier, 0
	.set _ZN9rocsparseL35bsr2csr_block_per_row_33_256_kernelILj1024ELj128ELj32E21rocsparse_complex_numIdEilEEv20rocsparse_direction_T4_S4_21rocsparse_index_base_PKT2_PKT3_PKS4_S4_S5_PS6_PS9_PS4_.private_seg_size, 0
	.set _ZN9rocsparseL35bsr2csr_block_per_row_33_256_kernelILj1024ELj128ELj32E21rocsparse_complex_numIdEilEEv20rocsparse_direction_T4_S4_21rocsparse_index_base_PKT2_PKT3_PKS4_S4_S5_PS6_PS9_PS4_.uses_vcc, 1
	.set _ZN9rocsparseL35bsr2csr_block_per_row_33_256_kernelILj1024ELj128ELj32E21rocsparse_complex_numIdEilEEv20rocsparse_direction_T4_S4_21rocsparse_index_base_PKT2_PKT3_PKS4_S4_S5_PS6_PS9_PS4_.uses_flat_scratch, 0
	.set _ZN9rocsparseL35bsr2csr_block_per_row_33_256_kernelILj1024ELj128ELj32E21rocsparse_complex_numIdEilEEv20rocsparse_direction_T4_S4_21rocsparse_index_base_PKT2_PKT3_PKS4_S4_S5_PS6_PS9_PS4_.has_dyn_sized_stack, 0
	.set _ZN9rocsparseL35bsr2csr_block_per_row_33_256_kernelILj1024ELj128ELj32E21rocsparse_complex_numIdEilEEv20rocsparse_direction_T4_S4_21rocsparse_index_base_PKT2_PKT3_PKS4_S4_S5_PS6_PS9_PS4_.has_recursion, 0
	.set _ZN9rocsparseL35bsr2csr_block_per_row_33_256_kernelILj1024ELj128ELj32E21rocsparse_complex_numIdEilEEv20rocsparse_direction_T4_S4_21rocsparse_index_base_PKT2_PKT3_PKS4_S4_S5_PS6_PS9_PS4_.has_indirect_call, 0
	.section	.AMDGPU.csdata,"",@progbits
; Kernel info:
; codeLenInByte = 4612
; TotalNumSgprs: 44
; NumVgprs: 46
; ScratchSize: 0
; MemoryBound: 0
; FloatMode: 240
; IeeeMode: 1
; LDSByteSize: 0 bytes/workgroup (compile time only)
; SGPRBlocks: 0
; VGPRBlocks: 5
; NumSGPRsForWavesPerEU: 44
; NumVGPRsForWavesPerEU: 46
; Occupancy: 16
; WaveLimiterHint : 0
; COMPUTE_PGM_RSRC2:SCRATCH_EN: 0
; COMPUTE_PGM_RSRC2:USER_SGPR: 6
; COMPUTE_PGM_RSRC2:TRAP_HANDLER: 0
; COMPUTE_PGM_RSRC2:TGID_X_EN: 1
; COMPUTE_PGM_RSRC2:TGID_Y_EN: 0
; COMPUTE_PGM_RSRC2:TGID_Z_EN: 0
; COMPUTE_PGM_RSRC2:TIDIG_COMP_CNT: 0
	.section	.text._ZN9rocsparseL35bsr2csr_block_per_row_33_256_kernelILj1024ELj256ELj32E21rocsparse_complex_numIdEilEEv20rocsparse_direction_T4_S4_21rocsparse_index_base_PKT2_PKT3_PKS4_S4_S5_PS6_PS9_PS4_,"axG",@progbits,_ZN9rocsparseL35bsr2csr_block_per_row_33_256_kernelILj1024ELj256ELj32E21rocsparse_complex_numIdEilEEv20rocsparse_direction_T4_S4_21rocsparse_index_base_PKT2_PKT3_PKS4_S4_S5_PS6_PS9_PS4_,comdat
	.globl	_ZN9rocsparseL35bsr2csr_block_per_row_33_256_kernelILj1024ELj256ELj32E21rocsparse_complex_numIdEilEEv20rocsparse_direction_T4_S4_21rocsparse_index_base_PKT2_PKT3_PKS4_S4_S5_PS6_PS9_PS4_ ; -- Begin function _ZN9rocsparseL35bsr2csr_block_per_row_33_256_kernelILj1024ELj256ELj32E21rocsparse_complex_numIdEilEEv20rocsparse_direction_T4_S4_21rocsparse_index_base_PKT2_PKT3_PKS4_S4_S5_PS6_PS9_PS4_
	.p2align	8
	.type	_ZN9rocsparseL35bsr2csr_block_per_row_33_256_kernelILj1024ELj256ELj32E21rocsparse_complex_numIdEilEEv20rocsparse_direction_T4_S4_21rocsparse_index_base_PKT2_PKT3_PKS4_S4_S5_PS6_PS9_PS4_,@function
_ZN9rocsparseL35bsr2csr_block_per_row_33_256_kernelILj1024ELj256ELj32E21rocsparse_complex_numIdEilEEv20rocsparse_direction_T4_S4_21rocsparse_index_base_PKT2_PKT3_PKS4_S4_S5_PS6_PS9_PS4_: ; @_ZN9rocsparseL35bsr2csr_block_per_row_33_256_kernelILj1024ELj256ELj32E21rocsparse_complex_numIdEilEEv20rocsparse_direction_T4_S4_21rocsparse_index_base_PKT2_PKT3_PKS4_S4_S5_PS6_PS9_PS4_
; %bb.0:
	s_load_dwordx2 s[0:1], s[4:5], 0x28
	s_mov_b32 s7, 0
	s_clause 0x1
	s_load_dword s30, s[4:5], 0x40
	s_load_dwordx2 s[2:3], s[4:5], 0x50
	s_lshl_b64 s[8:9], s[6:7], 2
	v_or_b32_e32 v1, s6, v0
	s_waitcnt lgkmcnt(0)
	s_add_u32 s0, s0, s8
	s_addc_u32 s1, s1, s9
	s_load_dwordx2 s[10:11], s[0:1], 0x0
	s_mov_b32 s0, exec_lo
	v_cmpx_eq_u32_e32 0, v1
	s_cbranch_execz .LBB298_2
; %bb.1:
	v_mov_b32_e32 v1, 0
	v_mov_b32_e32 v2, s30
	global_store_dword v1, v2, s[2:3]
.LBB298_2:
	s_or_b32 exec_lo, exec_lo, s0
	s_clause 0x1
	s_load_dword s31, s[4:5], 0x18
	s_load_dwordx2 s[18:19], s[4:5], 0x38
	v_mov_b32_e32 v17, 0
	v_lshrrev_b32_e32 v16, 5, v0
	v_lshlrev_b32_e32 v1, 2, v16
	s_waitcnt lgkmcnt(0)
	s_sub_i32 s20, s10, s31
	s_sub_i32 s33, s11, s31
	s_mul_i32 s7, s18, s19
	s_mul_hi_u32 s1, s18, s18
	s_mul_i32 s8, s19, s6
	s_mul_hi_u32 s9, s18, s6
	s_mul_i32 s0, s18, s6
	s_add_i32 s6, s1, s7
	s_sub_i32 s89, s33, s20
	s_add_i32 s1, s9, s8
	s_add_i32 s27, s6, s7
	s_mul_i32 s15, s18, s89
	s_lshl_b64 s[6:7], s[0:1], 2
	v_cmp_gt_i64_e64 s0, s[18:19], v[16:17]
	s_mul_i32 s26, s18, s18
	s_add_i32 s16, s30, s15
	s_add_u32 s12, s2, s6
	s_mul_i32 s14, s26, s20
	s_addc_u32 s13, s3, s7
	s_and_saveexec_b32 s1, s0
	s_cbranch_execz .LBB298_4
; %bb.3:
	v_mul_lo_u32 v2, v16, s15
	v_add3_u32 v2, s16, s14, v2
	global_store_dword v1, v2, s[12:13] offset:4
.LBB298_4:
	s_or_b32 exec_lo, exec_lo, s1
	v_or_b32_e32 v18, 32, v16
	v_mov_b32_e32 v19, v17
	v_cmp_gt_i64_e64 s1, s[18:19], v[18:19]
	s_and_saveexec_b32 s2, s1
	s_cbranch_execz .LBB298_6
; %bb.5:
	v_mul_lo_u32 v2, v18, s15
	v_add3_u32 v2, s16, s14, v2
	global_store_dword v1, v2, s[12:13] offset:132
.LBB298_6:
	s_or_b32 exec_lo, exec_lo, s2
	v_or_b32_e32 v19, 64, v16
	v_mov_b32_e32 v20, v17
	v_cmp_gt_i64_e64 s2, s[18:19], v[19:20]
	;; [unrolled: 11-line block ×7, first 2 shown]
	s_and_saveexec_b32 s17, s9
	s_cbranch_execz .LBB298_18
; %bb.17:
	v_mul_lo_u32 v2, v24, s15
	v_add3_u32 v2, s16, s14, v2
	global_store_dword v1, v2, s[12:13] offset:900
.LBB298_18:
	s_or_b32 exec_lo, exec_lo, s17
	s_cmp_lt_i32 s10, s11
	s_cbranch_scc0 .LBB298_149
; %bb.19:
	s_load_dword s12, s[4:5], 0x0
	v_and_b32_e32 v0, 31, v0
	v_mov_b32_e32 v1, 0
	s_clause 0x2
	s_load_dwordx2 s[28:29], s[4:5], 0x30
	s_load_dwordx2 s[22:23], s[4:5], 0x48
	s_load_dwordx2 s[24:25], s[4:5], 0x20
	v_lshlrev_b32_e32 v29, 4, v16
	s_load_dwordx2 s[4:5], s[4:5], 0x58
	v_or_b32_e32 v2, 32, v0
	v_mov_b32_e32 v3, v1
	v_or_b32_e32 v4, 64, v0
	v_mov_b32_e32 v5, v1
	;; [unrolled: 2-line block ×7, first 2 shown]
	v_cmp_gt_i64_e64 s10, s[18:19], v[0:1]
	v_cmp_gt_i64_e64 s11, s[18:19], v[2:3]
	s_waitcnt lgkmcnt(0)
	s_cmp_eq_u32 s12, 0
	v_cmp_gt_i64_e64 s12, s[18:19], v[4:5]
	v_cmp_gt_i64_e64 s13, s[18:19], v[6:7]
	;; [unrolled: 1-line block ×6, first 2 shown]
	s_cselect_b32 vcc_lo, -1, 0
	s_and_b32 s34, s0, s10
	s_and_b32 s35, s0, s11
	;; [unrolled: 1-line block ×8, first 2 shown]
	s_mul_i32 s0, s18, s20
	s_ashr_i32 s21, s20, 31
	v_mad_u64_u32 v[47:48], null, v24, s89, s[0:1]
	v_mad_u64_u32 v[48:49], null, v23, s89, s[0:1]
	;; [unrolled: 1-line block ×6, first 2 shown]
	s_and_b32 s50, s2, s10
	s_and_b32 s51, s2, s11
	;; [unrolled: 1-line block ×16, first 2 shown]
	v_mad_u64_u32 v[53:54], null, v18, s89, s[0:1]
	s_lshl_b64 s[2:3], s[20:21], 3
	s_and_b32 s42, s1, s10
	s_and_b32 s43, s1, s11
	;; [unrolled: 1-line block ×40, first 2 shown]
	v_mad_u64_u32 v[54:55], null, v16, s89, s[0:1]
	s_mul_hi_u32 s1, s18, s20
	s_mul_i32 s6, s18, s21
	s_add_u32 s2, s28, s2
	s_addc_u32 s3, s29, s3
	s_add_i32 s1, s1, s6
	s_mul_i32 s6, s19, s20
	v_lshlrev_b32_e32 v45, 4, v0
	s_add_i32 s1, s1, s6
	v_mov_b32_e32 v30, v1
	s_lshl_b64 s[6:7], s[0:1], 4
	v_mov_b32_e32 v46, v1
	v_add_co_u32 v3, s0, s6, v45
	v_add_co_ci_u32_e64 v5, null, s7, 0, s0
	v_mul_lo_u32 v65, s18, v53
	v_add_co_u32 v7, s0, 0xe00, v3
	v_add_co_ci_u32_e64 v9, null, 0, v5, s0
	v_add_co_u32 v11, s0, 0xc00, v3
	v_add_co_ci_u32_e64 v13, null, 0, v5, s0
	v_mul_lo_u32 v19, s19, v7
	v_mad_u64_u32 v[15:16], null, s18, v7, v[29:30]
	v_mul_lo_u32 v7, s18, v13
	v_mul_lo_u32 v13, s19, v11
	v_mad_u64_u32 v[17:18], null, s18, v11, v[29:30]
	v_mul_lo_u32 v9, s18, v9
	v_mul_lo_u32 v67, s18, v54
	v_mov_b32_e32 v66, v1
	v_mov_b32_e32 v68, v1
	;; [unrolled: 1-line block ×4, first 2 shown]
	v_add3_u32 v18, v13, v18, v7
	v_add_co_u32 v7, s0, 0xa00, v3
	v_add3_u32 v16, v19, v16, v9
	v_add_co_ci_u32_e64 v9, null, 0, v5, s0
	v_add_co_u32 v11, s0, 0x800, v3
	v_add_co_ci_u32_e64 v13, null, 0, v5, s0
	v_mul_lo_u32 v27, s19, v7
	v_mad_u64_u32 v[19:20], null, s18, v7, v[29:30]
	v_mul_lo_u32 v7, s18, v13
	v_mul_lo_u32 v13, s19, v11
	v_mad_u64_u32 v[21:22], null, s18, v11, v[29:30]
	v_add_co_u32 v11, s0, 0x600, v3
	v_add_co_ci_u32_e64 v23, null, 0, v5, s0
	v_add_co_u32 v25, s0, 0x400, v3
	v_mul_lo_u32 v9, s18, v9
	v_add_co_ci_u32_e64 v26, null, 0, v5, s0
	v_add_co_u32 v28, s0, 0x200, v3
	v_add_co_ci_u32_e64 v33, null, 0, v5, s0
	v_mul_lo_u32 v31, s18, v23
	v_mul_lo_u32 v32, s19, v11
	v_mad_u64_u32 v[23:24], null, s18, v11, v[29:30]
	v_mul_lo_u32 v11, s18, v26
	v_mul_lo_u32 v34, s19, v25
	v_mad_u64_u32 v[25:26], null, s18, v25, v[29:30]
	v_add3_u32 v20, v27, v20, v9
	v_mul_lo_u32 v9, s18, v33
	v_mul_lo_u32 v33, s19, v28
	v_mad_u64_u32 v[27:28], null, s18, v28, v[29:30]
	v_add3_u32 v22, v13, v22, v7
	v_add_co_u32 v7, s0, s6, v29
	v_add3_u32 v26, v34, v26, v11
	v_add_co_ci_u32_e64 v11, null, s7, 0, s0
	v_add3_u32 v28, v33, v28, v9
	v_add_co_u32 v9, s0, 0xe00, v7
	v_mul_lo_u32 v5, s18, v5
	v_mul_lo_u32 v33, s19, v3
	v_mad_u64_u32 v[29:30], null, s18, v3, v[29:30]
	v_add_co_ci_u32_e64 v13, null, 0, v11, s0
	v_add3_u32 v24, v32, v24, v31
	v_mad_u64_u32 v[31:32], null, s18, v9, v[45:46]
	v_mul_lo_u32 v3, s18, v13
	v_mul_lo_u32 v13, s19, v9
	v_add_co_u32 v9, s0, 0xc00, v7
	v_add_co_ci_u32_e64 v34, null, 0, v11, s0
	v_add3_u32 v30, v33, v30, v5
	v_add_co_u32 v5, s0, 0xa00, v7
	v_add_co_ci_u32_e64 v35, null, 0, v11, s0
	v_mul_lo_u32 v55, s18, v34
	v_mul_lo_u32 v56, s19, v9
	v_mad_u64_u32 v[33:34], null, s18, v9, v[45:46]
	v_mul_lo_u32 v9, s18, v35
	v_mul_lo_u32 v57, s19, v5
	v_mad_u64_u32 v[35:36], null, s18, v5, v[45:46]
	v_add_co_u32 v5, s0, 0x800, v7
	v_add_co_ci_u32_e64 v37, null, 0, v11, s0
	v_add_co_u32 v39, s0, 0x600, v7
	v_add_co_ci_u32_e64 v40, null, 0, v11, s0
	v_add_co_u32 v41, s0, 0x400, v7
	v_add_co_ci_u32_e64 v42, null, 0, v11, s0
	v_add_co_u32 v43, s0, 0x200, v7
	v_add_co_ci_u32_e64 v44, null, 0, v11, s0
	v_mul_lo_u32 v58, s18, v37
	v_mul_lo_u32 v59, s19, v5
	v_mad_u64_u32 v[37:38], null, s18, v5, v[45:46]
	v_mul_lo_u32 v5, s18, v40
	v_mul_lo_u32 v60, s19, v39
	v_mad_u64_u32 v[39:40], null, s18, v39, v[45:46]
	;; [unrolled: 3-line block ×4, first 2 shown]
	v_mul_lo_u32 v11, s18, v11
	v_mad_u64_u32 v[45:46], null, s18, v7, v[45:46]
	v_mul_lo_u32 v7, s19, v7
	v_add3_u32 v32, v13, v32, v3
	v_add3_u32 v36, v57, v36, v9
	;; [unrolled: 1-line block ×4, first 2 shown]
	v_mul_lo_u32 v3, s18, v47
	v_mul_lo_u32 v5, s18, v48
	;; [unrolled: 1-line block ×3, first 2 shown]
	v_add3_u32 v46, v7, v46, v11
	v_mul_lo_u32 v7, s18, v49
	v_mul_lo_u32 v11, s18, v51
	;; [unrolled: 1-line block ×3, first 2 shown]
	v_add3_u32 v34, v56, v34, v55
	v_add3_u32 v38, v59, v38, v58
	;; [unrolled: 1-line block ×3, first 2 shown]
	v_mov_b32_e32 v13, v0
	v_mov_b32_e32 v64, v1
	;; [unrolled: 1-line block ×4, first 2 shown]
	s_mov_b32 s17, s18
	s_lshl_b64 s[6:7], s[26:27], 4
	s_branch .LBB298_21
.LBB298_20:                             ;   in Loop: Header=BB298_21 Depth=1
	s_or_b32 exec_lo, exec_lo, s1
	v_add_co_u32 v64, s0, v64, 0
	v_add_co_ci_u32_e64 v3, null, s17, v3, s0
	v_add_co_u32 v66, s0, v66, 0
	v_add_co_ci_u32_e64 v5, null, s17, v5, s0
	;; [unrolled: 2-line block ×6, first 2 shown]
	v_add_co_u32 v72, s0, v72, 0
	s_add_i32 s20, s20, 1
	v_add_co_ci_u32_e64 v65, null, s17, v65, s0
	v_add_co_u32 v1, s0, v1, 0
	s_add_u32 s2, s2, 8
	v_add_co_ci_u32_e64 v67, null, s17, v67, s0
	s_addc_u32 s3, s3, 0
	s_add_u32 s24, s24, s6
	s_addc_u32 s25, s25, s7
	s_cmp_ge_i32 s20, s33
	s_cbranch_scc1 .LBB298_149
.LBB298_21:                             ; =>This Inner Loop Header: Depth=1
	s_load_dwordx2 s[0:1], s[2:3], 0x0
	s_waitcnt lgkmcnt(0)
	s_sub_u32 s0, s0, s31
	s_subb_u32 s1, s1, 0
	s_mul_i32 s21, s0, s19
	s_mul_hi_u32 s26, s0, s18
	s_mul_i32 s1, s1, s18
	s_add_i32 s21, s26, s21
	s_mul_i32 s0, s0, s18
	s_add_i32 s21, s21, s1
	s_add_u32 s1, s0, s30
	s_addc_u32 s21, s21, 0
	v_add_co_u32 v59, s0, s1, v0
	v_add_co_ci_u32_e64 v60, null, s21, 0, s0
	s_and_saveexec_b32 s26, s34
	s_cbranch_execz .LBB298_23
; %bb.22:                               ;   in Loop: Header=BB298_21 Depth=1
	v_add_co_u32 v47, s0, s24, v45
	v_add_co_ci_u32_e64 v48, null, s25, v46, s0
	v_add_co_u32 v49, s0, s24, v29
	v_add_co_ci_u32_e64 v50, null, s25, v30, s0
	v_add_co_u32 v51, s0, 0, v1
	v_cndmask_b32_e32 v47, v49, v47, vcc_lo
	v_cndmask_b32_e32 v48, v50, v48, vcc_lo
	v_add_co_ci_u32_e64 v52, null, v13, v67, s0
	global_load_dwordx4 v[47:50], v[47:48], off
	v_ashrrev_i64 v[53:54], 29, v[51:52]
	v_ashrrev_i64 v[51:52], 28, v[51:52]
	v_add_co_u32 v53, s0, s4, v53
	v_add_co_ci_u32_e64 v54, null, s5, v54, s0
	v_add_co_u32 v51, s0, s22, v51
	v_add_co_ci_u32_e64 v52, null, s23, v52, s0
	global_store_dwordx2 v[53:54], v[59:60], off
	s_waitcnt vmcnt(0)
	global_store_dwordx4 v[51:52], v[47:50], off
.LBB298_23:                             ;   in Loop: Header=BB298_21 Depth=1
	s_or_b32 exec_lo, exec_lo, s26
	v_add_co_u32 v47, s0, s1, v2
	v_add_co_ci_u32_e64 v48, null, s21, 0, s0
	s_and_saveexec_b32 s26, s35
	s_cbranch_execz .LBB298_25
; %bb.24:                               ;   in Loop: Header=BB298_21 Depth=1
	v_add_co_u32 v49, s0, s24, v45
	v_add_co_ci_u32_e64 v50, null, s25, v46, s0
	v_add_co_u32 v49, s0, 0x200, v49
	v_add_co_ci_u32_e64 v50, null, 0, v50, s0
	v_add_co_u32 v51, s0, s24, v27
	v_add_co_ci_u32_e64 v52, null, s25, v28, s0
	v_add_co_u32 v53, s0, 0, v1
	v_cndmask_b32_e32 v49, v51, v49, vcc_lo
	v_cndmask_b32_e32 v50, v52, v50, vcc_lo
	v_add_co_ci_u32_e64 v54, null, v13, v67, s0
	global_load_dwordx4 v[49:52], v[49:50], off
	v_add_nc_u32_e32 v54, 32, v54
	v_ashrrev_i64 v[55:56], 29, v[53:54]
	v_ashrrev_i64 v[53:54], 28, v[53:54]
	v_add_co_u32 v55, s0, s4, v55
	v_add_co_ci_u32_e64 v56, null, s5, v56, s0
	v_add_co_u32 v53, s0, s22, v53
	v_add_co_ci_u32_e64 v54, null, s23, v54, s0
	global_store_dwordx2 v[55:56], v[47:48], off
	s_waitcnt vmcnt(0)
	global_store_dwordx4 v[53:54], v[49:52], off
.LBB298_25:                             ;   in Loop: Header=BB298_21 Depth=1
	s_or_b32 exec_lo, exec_lo, s26
	v_add_co_u32 v49, s0, s1, v4
	v_add_co_ci_u32_e64 v50, null, s21, 0, s0
	s_and_saveexec_b32 s26, s36
	s_cbranch_execz .LBB298_27
; %bb.26:                               ;   in Loop: Header=BB298_21 Depth=1
	v_add_co_u32 v51, s0, s24, v45
	v_add_co_ci_u32_e64 v52, null, s25, v46, s0
	v_add_co_u32 v51, s0, 0x400, v51
	v_add_co_ci_u32_e64 v52, null, 0, v52, s0
	v_add_co_u32 v53, s0, s24, v25
	v_add_co_ci_u32_e64 v54, null, s25, v26, s0
	v_add_co_u32 v55, s0, 0, v1
	v_cndmask_b32_e32 v51, v53, v51, vcc_lo
	v_cndmask_b32_e32 v52, v54, v52, vcc_lo
	v_add_co_ci_u32_e64 v56, null, v13, v67, s0
	global_load_dwordx4 v[51:54], v[51:52], off
	v_add_nc_u32_e32 v56, 64, v56
	v_ashrrev_i64 v[57:58], 29, v[55:56]
	v_ashrrev_i64 v[55:56], 28, v[55:56]
	v_add_co_u32 v57, s0, s4, v57
	v_add_co_ci_u32_e64 v58, null, s5, v58, s0
	v_add_co_u32 v55, s0, s22, v55
	v_add_co_ci_u32_e64 v56, null, s23, v56, s0
	global_store_dwordx2 v[57:58], v[49:50], off
	s_waitcnt vmcnt(0)
	global_store_dwordx4 v[55:56], v[51:54], off
.LBB298_27:                             ;   in Loop: Header=BB298_21 Depth=1
	;; [unrolled: 28-line block ×4, first 2 shown]
	s_or_b32 exec_lo, exec_lo, s26
	v_add_co_u32 v55, s0, s1, v10
	v_add_co_ci_u32_e64 v56, null, s21, 0, s0
	s_and_saveexec_b32 s26, s39
	s_cbranch_execz .LBB298_33
; %bb.32:                               ;   in Loop: Header=BB298_21 Depth=1
	v_add_co_u32 v57, s0, s24, v45
	v_add_co_ci_u32_e64 v58, null, s25, v46, s0
	v_add_co_u32 v57, s0, 0xa00, v57
	v_add_co_ci_u32_e64 v58, null, 0, v58, s0
	;; [unrolled: 2-line block ×3, first 2 shown]
	v_cndmask_b32_e32 v57, v61, v57, vcc_lo
	v_cndmask_b32_e32 v58, v62, v58, vcc_lo
	global_load_dwordx4 v[73:76], v[57:58], off
	v_add_co_u32 v57, s0, 0, v1
	v_add_co_ci_u32_e64 v58, null, v13, v67, s0
	v_add_nc_u32_e32 v58, 0xa0, v58
	v_ashrrev_i64 v[61:62], 29, v[57:58]
	v_ashrrev_i64 v[57:58], 28, v[57:58]
	v_add_co_u32 v61, s0, s4, v61
	v_add_co_ci_u32_e64 v62, null, s5, v62, s0
	v_add_co_u32 v57, s0, s22, v57
	v_add_co_ci_u32_e64 v58, null, s23, v58, s0
	global_store_dwordx2 v[61:62], v[55:56], off
	s_waitcnt vmcnt(0)
	global_store_dwordx4 v[57:58], v[73:76], off
.LBB298_33:                             ;   in Loop: Header=BB298_21 Depth=1
	s_or_b32 exec_lo, exec_lo, s26
	v_add_co_u32 v57, s0, s1, v12
	v_add_co_ci_u32_e64 v58, null, s21, 0, s0
	s_and_saveexec_b32 s26, s40
	s_cbranch_execz .LBB298_35
; %bb.34:                               ;   in Loop: Header=BB298_21 Depth=1
	v_add_co_u32 v61, s0, 0, v1
	v_add_co_ci_u32_e64 v62, null, v13, v67, s0
	v_add_nc_u32_e32 v62, 0xc0, v62
	v_ashrrev_i64 v[73:74], 29, v[61:62]
	v_ashrrev_i64 v[61:62], 28, v[61:62]
	v_add_co_u32 v73, s0, s4, v73
	v_add_co_ci_u32_e64 v74, null, s5, v74, s0
	v_add_co_u32 v61, s0, s22, v61
	v_add_co_ci_u32_e64 v62, null, s23, v62, s0
	global_store_dwordx2 v[73:74], v[57:58], off
	v_add_co_u32 v73, s0, s24, v45
	v_add_co_ci_u32_e64 v74, null, s25, v46, s0
	v_add_co_u32 v73, s0, 0xc00, v73
	v_add_co_ci_u32_e64 v74, null, 0, v74, s0
	;; [unrolled: 2-line block ×3, first 2 shown]
	v_cndmask_b32_e32 v73, v75, v73, vcc_lo
	v_cndmask_b32_e32 v74, v76, v74, vcc_lo
	global_load_dwordx4 v[73:76], v[73:74], off
	s_waitcnt vmcnt(0)
	global_store_dwordx4 v[61:62], v[73:76], off
.LBB298_35:                             ;   in Loop: Header=BB298_21 Depth=1
	s_or_b32 exec_lo, exec_lo, s26
	v_add_co_u32 v61, s0, s1, v14
	v_add_co_ci_u32_e64 v62, null, s21, 0, s0
	s_and_saveexec_b32 s21, s41
	s_cbranch_execnz .LBB298_92
; %bb.36:                               ;   in Loop: Header=BB298_21 Depth=1
	s_or_b32 exec_lo, exec_lo, s21
	s_and_saveexec_b32 s1, s42
	s_cbranch_execnz .LBB298_93
.LBB298_37:                             ;   in Loop: Header=BB298_21 Depth=1
	s_or_b32 exec_lo, exec_lo, s1
	s_and_saveexec_b32 s1, s43
	s_cbranch_execnz .LBB298_94
.LBB298_38:                             ;   in Loop: Header=BB298_21 Depth=1
	s_or_b32 exec_lo, exec_lo, s1
	s_and_saveexec_b32 s1, s44
	s_cbranch_execnz .LBB298_95
.LBB298_39:                             ;   in Loop: Header=BB298_21 Depth=1
	s_or_b32 exec_lo, exec_lo, s1
	s_and_saveexec_b32 s1, s45
	s_cbranch_execnz .LBB298_96
.LBB298_40:                             ;   in Loop: Header=BB298_21 Depth=1
	s_or_b32 exec_lo, exec_lo, s1
	s_and_saveexec_b32 s1, s46
	s_cbranch_execnz .LBB298_97
.LBB298_41:                             ;   in Loop: Header=BB298_21 Depth=1
	s_or_b32 exec_lo, exec_lo, s1
	s_and_saveexec_b32 s1, s47
	s_cbranch_execnz .LBB298_98
.LBB298_42:                             ;   in Loop: Header=BB298_21 Depth=1
	s_or_b32 exec_lo, exec_lo, s1
	s_and_saveexec_b32 s1, s48
	s_cbranch_execnz .LBB298_99
.LBB298_43:                             ;   in Loop: Header=BB298_21 Depth=1
	s_or_b32 exec_lo, exec_lo, s1
	s_and_saveexec_b32 s1, s49
	s_cbranch_execnz .LBB298_100
.LBB298_44:                             ;   in Loop: Header=BB298_21 Depth=1
	s_or_b32 exec_lo, exec_lo, s1
	s_and_saveexec_b32 s1, s50
	s_cbranch_execnz .LBB298_101
.LBB298_45:                             ;   in Loop: Header=BB298_21 Depth=1
	s_or_b32 exec_lo, exec_lo, s1
	s_and_saveexec_b32 s1, s51
	s_cbranch_execnz .LBB298_102
.LBB298_46:                             ;   in Loop: Header=BB298_21 Depth=1
	s_or_b32 exec_lo, exec_lo, s1
	s_and_saveexec_b32 s1, s52
	s_cbranch_execnz .LBB298_103
.LBB298_47:                             ;   in Loop: Header=BB298_21 Depth=1
	s_or_b32 exec_lo, exec_lo, s1
	s_and_saveexec_b32 s1, s53
	s_cbranch_execnz .LBB298_104
.LBB298_48:                             ;   in Loop: Header=BB298_21 Depth=1
	s_or_b32 exec_lo, exec_lo, s1
	s_and_saveexec_b32 s1, s54
	s_cbranch_execnz .LBB298_105
.LBB298_49:                             ;   in Loop: Header=BB298_21 Depth=1
	s_or_b32 exec_lo, exec_lo, s1
	s_and_saveexec_b32 s1, s55
	s_cbranch_execnz .LBB298_106
.LBB298_50:                             ;   in Loop: Header=BB298_21 Depth=1
	s_or_b32 exec_lo, exec_lo, s1
	s_and_saveexec_b32 s1, s56
	s_cbranch_execnz .LBB298_107
.LBB298_51:                             ;   in Loop: Header=BB298_21 Depth=1
	s_or_b32 exec_lo, exec_lo, s1
	s_and_saveexec_b32 s1, s57
	s_cbranch_execnz .LBB298_108
.LBB298_52:                             ;   in Loop: Header=BB298_21 Depth=1
	s_or_b32 exec_lo, exec_lo, s1
	s_and_saveexec_b32 s1, s58
	s_cbranch_execnz .LBB298_109
.LBB298_53:                             ;   in Loop: Header=BB298_21 Depth=1
	s_or_b32 exec_lo, exec_lo, s1
	s_and_saveexec_b32 s1, s59
	s_cbranch_execnz .LBB298_110
.LBB298_54:                             ;   in Loop: Header=BB298_21 Depth=1
	s_or_b32 exec_lo, exec_lo, s1
	s_and_saveexec_b32 s1, s60
	s_cbranch_execnz .LBB298_111
.LBB298_55:                             ;   in Loop: Header=BB298_21 Depth=1
	s_or_b32 exec_lo, exec_lo, s1
	s_and_saveexec_b32 s1, s61
	s_cbranch_execnz .LBB298_112
.LBB298_56:                             ;   in Loop: Header=BB298_21 Depth=1
	s_or_b32 exec_lo, exec_lo, s1
	s_and_saveexec_b32 s1, s62
	s_cbranch_execnz .LBB298_113
.LBB298_57:                             ;   in Loop: Header=BB298_21 Depth=1
	s_or_b32 exec_lo, exec_lo, s1
	s_and_saveexec_b32 s1, s63
	s_cbranch_execnz .LBB298_114
.LBB298_58:                             ;   in Loop: Header=BB298_21 Depth=1
	s_or_b32 exec_lo, exec_lo, s1
	s_and_saveexec_b32 s1, s64
	s_cbranch_execnz .LBB298_115
.LBB298_59:                             ;   in Loop: Header=BB298_21 Depth=1
	s_or_b32 exec_lo, exec_lo, s1
	s_and_saveexec_b32 s1, s65
	s_cbranch_execnz .LBB298_116
.LBB298_60:                             ;   in Loop: Header=BB298_21 Depth=1
	s_or_b32 exec_lo, exec_lo, s1
	s_and_saveexec_b32 s1, s66
	s_cbranch_execnz .LBB298_117
.LBB298_61:                             ;   in Loop: Header=BB298_21 Depth=1
	s_or_b32 exec_lo, exec_lo, s1
	s_and_saveexec_b32 s1, s67
	s_cbranch_execnz .LBB298_118
.LBB298_62:                             ;   in Loop: Header=BB298_21 Depth=1
	s_or_b32 exec_lo, exec_lo, s1
	s_and_saveexec_b32 s1, s68
	s_cbranch_execnz .LBB298_119
.LBB298_63:                             ;   in Loop: Header=BB298_21 Depth=1
	s_or_b32 exec_lo, exec_lo, s1
	s_and_saveexec_b32 s1, s69
	s_cbranch_execnz .LBB298_120
.LBB298_64:                             ;   in Loop: Header=BB298_21 Depth=1
	s_or_b32 exec_lo, exec_lo, s1
	s_and_saveexec_b32 s1, s70
	s_cbranch_execnz .LBB298_121
.LBB298_65:                             ;   in Loop: Header=BB298_21 Depth=1
	s_or_b32 exec_lo, exec_lo, s1
	s_and_saveexec_b32 s1, s71
	s_cbranch_execnz .LBB298_122
.LBB298_66:                             ;   in Loop: Header=BB298_21 Depth=1
	s_or_b32 exec_lo, exec_lo, s1
	s_and_saveexec_b32 s1, s72
	s_cbranch_execnz .LBB298_123
.LBB298_67:                             ;   in Loop: Header=BB298_21 Depth=1
	s_or_b32 exec_lo, exec_lo, s1
	s_and_saveexec_b32 s1, s73
	s_cbranch_execnz .LBB298_124
.LBB298_68:                             ;   in Loop: Header=BB298_21 Depth=1
	s_or_b32 exec_lo, exec_lo, s1
	s_and_saveexec_b32 s1, s74
	s_cbranch_execnz .LBB298_125
.LBB298_69:                             ;   in Loop: Header=BB298_21 Depth=1
	s_or_b32 exec_lo, exec_lo, s1
	s_and_saveexec_b32 s1, s75
	s_cbranch_execnz .LBB298_126
.LBB298_70:                             ;   in Loop: Header=BB298_21 Depth=1
	s_or_b32 exec_lo, exec_lo, s1
	s_and_saveexec_b32 s1, s76
	s_cbranch_execnz .LBB298_127
.LBB298_71:                             ;   in Loop: Header=BB298_21 Depth=1
	s_or_b32 exec_lo, exec_lo, s1
	s_and_saveexec_b32 s1, s77
	s_cbranch_execnz .LBB298_128
.LBB298_72:                             ;   in Loop: Header=BB298_21 Depth=1
	s_or_b32 exec_lo, exec_lo, s1
	s_and_saveexec_b32 s1, s78
	s_cbranch_execnz .LBB298_129
.LBB298_73:                             ;   in Loop: Header=BB298_21 Depth=1
	s_or_b32 exec_lo, exec_lo, s1
	s_and_saveexec_b32 s1, s79
	s_cbranch_execnz .LBB298_130
.LBB298_74:                             ;   in Loop: Header=BB298_21 Depth=1
	s_or_b32 exec_lo, exec_lo, s1
	s_and_saveexec_b32 s1, s80
	s_cbranch_execnz .LBB298_131
.LBB298_75:                             ;   in Loop: Header=BB298_21 Depth=1
	s_or_b32 exec_lo, exec_lo, s1
	s_and_saveexec_b32 s1, s81
	s_cbranch_execnz .LBB298_132
.LBB298_76:                             ;   in Loop: Header=BB298_21 Depth=1
	s_or_b32 exec_lo, exec_lo, s1
	s_and_saveexec_b32 s1, s82
	s_cbranch_execnz .LBB298_133
.LBB298_77:                             ;   in Loop: Header=BB298_21 Depth=1
	s_or_b32 exec_lo, exec_lo, s1
	s_and_saveexec_b32 s1, s83
	s_cbranch_execnz .LBB298_134
.LBB298_78:                             ;   in Loop: Header=BB298_21 Depth=1
	s_or_b32 exec_lo, exec_lo, s1
	s_and_saveexec_b32 s1, s84
	s_cbranch_execnz .LBB298_135
.LBB298_79:                             ;   in Loop: Header=BB298_21 Depth=1
	s_or_b32 exec_lo, exec_lo, s1
	s_and_saveexec_b32 s1, s85
	s_cbranch_execnz .LBB298_136
.LBB298_80:                             ;   in Loop: Header=BB298_21 Depth=1
	s_or_b32 exec_lo, exec_lo, s1
	s_and_saveexec_b32 s1, s86
	s_cbranch_execnz .LBB298_137
.LBB298_81:                             ;   in Loop: Header=BB298_21 Depth=1
	s_or_b32 exec_lo, exec_lo, s1
	s_and_saveexec_b32 s1, s87
	s_cbranch_execnz .LBB298_138
.LBB298_82:                             ;   in Loop: Header=BB298_21 Depth=1
	s_or_b32 exec_lo, exec_lo, s1
	s_and_saveexec_b32 s1, s88
	s_cbranch_execnz .LBB298_139
.LBB298_83:                             ;   in Loop: Header=BB298_21 Depth=1
	s_or_b32 exec_lo, exec_lo, s1
	s_and_saveexec_b32 s1, s8
	s_cbranch_execnz .LBB298_140
.LBB298_84:                             ;   in Loop: Header=BB298_21 Depth=1
	s_or_b32 exec_lo, exec_lo, s1
	s_and_saveexec_b32 s1, s10
	s_cbranch_execnz .LBB298_141
.LBB298_85:                             ;   in Loop: Header=BB298_21 Depth=1
	s_or_b32 exec_lo, exec_lo, s1
	s_and_saveexec_b32 s1, s11
	s_cbranch_execnz .LBB298_142
.LBB298_86:                             ;   in Loop: Header=BB298_21 Depth=1
	s_or_b32 exec_lo, exec_lo, s1
	s_and_saveexec_b32 s1, s12
	s_cbranch_execnz .LBB298_143
.LBB298_87:                             ;   in Loop: Header=BB298_21 Depth=1
	s_or_b32 exec_lo, exec_lo, s1
	s_and_saveexec_b32 s1, s13
	s_cbranch_execnz .LBB298_144
.LBB298_88:                             ;   in Loop: Header=BB298_21 Depth=1
	s_or_b32 exec_lo, exec_lo, s1
	s_and_saveexec_b32 s1, s14
	s_cbranch_execnz .LBB298_145
.LBB298_89:                             ;   in Loop: Header=BB298_21 Depth=1
	s_or_b32 exec_lo, exec_lo, s1
	s_and_saveexec_b32 s1, s15
	s_cbranch_execnz .LBB298_146
.LBB298_90:                             ;   in Loop: Header=BB298_21 Depth=1
	s_or_b32 exec_lo, exec_lo, s1
	s_and_saveexec_b32 s1, s16
	s_cbranch_execnz .LBB298_147
.LBB298_91:                             ;   in Loop: Header=BB298_21 Depth=1
	s_or_b32 exec_lo, exec_lo, s1
	s_and_saveexec_b32 s1, s9
	s_cbranch_execz .LBB298_20
	s_branch .LBB298_148
.LBB298_92:                             ;   in Loop: Header=BB298_21 Depth=1
	v_add_co_u32 v73, s0, s24, v45
	v_add_co_ci_u32_e64 v74, null, s25, v46, s0
	v_add_co_u32 v75, s1, s24, v15
	v_add_co_u32 v73, s0, 0xe00, v73
	v_add_co_ci_u32_e64 v76, null, s25, v16, s1
	v_add_co_ci_u32_e64 v74, null, 0, v74, s0
	v_cndmask_b32_e32 v73, v75, v73, vcc_lo
	v_add_co_u32 v77, s0, 0, v1
	v_cndmask_b32_e32 v74, v76, v74, vcc_lo
	v_add_co_ci_u32_e64 v78, null, v13, v67, s0
	global_load_dwordx4 v[73:76], v[73:74], off
	v_add_nc_u32_e32 v78, 0xe0, v78
	v_ashrrev_i64 v[79:80], 29, v[77:78]
	v_ashrrev_i64 v[77:78], 28, v[77:78]
	v_add_co_u32 v79, s0, s4, v79
	v_add_co_ci_u32_e64 v80, null, s5, v80, s0
	v_add_co_u32 v77, s0, s22, v77
	v_add_co_ci_u32_e64 v78, null, s23, v78, s0
	global_store_dwordx2 v[79:80], v[61:62], off
	s_waitcnt vmcnt(0)
	global_store_dwordx4 v[77:78], v[73:76], off
	s_or_b32 exec_lo, exec_lo, s21
	s_and_saveexec_b32 s1, s42
	s_cbranch_execz .LBB298_37
.LBB298_93:                             ;   in Loop: Header=BB298_21 Depth=1
	v_add_co_u32 v73, s0, s24, v29
	v_add_co_ci_u32_e64 v74, null, s25, v30, s0
	v_add_co_u32 v75, s0, s24, v43
	v_add_co_ci_u32_e64 v76, null, s25, v44, s0
	;; [unrolled: 2-line block ×3, first 2 shown]
	v_add_co_u32 v77, s0, 0, v72
	v_cndmask_b32_e32 v73, v73, v75, vcc_lo
	v_cndmask_b32_e32 v74, v74, v76, vcc_lo
	v_add_co_ci_u32_e64 v78, null, v13, v65, s0
	global_load_dwordx4 v[73:76], v[73:74], off
	v_ashrrev_i64 v[79:80], 29, v[77:78]
	v_ashrrev_i64 v[77:78], 28, v[77:78]
	v_add_co_u32 v79, s0, s4, v79
	v_add_co_ci_u32_e64 v80, null, s5, v80, s0
	v_add_co_u32 v77, s0, s22, v77
	v_add_co_ci_u32_e64 v78, null, s23, v78, s0
	global_store_dwordx2 v[79:80], v[59:60], off
	s_waitcnt vmcnt(0)
	global_store_dwordx4 v[77:78], v[73:76], off
	s_or_b32 exec_lo, exec_lo, s1
	s_and_saveexec_b32 s1, s43
	s_cbranch_execz .LBB298_38
.LBB298_94:                             ;   in Loop: Header=BB298_21 Depth=1
	v_add_co_u32 v73, s0, s24, v43
	v_add_co_ci_u32_e64 v74, null, s25, v44, s0
	v_add_co_u32 v75, s0, s24, v27
	v_add_co_ci_u32_e64 v76, null, s25, v28, s0
	;; [unrolled: 2-line block ×4, first 2 shown]
	v_add_co_u32 v77, s0, 0, v72
	v_cndmask_b32_e32 v73, v75, v73, vcc_lo
	v_cndmask_b32_e32 v74, v76, v74, vcc_lo
	v_add_co_ci_u32_e64 v78, null, v13, v65, s0
	global_load_dwordx4 v[73:76], v[73:74], off
	v_add_nc_u32_e32 v78, 32, v78
	v_ashrrev_i64 v[79:80], 29, v[77:78]
	v_ashrrev_i64 v[77:78], 28, v[77:78]
	v_add_co_u32 v79, s0, s4, v79
	v_add_co_ci_u32_e64 v80, null, s5, v80, s0
	v_add_co_u32 v77, s0, s22, v77
	v_add_co_ci_u32_e64 v78, null, s23, v78, s0
	global_store_dwordx2 v[79:80], v[47:48], off
	s_waitcnt vmcnt(0)
	global_store_dwordx4 v[77:78], v[73:76], off
	s_or_b32 exec_lo, exec_lo, s1
	s_and_saveexec_b32 s1, s44
	s_cbranch_execz .LBB298_39
.LBB298_95:                             ;   in Loop: Header=BB298_21 Depth=1
	v_add_co_u32 v73, s0, s24, v43
	v_add_co_ci_u32_e64 v74, null, s25, v44, s0
	v_add_co_u32 v75, s0, s24, v25
	v_add_co_ci_u32_e64 v76, null, s25, v26, s0
	;; [unrolled: 2-line block ×4, first 2 shown]
	v_add_co_u32 v77, s0, 0, v72
	v_cndmask_b32_e32 v73, v75, v73, vcc_lo
	v_cndmask_b32_e32 v74, v76, v74, vcc_lo
	v_add_co_ci_u32_e64 v78, null, v13, v65, s0
	global_load_dwordx4 v[73:76], v[73:74], off
	v_add_nc_u32_e32 v78, 64, v78
	v_ashrrev_i64 v[79:80], 29, v[77:78]
	v_ashrrev_i64 v[77:78], 28, v[77:78]
	v_add_co_u32 v79, s0, s4, v79
	v_add_co_ci_u32_e64 v80, null, s5, v80, s0
	v_add_co_u32 v77, s0, s22, v77
	v_add_co_ci_u32_e64 v78, null, s23, v78, s0
	global_store_dwordx2 v[79:80], v[49:50], off
	s_waitcnt vmcnt(0)
	global_store_dwordx4 v[77:78], v[73:76], off
	s_or_b32 exec_lo, exec_lo, s1
	s_and_saveexec_b32 s1, s45
	s_cbranch_execz .LBB298_40
.LBB298_96:                             ;   in Loop: Header=BB298_21 Depth=1
	v_add_co_u32 v73, s0, s24, v43
	v_add_co_ci_u32_e64 v74, null, s25, v44, s0
	v_add_co_u32 v75, s0, s24, v23
	v_add_co_ci_u32_e64 v76, null, s25, v24, s0
	;; [unrolled: 2-line block ×4, first 2 shown]
	v_add_co_u32 v77, s0, 0, v72
	v_cndmask_b32_e32 v73, v75, v73, vcc_lo
	v_cndmask_b32_e32 v74, v76, v74, vcc_lo
	v_add_co_ci_u32_e64 v78, null, v13, v65, s0
	global_load_dwordx4 v[73:76], v[73:74], off
	v_add_nc_u32_e32 v78, 0x60, v78
	v_ashrrev_i64 v[79:80], 29, v[77:78]
	v_ashrrev_i64 v[77:78], 28, v[77:78]
	v_add_co_u32 v79, s0, s4, v79
	v_add_co_ci_u32_e64 v80, null, s5, v80, s0
	v_add_co_u32 v77, s0, s22, v77
	v_add_co_ci_u32_e64 v78, null, s23, v78, s0
	global_store_dwordx2 v[79:80], v[51:52], off
	s_waitcnt vmcnt(0)
	global_store_dwordx4 v[77:78], v[73:76], off
	s_or_b32 exec_lo, exec_lo, s1
	s_and_saveexec_b32 s1, s46
	s_cbranch_execz .LBB298_41
.LBB298_97:                             ;   in Loop: Header=BB298_21 Depth=1
	v_add_co_u32 v73, s0, s24, v43
	v_add_co_ci_u32_e64 v74, null, s25, v44, s0
	v_add_co_u32 v75, s0, s24, v21
	v_add_co_ci_u32_e64 v76, null, s25, v22, s0
	;; [unrolled: 2-line block ×4, first 2 shown]
	v_add_co_u32 v77, s0, 0, v72
	v_cndmask_b32_e32 v73, v75, v73, vcc_lo
	v_cndmask_b32_e32 v74, v76, v74, vcc_lo
	v_add_co_ci_u32_e64 v78, null, v13, v65, s0
	global_load_dwordx4 v[73:76], v[73:74], off
	v_add_nc_u32_e32 v78, 0x80, v78
	v_ashrrev_i64 v[79:80], 29, v[77:78]
	v_ashrrev_i64 v[77:78], 28, v[77:78]
	v_add_co_u32 v79, s0, s4, v79
	v_add_co_ci_u32_e64 v80, null, s5, v80, s0
	v_add_co_u32 v77, s0, s22, v77
	v_add_co_ci_u32_e64 v78, null, s23, v78, s0
	global_store_dwordx2 v[79:80], v[53:54], off
	s_waitcnt vmcnt(0)
	global_store_dwordx4 v[77:78], v[73:76], off
	s_or_b32 exec_lo, exec_lo, s1
	s_and_saveexec_b32 s1, s47
	s_cbranch_execz .LBB298_42
.LBB298_98:                             ;   in Loop: Header=BB298_21 Depth=1
	v_add_co_u32 v73, s0, s24, v43
	v_add_co_ci_u32_e64 v74, null, s25, v44, s0
	v_add_co_u32 v75, s0, s24, v19
	v_add_co_ci_u32_e64 v76, null, s25, v20, s0
	;; [unrolled: 2-line block ×4, first 2 shown]
	v_add_co_u32 v77, s0, 0, v72
	v_cndmask_b32_e32 v73, v75, v73, vcc_lo
	v_cndmask_b32_e32 v74, v76, v74, vcc_lo
	v_add_co_ci_u32_e64 v78, null, v13, v65, s0
	global_load_dwordx4 v[73:76], v[73:74], off
	v_add_nc_u32_e32 v78, 0xa0, v78
	v_ashrrev_i64 v[79:80], 29, v[77:78]
	v_ashrrev_i64 v[77:78], 28, v[77:78]
	v_add_co_u32 v79, s0, s4, v79
	v_add_co_ci_u32_e64 v80, null, s5, v80, s0
	v_add_co_u32 v77, s0, s22, v77
	v_add_co_ci_u32_e64 v78, null, s23, v78, s0
	global_store_dwordx2 v[79:80], v[55:56], off
	s_waitcnt vmcnt(0)
	global_store_dwordx4 v[77:78], v[73:76], off
	s_or_b32 exec_lo, exec_lo, s1
	s_and_saveexec_b32 s1, s48
	s_cbranch_execz .LBB298_43
.LBB298_99:                             ;   in Loop: Header=BB298_21 Depth=1
	v_add_co_u32 v73, s0, s24, v43
	v_add_co_ci_u32_e64 v74, null, s25, v44, s0
	v_add_co_u32 v75, s0, s24, v17
	v_add_co_ci_u32_e64 v76, null, s25, v18, s0
	;; [unrolled: 2-line block ×4, first 2 shown]
	v_add_co_u32 v77, s0, 0, v72
	v_cndmask_b32_e32 v73, v75, v73, vcc_lo
	v_cndmask_b32_e32 v74, v76, v74, vcc_lo
	v_add_co_ci_u32_e64 v78, null, v13, v65, s0
	global_load_dwordx4 v[73:76], v[73:74], off
	v_add_nc_u32_e32 v78, 0xc0, v78
	v_ashrrev_i64 v[79:80], 29, v[77:78]
	v_ashrrev_i64 v[77:78], 28, v[77:78]
	v_add_co_u32 v79, s0, s4, v79
	v_add_co_ci_u32_e64 v80, null, s5, v80, s0
	v_add_co_u32 v77, s0, s22, v77
	v_add_co_ci_u32_e64 v78, null, s23, v78, s0
	global_store_dwordx2 v[79:80], v[57:58], off
	s_waitcnt vmcnt(0)
	global_store_dwordx4 v[77:78], v[73:76], off
	s_or_b32 exec_lo, exec_lo, s1
	s_and_saveexec_b32 s1, s49
	s_cbranch_execz .LBB298_44
.LBB298_100:                            ;   in Loop: Header=BB298_21 Depth=1
	v_add_co_u32 v73, s0, s24, v43
	v_add_co_ci_u32_e64 v74, null, s25, v44, s0
	v_add_co_u32 v75, s0, s24, v15
	v_add_co_ci_u32_e64 v76, null, s25, v16, s0
	;; [unrolled: 2-line block ×4, first 2 shown]
	v_add_co_u32 v77, s0, 0, v72
	v_cndmask_b32_e32 v73, v75, v73, vcc_lo
	v_cndmask_b32_e32 v74, v76, v74, vcc_lo
	v_add_co_ci_u32_e64 v78, null, v13, v65, s0
	global_load_dwordx4 v[73:76], v[73:74], off
	v_add_nc_u32_e32 v78, 0xe0, v78
	v_ashrrev_i64 v[79:80], 29, v[77:78]
	v_ashrrev_i64 v[77:78], 28, v[77:78]
	v_add_co_u32 v79, s0, s4, v79
	v_add_co_ci_u32_e64 v80, null, s5, v80, s0
	v_add_co_u32 v77, s0, s22, v77
	v_add_co_ci_u32_e64 v78, null, s23, v78, s0
	global_store_dwordx2 v[79:80], v[61:62], off
	s_waitcnt vmcnt(0)
	global_store_dwordx4 v[77:78], v[73:76], off
	s_or_b32 exec_lo, exec_lo, s1
	s_and_saveexec_b32 s1, s50
	s_cbranch_execz .LBB298_45
.LBB298_101:                            ;   in Loop: Header=BB298_21 Depth=1
	v_add_co_u32 v73, s0, s24, v29
	v_add_co_ci_u32_e64 v74, null, s25, v30, s0
	v_add_co_u32 v75, s0, s24, v41
	v_add_co_ci_u32_e64 v76, null, s25, v42, s0
	;; [unrolled: 2-line block ×3, first 2 shown]
	v_add_co_u32 v77, s0, 0, v71
	v_cndmask_b32_e32 v73, v73, v75, vcc_lo
	v_cndmask_b32_e32 v74, v74, v76, vcc_lo
	v_add_co_ci_u32_e64 v78, null, v13, v63, s0
	global_load_dwordx4 v[73:76], v[73:74], off
	v_ashrrev_i64 v[79:80], 29, v[77:78]
	v_ashrrev_i64 v[77:78], 28, v[77:78]
	v_add_co_u32 v79, s0, s4, v79
	v_add_co_ci_u32_e64 v80, null, s5, v80, s0
	v_add_co_u32 v77, s0, s22, v77
	v_add_co_ci_u32_e64 v78, null, s23, v78, s0
	global_store_dwordx2 v[79:80], v[59:60], off
	s_waitcnt vmcnt(0)
	global_store_dwordx4 v[77:78], v[73:76], off
	s_or_b32 exec_lo, exec_lo, s1
	s_and_saveexec_b32 s1, s51
	s_cbranch_execz .LBB298_46
.LBB298_102:                            ;   in Loop: Header=BB298_21 Depth=1
	v_add_co_u32 v73, s0, s24, v41
	v_add_co_ci_u32_e64 v74, null, s25, v42, s0
	v_add_co_u32 v75, s0, s24, v27
	v_add_co_ci_u32_e64 v76, null, s25, v28, s0
	;; [unrolled: 2-line block ×4, first 2 shown]
	v_add_co_u32 v77, s0, 0, v71
	v_cndmask_b32_e32 v73, v75, v73, vcc_lo
	v_cndmask_b32_e32 v74, v76, v74, vcc_lo
	v_add_co_ci_u32_e64 v78, null, v13, v63, s0
	global_load_dwordx4 v[73:76], v[73:74], off
	v_add_nc_u32_e32 v78, 32, v78
	v_ashrrev_i64 v[79:80], 29, v[77:78]
	v_ashrrev_i64 v[77:78], 28, v[77:78]
	v_add_co_u32 v79, s0, s4, v79
	v_add_co_ci_u32_e64 v80, null, s5, v80, s0
	v_add_co_u32 v77, s0, s22, v77
	v_add_co_ci_u32_e64 v78, null, s23, v78, s0
	global_store_dwordx2 v[79:80], v[47:48], off
	s_waitcnt vmcnt(0)
	global_store_dwordx4 v[77:78], v[73:76], off
	s_or_b32 exec_lo, exec_lo, s1
	s_and_saveexec_b32 s1, s52
	s_cbranch_execz .LBB298_47
.LBB298_103:                            ;   in Loop: Header=BB298_21 Depth=1
	v_add_co_u32 v73, s0, s24, v41
	v_add_co_ci_u32_e64 v74, null, s25, v42, s0
	v_add_co_u32 v75, s0, s24, v25
	v_add_co_ci_u32_e64 v76, null, s25, v26, s0
	v_add_co_u32 v73, s0, 0x400, v73
	v_add_co_ci_u32_e64 v74, null, 0, v74, s0
	v_add_co_u32 v75, s0, 0x400, v75
	v_add_co_ci_u32_e64 v76, null, 0, v76, s0
	v_add_co_u32 v77, s0, 0, v71
	v_cndmask_b32_e32 v73, v75, v73, vcc_lo
	v_cndmask_b32_e32 v74, v76, v74, vcc_lo
	v_add_co_ci_u32_e64 v78, null, v13, v63, s0
	global_load_dwordx4 v[73:76], v[73:74], off
	v_add_nc_u32_e32 v78, 64, v78
	v_ashrrev_i64 v[79:80], 29, v[77:78]
	v_ashrrev_i64 v[77:78], 28, v[77:78]
	v_add_co_u32 v79, s0, s4, v79
	v_add_co_ci_u32_e64 v80, null, s5, v80, s0
	v_add_co_u32 v77, s0, s22, v77
	v_add_co_ci_u32_e64 v78, null, s23, v78, s0
	global_store_dwordx2 v[79:80], v[49:50], off
	s_waitcnt vmcnt(0)
	global_store_dwordx4 v[77:78], v[73:76], off
	s_or_b32 exec_lo, exec_lo, s1
	s_and_saveexec_b32 s1, s53
	s_cbranch_execz .LBB298_48
.LBB298_104:                            ;   in Loop: Header=BB298_21 Depth=1
	v_add_co_u32 v73, s0, s24, v41
	v_add_co_ci_u32_e64 v74, null, s25, v42, s0
	v_add_co_u32 v75, s0, s24, v23
	v_add_co_ci_u32_e64 v76, null, s25, v24, s0
	;; [unrolled: 2-line block ×4, first 2 shown]
	v_add_co_u32 v77, s0, 0, v71
	v_cndmask_b32_e32 v73, v75, v73, vcc_lo
	v_cndmask_b32_e32 v74, v76, v74, vcc_lo
	v_add_co_ci_u32_e64 v78, null, v13, v63, s0
	global_load_dwordx4 v[73:76], v[73:74], off
	v_add_nc_u32_e32 v78, 0x60, v78
	v_ashrrev_i64 v[79:80], 29, v[77:78]
	v_ashrrev_i64 v[77:78], 28, v[77:78]
	v_add_co_u32 v79, s0, s4, v79
	v_add_co_ci_u32_e64 v80, null, s5, v80, s0
	v_add_co_u32 v77, s0, s22, v77
	v_add_co_ci_u32_e64 v78, null, s23, v78, s0
	global_store_dwordx2 v[79:80], v[51:52], off
	s_waitcnt vmcnt(0)
	global_store_dwordx4 v[77:78], v[73:76], off
	s_or_b32 exec_lo, exec_lo, s1
	s_and_saveexec_b32 s1, s54
	s_cbranch_execz .LBB298_49
.LBB298_105:                            ;   in Loop: Header=BB298_21 Depth=1
	v_add_co_u32 v73, s0, s24, v41
	v_add_co_ci_u32_e64 v74, null, s25, v42, s0
	v_add_co_u32 v75, s0, s24, v21
	v_add_co_ci_u32_e64 v76, null, s25, v22, s0
	;; [unrolled: 2-line block ×4, first 2 shown]
	v_add_co_u32 v77, s0, 0, v71
	v_cndmask_b32_e32 v73, v75, v73, vcc_lo
	v_cndmask_b32_e32 v74, v76, v74, vcc_lo
	v_add_co_ci_u32_e64 v78, null, v13, v63, s0
	global_load_dwordx4 v[73:76], v[73:74], off
	v_add_nc_u32_e32 v78, 0x80, v78
	v_ashrrev_i64 v[79:80], 29, v[77:78]
	v_ashrrev_i64 v[77:78], 28, v[77:78]
	v_add_co_u32 v79, s0, s4, v79
	v_add_co_ci_u32_e64 v80, null, s5, v80, s0
	v_add_co_u32 v77, s0, s22, v77
	v_add_co_ci_u32_e64 v78, null, s23, v78, s0
	global_store_dwordx2 v[79:80], v[53:54], off
	s_waitcnt vmcnt(0)
	global_store_dwordx4 v[77:78], v[73:76], off
	s_or_b32 exec_lo, exec_lo, s1
	s_and_saveexec_b32 s1, s55
	s_cbranch_execz .LBB298_50
.LBB298_106:                            ;   in Loop: Header=BB298_21 Depth=1
	v_add_co_u32 v73, s0, s24, v41
	v_add_co_ci_u32_e64 v74, null, s25, v42, s0
	v_add_co_u32 v75, s0, s24, v19
	v_add_co_ci_u32_e64 v76, null, s25, v20, s0
	;; [unrolled: 2-line block ×4, first 2 shown]
	v_add_co_u32 v77, s0, 0, v71
	v_cndmask_b32_e32 v73, v75, v73, vcc_lo
	v_cndmask_b32_e32 v74, v76, v74, vcc_lo
	v_add_co_ci_u32_e64 v78, null, v13, v63, s0
	global_load_dwordx4 v[73:76], v[73:74], off
	v_add_nc_u32_e32 v78, 0xa0, v78
	v_ashrrev_i64 v[79:80], 29, v[77:78]
	v_ashrrev_i64 v[77:78], 28, v[77:78]
	v_add_co_u32 v79, s0, s4, v79
	v_add_co_ci_u32_e64 v80, null, s5, v80, s0
	v_add_co_u32 v77, s0, s22, v77
	v_add_co_ci_u32_e64 v78, null, s23, v78, s0
	global_store_dwordx2 v[79:80], v[55:56], off
	s_waitcnt vmcnt(0)
	global_store_dwordx4 v[77:78], v[73:76], off
	s_or_b32 exec_lo, exec_lo, s1
	s_and_saveexec_b32 s1, s56
	s_cbranch_execz .LBB298_51
.LBB298_107:                            ;   in Loop: Header=BB298_21 Depth=1
	v_add_co_u32 v73, s0, s24, v41
	v_add_co_ci_u32_e64 v74, null, s25, v42, s0
	v_add_co_u32 v75, s0, s24, v17
	v_add_co_ci_u32_e64 v76, null, s25, v18, s0
	;; [unrolled: 2-line block ×4, first 2 shown]
	v_add_co_u32 v77, s0, 0, v71
	v_cndmask_b32_e32 v73, v75, v73, vcc_lo
	v_cndmask_b32_e32 v74, v76, v74, vcc_lo
	v_add_co_ci_u32_e64 v78, null, v13, v63, s0
	global_load_dwordx4 v[73:76], v[73:74], off
	v_add_nc_u32_e32 v78, 0xc0, v78
	v_ashrrev_i64 v[79:80], 29, v[77:78]
	v_ashrrev_i64 v[77:78], 28, v[77:78]
	v_add_co_u32 v79, s0, s4, v79
	v_add_co_ci_u32_e64 v80, null, s5, v80, s0
	v_add_co_u32 v77, s0, s22, v77
	v_add_co_ci_u32_e64 v78, null, s23, v78, s0
	global_store_dwordx2 v[79:80], v[57:58], off
	s_waitcnt vmcnt(0)
	global_store_dwordx4 v[77:78], v[73:76], off
	s_or_b32 exec_lo, exec_lo, s1
	s_and_saveexec_b32 s1, s57
	s_cbranch_execz .LBB298_52
.LBB298_108:                            ;   in Loop: Header=BB298_21 Depth=1
	v_add_co_u32 v73, s0, s24, v41
	v_add_co_ci_u32_e64 v74, null, s25, v42, s0
	v_add_co_u32 v75, s0, s24, v15
	v_add_co_ci_u32_e64 v76, null, s25, v16, s0
	;; [unrolled: 2-line block ×4, first 2 shown]
	v_add_co_u32 v77, s0, 0, v71
	v_cndmask_b32_e32 v73, v75, v73, vcc_lo
	v_cndmask_b32_e32 v74, v76, v74, vcc_lo
	v_add_co_ci_u32_e64 v78, null, v13, v63, s0
	global_load_dwordx4 v[73:76], v[73:74], off
	v_add_nc_u32_e32 v78, 0xe0, v78
	v_ashrrev_i64 v[79:80], 29, v[77:78]
	v_ashrrev_i64 v[77:78], 28, v[77:78]
	v_add_co_u32 v79, s0, s4, v79
	v_add_co_ci_u32_e64 v80, null, s5, v80, s0
	v_add_co_u32 v77, s0, s22, v77
	v_add_co_ci_u32_e64 v78, null, s23, v78, s0
	global_store_dwordx2 v[79:80], v[61:62], off
	s_waitcnt vmcnt(0)
	global_store_dwordx4 v[77:78], v[73:76], off
	s_or_b32 exec_lo, exec_lo, s1
	s_and_saveexec_b32 s1, s58
	s_cbranch_execz .LBB298_53
.LBB298_109:                            ;   in Loop: Header=BB298_21 Depth=1
	v_add_co_u32 v73, s0, s24, v29
	v_add_co_ci_u32_e64 v74, null, s25, v30, s0
	v_add_co_u32 v75, s0, s24, v39
	v_add_co_ci_u32_e64 v76, null, s25, v40, s0
	;; [unrolled: 2-line block ×3, first 2 shown]
	v_add_co_u32 v77, s0, 0, v70
	v_cndmask_b32_e32 v73, v73, v75, vcc_lo
	v_cndmask_b32_e32 v74, v74, v76, vcc_lo
	v_add_co_ci_u32_e64 v78, null, v13, v11, s0
	global_load_dwordx4 v[73:76], v[73:74], off
	v_ashrrev_i64 v[79:80], 29, v[77:78]
	v_ashrrev_i64 v[77:78], 28, v[77:78]
	v_add_co_u32 v79, s0, s4, v79
	v_add_co_ci_u32_e64 v80, null, s5, v80, s0
	v_add_co_u32 v77, s0, s22, v77
	v_add_co_ci_u32_e64 v78, null, s23, v78, s0
	global_store_dwordx2 v[79:80], v[59:60], off
	s_waitcnt vmcnt(0)
	global_store_dwordx4 v[77:78], v[73:76], off
	s_or_b32 exec_lo, exec_lo, s1
	s_and_saveexec_b32 s1, s59
	s_cbranch_execz .LBB298_54
.LBB298_110:                            ;   in Loop: Header=BB298_21 Depth=1
	v_add_co_u32 v73, s0, s24, v39
	v_add_co_ci_u32_e64 v74, null, s25, v40, s0
	v_add_co_u32 v75, s0, s24, v27
	v_add_co_ci_u32_e64 v76, null, s25, v28, s0
	;; [unrolled: 2-line block ×4, first 2 shown]
	v_add_co_u32 v77, s0, 0, v70
	v_cndmask_b32_e32 v73, v75, v73, vcc_lo
	v_cndmask_b32_e32 v74, v76, v74, vcc_lo
	v_add_co_ci_u32_e64 v78, null, v13, v11, s0
	global_load_dwordx4 v[73:76], v[73:74], off
	v_add_nc_u32_e32 v78, 32, v78
	v_ashrrev_i64 v[79:80], 29, v[77:78]
	v_ashrrev_i64 v[77:78], 28, v[77:78]
	v_add_co_u32 v79, s0, s4, v79
	v_add_co_ci_u32_e64 v80, null, s5, v80, s0
	v_add_co_u32 v77, s0, s22, v77
	v_add_co_ci_u32_e64 v78, null, s23, v78, s0
	global_store_dwordx2 v[79:80], v[47:48], off
	s_waitcnt vmcnt(0)
	global_store_dwordx4 v[77:78], v[73:76], off
	s_or_b32 exec_lo, exec_lo, s1
	s_and_saveexec_b32 s1, s60
	s_cbranch_execz .LBB298_55
.LBB298_111:                            ;   in Loop: Header=BB298_21 Depth=1
	v_add_co_u32 v73, s0, s24, v39
	v_add_co_ci_u32_e64 v74, null, s25, v40, s0
	v_add_co_u32 v75, s0, s24, v25
	v_add_co_ci_u32_e64 v76, null, s25, v26, s0
	;; [unrolled: 2-line block ×4, first 2 shown]
	v_add_co_u32 v77, s0, 0, v70
	v_cndmask_b32_e32 v73, v75, v73, vcc_lo
	v_cndmask_b32_e32 v74, v76, v74, vcc_lo
	v_add_co_ci_u32_e64 v78, null, v13, v11, s0
	global_load_dwordx4 v[73:76], v[73:74], off
	v_add_nc_u32_e32 v78, 64, v78
	v_ashrrev_i64 v[79:80], 29, v[77:78]
	v_ashrrev_i64 v[77:78], 28, v[77:78]
	v_add_co_u32 v79, s0, s4, v79
	v_add_co_ci_u32_e64 v80, null, s5, v80, s0
	v_add_co_u32 v77, s0, s22, v77
	v_add_co_ci_u32_e64 v78, null, s23, v78, s0
	global_store_dwordx2 v[79:80], v[49:50], off
	s_waitcnt vmcnt(0)
	global_store_dwordx4 v[77:78], v[73:76], off
	s_or_b32 exec_lo, exec_lo, s1
	s_and_saveexec_b32 s1, s61
	s_cbranch_execz .LBB298_56
.LBB298_112:                            ;   in Loop: Header=BB298_21 Depth=1
	v_add_co_u32 v73, s0, s24, v39
	v_add_co_ci_u32_e64 v74, null, s25, v40, s0
	v_add_co_u32 v75, s0, s24, v23
	v_add_co_ci_u32_e64 v76, null, s25, v24, s0
	;; [unrolled: 2-line block ×4, first 2 shown]
	v_add_co_u32 v77, s0, 0, v70
	v_cndmask_b32_e32 v73, v75, v73, vcc_lo
	v_cndmask_b32_e32 v74, v76, v74, vcc_lo
	v_add_co_ci_u32_e64 v78, null, v13, v11, s0
	global_load_dwordx4 v[73:76], v[73:74], off
	v_add_nc_u32_e32 v78, 0x60, v78
	v_ashrrev_i64 v[79:80], 29, v[77:78]
	v_ashrrev_i64 v[77:78], 28, v[77:78]
	v_add_co_u32 v79, s0, s4, v79
	v_add_co_ci_u32_e64 v80, null, s5, v80, s0
	v_add_co_u32 v77, s0, s22, v77
	v_add_co_ci_u32_e64 v78, null, s23, v78, s0
	global_store_dwordx2 v[79:80], v[51:52], off
	s_waitcnt vmcnt(0)
	global_store_dwordx4 v[77:78], v[73:76], off
	s_or_b32 exec_lo, exec_lo, s1
	s_and_saveexec_b32 s1, s62
	s_cbranch_execz .LBB298_57
.LBB298_113:                            ;   in Loop: Header=BB298_21 Depth=1
	v_add_co_u32 v73, s0, s24, v39
	v_add_co_ci_u32_e64 v74, null, s25, v40, s0
	v_add_co_u32 v75, s0, s24, v21
	v_add_co_ci_u32_e64 v76, null, s25, v22, s0
	;; [unrolled: 2-line block ×4, first 2 shown]
	v_add_co_u32 v77, s0, 0, v70
	v_cndmask_b32_e32 v73, v75, v73, vcc_lo
	v_cndmask_b32_e32 v74, v76, v74, vcc_lo
	v_add_co_ci_u32_e64 v78, null, v13, v11, s0
	global_load_dwordx4 v[73:76], v[73:74], off
	v_add_nc_u32_e32 v78, 0x80, v78
	v_ashrrev_i64 v[79:80], 29, v[77:78]
	v_ashrrev_i64 v[77:78], 28, v[77:78]
	v_add_co_u32 v79, s0, s4, v79
	v_add_co_ci_u32_e64 v80, null, s5, v80, s0
	v_add_co_u32 v77, s0, s22, v77
	v_add_co_ci_u32_e64 v78, null, s23, v78, s0
	global_store_dwordx2 v[79:80], v[53:54], off
	s_waitcnt vmcnt(0)
	global_store_dwordx4 v[77:78], v[73:76], off
	s_or_b32 exec_lo, exec_lo, s1
	s_and_saveexec_b32 s1, s63
	s_cbranch_execz .LBB298_58
.LBB298_114:                            ;   in Loop: Header=BB298_21 Depth=1
	v_add_co_u32 v73, s0, s24, v39
	v_add_co_ci_u32_e64 v74, null, s25, v40, s0
	v_add_co_u32 v75, s0, s24, v19
	v_add_co_ci_u32_e64 v76, null, s25, v20, s0
	;; [unrolled: 2-line block ×4, first 2 shown]
	v_add_co_u32 v77, s0, 0, v70
	v_cndmask_b32_e32 v73, v75, v73, vcc_lo
	v_cndmask_b32_e32 v74, v76, v74, vcc_lo
	v_add_co_ci_u32_e64 v78, null, v13, v11, s0
	global_load_dwordx4 v[73:76], v[73:74], off
	v_add_nc_u32_e32 v78, 0xa0, v78
	v_ashrrev_i64 v[79:80], 29, v[77:78]
	v_ashrrev_i64 v[77:78], 28, v[77:78]
	v_add_co_u32 v79, s0, s4, v79
	v_add_co_ci_u32_e64 v80, null, s5, v80, s0
	v_add_co_u32 v77, s0, s22, v77
	v_add_co_ci_u32_e64 v78, null, s23, v78, s0
	global_store_dwordx2 v[79:80], v[55:56], off
	s_waitcnt vmcnt(0)
	global_store_dwordx4 v[77:78], v[73:76], off
	s_or_b32 exec_lo, exec_lo, s1
	s_and_saveexec_b32 s1, s64
	s_cbranch_execz .LBB298_59
.LBB298_115:                            ;   in Loop: Header=BB298_21 Depth=1
	v_add_co_u32 v73, s0, s24, v39
	v_add_co_ci_u32_e64 v74, null, s25, v40, s0
	v_add_co_u32 v75, s0, s24, v17
	v_add_co_ci_u32_e64 v76, null, s25, v18, s0
	;; [unrolled: 2-line block ×4, first 2 shown]
	v_add_co_u32 v77, s0, 0, v70
	v_cndmask_b32_e32 v73, v75, v73, vcc_lo
	v_cndmask_b32_e32 v74, v76, v74, vcc_lo
	v_add_co_ci_u32_e64 v78, null, v13, v11, s0
	global_load_dwordx4 v[73:76], v[73:74], off
	v_add_nc_u32_e32 v78, 0xc0, v78
	v_ashrrev_i64 v[79:80], 29, v[77:78]
	v_ashrrev_i64 v[77:78], 28, v[77:78]
	v_add_co_u32 v79, s0, s4, v79
	v_add_co_ci_u32_e64 v80, null, s5, v80, s0
	v_add_co_u32 v77, s0, s22, v77
	v_add_co_ci_u32_e64 v78, null, s23, v78, s0
	global_store_dwordx2 v[79:80], v[57:58], off
	s_waitcnt vmcnt(0)
	global_store_dwordx4 v[77:78], v[73:76], off
	s_or_b32 exec_lo, exec_lo, s1
	s_and_saveexec_b32 s1, s65
	s_cbranch_execz .LBB298_60
.LBB298_116:                            ;   in Loop: Header=BB298_21 Depth=1
	v_add_co_u32 v73, s0, s24, v39
	v_add_co_ci_u32_e64 v74, null, s25, v40, s0
	v_add_co_u32 v75, s0, s24, v15
	v_add_co_ci_u32_e64 v76, null, s25, v16, s0
	;; [unrolled: 2-line block ×4, first 2 shown]
	v_add_co_u32 v77, s0, 0, v70
	v_cndmask_b32_e32 v73, v75, v73, vcc_lo
	v_cndmask_b32_e32 v74, v76, v74, vcc_lo
	v_add_co_ci_u32_e64 v78, null, v13, v11, s0
	global_load_dwordx4 v[73:76], v[73:74], off
	v_add_nc_u32_e32 v78, 0xe0, v78
	v_ashrrev_i64 v[79:80], 29, v[77:78]
	v_ashrrev_i64 v[77:78], 28, v[77:78]
	v_add_co_u32 v79, s0, s4, v79
	v_add_co_ci_u32_e64 v80, null, s5, v80, s0
	v_add_co_u32 v77, s0, s22, v77
	v_add_co_ci_u32_e64 v78, null, s23, v78, s0
	global_store_dwordx2 v[79:80], v[61:62], off
	s_waitcnt vmcnt(0)
	global_store_dwordx4 v[77:78], v[73:76], off
	s_or_b32 exec_lo, exec_lo, s1
	s_and_saveexec_b32 s1, s66
	s_cbranch_execz .LBB298_61
.LBB298_117:                            ;   in Loop: Header=BB298_21 Depth=1
	v_add_co_u32 v73, s0, s24, v29
	v_add_co_ci_u32_e64 v74, null, s25, v30, s0
	v_add_co_u32 v75, s0, s24, v37
	v_add_co_ci_u32_e64 v76, null, s25, v38, s0
	;; [unrolled: 2-line block ×3, first 2 shown]
	v_add_co_u32 v77, s0, 0, v69
	v_cndmask_b32_e32 v73, v73, v75, vcc_lo
	v_cndmask_b32_e32 v74, v74, v76, vcc_lo
	v_add_co_ci_u32_e64 v78, null, v13, v9, s0
	global_load_dwordx4 v[73:76], v[73:74], off
	v_ashrrev_i64 v[79:80], 29, v[77:78]
	v_ashrrev_i64 v[77:78], 28, v[77:78]
	v_add_co_u32 v79, s0, s4, v79
	v_add_co_ci_u32_e64 v80, null, s5, v80, s0
	v_add_co_u32 v77, s0, s22, v77
	v_add_co_ci_u32_e64 v78, null, s23, v78, s0
	global_store_dwordx2 v[79:80], v[59:60], off
	s_waitcnt vmcnt(0)
	global_store_dwordx4 v[77:78], v[73:76], off
	s_or_b32 exec_lo, exec_lo, s1
	s_and_saveexec_b32 s1, s67
	s_cbranch_execz .LBB298_62
.LBB298_118:                            ;   in Loop: Header=BB298_21 Depth=1
	v_add_co_u32 v73, s0, s24, v37
	v_add_co_ci_u32_e64 v74, null, s25, v38, s0
	v_add_co_u32 v75, s0, s24, v27
	v_add_co_ci_u32_e64 v76, null, s25, v28, s0
	;; [unrolled: 2-line block ×4, first 2 shown]
	v_add_co_u32 v77, s0, 0, v69
	v_cndmask_b32_e32 v73, v75, v73, vcc_lo
	v_cndmask_b32_e32 v74, v76, v74, vcc_lo
	v_add_co_ci_u32_e64 v78, null, v13, v9, s0
	global_load_dwordx4 v[73:76], v[73:74], off
	v_add_nc_u32_e32 v78, 32, v78
	v_ashrrev_i64 v[79:80], 29, v[77:78]
	v_ashrrev_i64 v[77:78], 28, v[77:78]
	v_add_co_u32 v79, s0, s4, v79
	v_add_co_ci_u32_e64 v80, null, s5, v80, s0
	v_add_co_u32 v77, s0, s22, v77
	v_add_co_ci_u32_e64 v78, null, s23, v78, s0
	global_store_dwordx2 v[79:80], v[47:48], off
	s_waitcnt vmcnt(0)
	global_store_dwordx4 v[77:78], v[73:76], off
	s_or_b32 exec_lo, exec_lo, s1
	s_and_saveexec_b32 s1, s68
	s_cbranch_execz .LBB298_63
.LBB298_119:                            ;   in Loop: Header=BB298_21 Depth=1
	v_add_co_u32 v73, s0, s24, v37
	v_add_co_ci_u32_e64 v74, null, s25, v38, s0
	v_add_co_u32 v75, s0, s24, v25
	v_add_co_ci_u32_e64 v76, null, s25, v26, s0
	;; [unrolled: 2-line block ×4, first 2 shown]
	v_add_co_u32 v77, s0, 0, v69
	v_cndmask_b32_e32 v73, v75, v73, vcc_lo
	v_cndmask_b32_e32 v74, v76, v74, vcc_lo
	v_add_co_ci_u32_e64 v78, null, v13, v9, s0
	global_load_dwordx4 v[73:76], v[73:74], off
	v_add_nc_u32_e32 v78, 64, v78
	v_ashrrev_i64 v[79:80], 29, v[77:78]
	v_ashrrev_i64 v[77:78], 28, v[77:78]
	v_add_co_u32 v79, s0, s4, v79
	v_add_co_ci_u32_e64 v80, null, s5, v80, s0
	v_add_co_u32 v77, s0, s22, v77
	v_add_co_ci_u32_e64 v78, null, s23, v78, s0
	global_store_dwordx2 v[79:80], v[49:50], off
	s_waitcnt vmcnt(0)
	global_store_dwordx4 v[77:78], v[73:76], off
	s_or_b32 exec_lo, exec_lo, s1
	s_and_saveexec_b32 s1, s69
	s_cbranch_execz .LBB298_64
.LBB298_120:                            ;   in Loop: Header=BB298_21 Depth=1
	v_add_co_u32 v73, s0, s24, v37
	v_add_co_ci_u32_e64 v74, null, s25, v38, s0
	v_add_co_u32 v75, s0, s24, v23
	v_add_co_ci_u32_e64 v76, null, s25, v24, s0
	;; [unrolled: 2-line block ×4, first 2 shown]
	v_add_co_u32 v77, s0, 0, v69
	v_cndmask_b32_e32 v73, v75, v73, vcc_lo
	v_cndmask_b32_e32 v74, v76, v74, vcc_lo
	v_add_co_ci_u32_e64 v78, null, v13, v9, s0
	global_load_dwordx4 v[73:76], v[73:74], off
	v_add_nc_u32_e32 v78, 0x60, v78
	v_ashrrev_i64 v[79:80], 29, v[77:78]
	v_ashrrev_i64 v[77:78], 28, v[77:78]
	v_add_co_u32 v79, s0, s4, v79
	v_add_co_ci_u32_e64 v80, null, s5, v80, s0
	v_add_co_u32 v77, s0, s22, v77
	v_add_co_ci_u32_e64 v78, null, s23, v78, s0
	global_store_dwordx2 v[79:80], v[51:52], off
	s_waitcnt vmcnt(0)
	global_store_dwordx4 v[77:78], v[73:76], off
	s_or_b32 exec_lo, exec_lo, s1
	s_and_saveexec_b32 s1, s70
	s_cbranch_execz .LBB298_65
.LBB298_121:                            ;   in Loop: Header=BB298_21 Depth=1
	v_add_co_u32 v73, s0, s24, v37
	v_add_co_ci_u32_e64 v74, null, s25, v38, s0
	v_add_co_u32 v75, s0, s24, v21
	v_add_co_ci_u32_e64 v76, null, s25, v22, s0
	;; [unrolled: 2-line block ×4, first 2 shown]
	v_add_co_u32 v77, s0, 0, v69
	v_cndmask_b32_e32 v73, v75, v73, vcc_lo
	v_cndmask_b32_e32 v74, v76, v74, vcc_lo
	v_add_co_ci_u32_e64 v78, null, v13, v9, s0
	global_load_dwordx4 v[73:76], v[73:74], off
	v_add_nc_u32_e32 v78, 0x80, v78
	v_ashrrev_i64 v[79:80], 29, v[77:78]
	v_ashrrev_i64 v[77:78], 28, v[77:78]
	v_add_co_u32 v79, s0, s4, v79
	v_add_co_ci_u32_e64 v80, null, s5, v80, s0
	v_add_co_u32 v77, s0, s22, v77
	v_add_co_ci_u32_e64 v78, null, s23, v78, s0
	global_store_dwordx2 v[79:80], v[53:54], off
	s_waitcnt vmcnt(0)
	global_store_dwordx4 v[77:78], v[73:76], off
	s_or_b32 exec_lo, exec_lo, s1
	s_and_saveexec_b32 s1, s71
	s_cbranch_execz .LBB298_66
.LBB298_122:                            ;   in Loop: Header=BB298_21 Depth=1
	v_add_co_u32 v73, s0, s24, v37
	v_add_co_ci_u32_e64 v74, null, s25, v38, s0
	v_add_co_u32 v75, s0, s24, v19
	v_add_co_ci_u32_e64 v76, null, s25, v20, s0
	;; [unrolled: 2-line block ×4, first 2 shown]
	v_add_co_u32 v77, s0, 0, v69
	v_cndmask_b32_e32 v73, v75, v73, vcc_lo
	v_cndmask_b32_e32 v74, v76, v74, vcc_lo
	v_add_co_ci_u32_e64 v78, null, v13, v9, s0
	global_load_dwordx4 v[73:76], v[73:74], off
	v_add_nc_u32_e32 v78, 0xa0, v78
	v_ashrrev_i64 v[79:80], 29, v[77:78]
	v_ashrrev_i64 v[77:78], 28, v[77:78]
	v_add_co_u32 v79, s0, s4, v79
	v_add_co_ci_u32_e64 v80, null, s5, v80, s0
	v_add_co_u32 v77, s0, s22, v77
	v_add_co_ci_u32_e64 v78, null, s23, v78, s0
	global_store_dwordx2 v[79:80], v[55:56], off
	s_waitcnt vmcnt(0)
	global_store_dwordx4 v[77:78], v[73:76], off
	s_or_b32 exec_lo, exec_lo, s1
	s_and_saveexec_b32 s1, s72
	s_cbranch_execz .LBB298_67
.LBB298_123:                            ;   in Loop: Header=BB298_21 Depth=1
	v_add_co_u32 v73, s0, s24, v37
	v_add_co_ci_u32_e64 v74, null, s25, v38, s0
	v_add_co_u32 v75, s0, s24, v17
	v_add_co_ci_u32_e64 v76, null, s25, v18, s0
	;; [unrolled: 2-line block ×4, first 2 shown]
	v_add_co_u32 v77, s0, 0, v69
	v_cndmask_b32_e32 v73, v75, v73, vcc_lo
	v_cndmask_b32_e32 v74, v76, v74, vcc_lo
	v_add_co_ci_u32_e64 v78, null, v13, v9, s0
	global_load_dwordx4 v[73:76], v[73:74], off
	v_add_nc_u32_e32 v78, 0xc0, v78
	v_ashrrev_i64 v[79:80], 29, v[77:78]
	v_ashrrev_i64 v[77:78], 28, v[77:78]
	v_add_co_u32 v79, s0, s4, v79
	v_add_co_ci_u32_e64 v80, null, s5, v80, s0
	v_add_co_u32 v77, s0, s22, v77
	v_add_co_ci_u32_e64 v78, null, s23, v78, s0
	global_store_dwordx2 v[79:80], v[57:58], off
	s_waitcnt vmcnt(0)
	global_store_dwordx4 v[77:78], v[73:76], off
	s_or_b32 exec_lo, exec_lo, s1
	s_and_saveexec_b32 s1, s73
	s_cbranch_execz .LBB298_68
.LBB298_124:                            ;   in Loop: Header=BB298_21 Depth=1
	v_add_co_u32 v73, s0, s24, v37
	v_add_co_ci_u32_e64 v74, null, s25, v38, s0
	v_add_co_u32 v75, s0, s24, v15
	v_add_co_ci_u32_e64 v76, null, s25, v16, s0
	v_add_co_u32 v73, s0, 0xe00, v73
	v_add_co_ci_u32_e64 v74, null, 0, v74, s0
	v_add_co_u32 v75, s0, 0x800, v75
	v_add_co_ci_u32_e64 v76, null, 0, v76, s0
	v_add_co_u32 v77, s0, 0, v69
	v_cndmask_b32_e32 v73, v75, v73, vcc_lo
	v_cndmask_b32_e32 v74, v76, v74, vcc_lo
	v_add_co_ci_u32_e64 v78, null, v13, v9, s0
	global_load_dwordx4 v[73:76], v[73:74], off
	v_add_nc_u32_e32 v78, 0xe0, v78
	v_ashrrev_i64 v[79:80], 29, v[77:78]
	v_ashrrev_i64 v[77:78], 28, v[77:78]
	v_add_co_u32 v79, s0, s4, v79
	v_add_co_ci_u32_e64 v80, null, s5, v80, s0
	v_add_co_u32 v77, s0, s22, v77
	v_add_co_ci_u32_e64 v78, null, s23, v78, s0
	global_store_dwordx2 v[79:80], v[61:62], off
	s_waitcnt vmcnt(0)
	global_store_dwordx4 v[77:78], v[73:76], off
	s_or_b32 exec_lo, exec_lo, s1
	s_and_saveexec_b32 s1, s74
	s_cbranch_execz .LBB298_69
.LBB298_125:                            ;   in Loop: Header=BB298_21 Depth=1
	v_add_co_u32 v73, s0, s24, v29
	v_add_co_ci_u32_e64 v74, null, s25, v30, s0
	v_add_co_u32 v75, s0, s24, v35
	v_add_co_ci_u32_e64 v76, null, s25, v36, s0
	;; [unrolled: 2-line block ×3, first 2 shown]
	v_add_co_u32 v77, s0, 0, v68
	v_cndmask_b32_e32 v73, v73, v75, vcc_lo
	v_cndmask_b32_e32 v74, v74, v76, vcc_lo
	v_add_co_ci_u32_e64 v78, null, v13, v7, s0
	global_load_dwordx4 v[73:76], v[73:74], off
	v_ashrrev_i64 v[79:80], 29, v[77:78]
	v_ashrrev_i64 v[77:78], 28, v[77:78]
	v_add_co_u32 v79, s0, s4, v79
	v_add_co_ci_u32_e64 v80, null, s5, v80, s0
	v_add_co_u32 v77, s0, s22, v77
	v_add_co_ci_u32_e64 v78, null, s23, v78, s0
	global_store_dwordx2 v[79:80], v[59:60], off
	s_waitcnt vmcnt(0)
	global_store_dwordx4 v[77:78], v[73:76], off
	s_or_b32 exec_lo, exec_lo, s1
	s_and_saveexec_b32 s1, s75
	s_cbranch_execz .LBB298_70
.LBB298_126:                            ;   in Loop: Header=BB298_21 Depth=1
	v_add_co_u32 v73, s0, s24, v35
	v_add_co_ci_u32_e64 v74, null, s25, v36, s0
	v_add_co_u32 v75, s0, s24, v27
	v_add_co_ci_u32_e64 v76, null, s25, v28, s0
	;; [unrolled: 2-line block ×4, first 2 shown]
	v_add_co_u32 v77, s0, 0, v68
	v_cndmask_b32_e32 v73, v75, v73, vcc_lo
	v_cndmask_b32_e32 v74, v76, v74, vcc_lo
	v_add_co_ci_u32_e64 v78, null, v13, v7, s0
	global_load_dwordx4 v[73:76], v[73:74], off
	v_add_nc_u32_e32 v78, 32, v78
	v_ashrrev_i64 v[79:80], 29, v[77:78]
	v_ashrrev_i64 v[77:78], 28, v[77:78]
	v_add_co_u32 v79, s0, s4, v79
	v_add_co_ci_u32_e64 v80, null, s5, v80, s0
	v_add_co_u32 v77, s0, s22, v77
	v_add_co_ci_u32_e64 v78, null, s23, v78, s0
	global_store_dwordx2 v[79:80], v[47:48], off
	s_waitcnt vmcnt(0)
	global_store_dwordx4 v[77:78], v[73:76], off
	s_or_b32 exec_lo, exec_lo, s1
	s_and_saveexec_b32 s1, s76
	s_cbranch_execz .LBB298_71
.LBB298_127:                            ;   in Loop: Header=BB298_21 Depth=1
	v_add_co_u32 v73, s0, s24, v35
	v_add_co_ci_u32_e64 v74, null, s25, v36, s0
	v_add_co_u32 v75, s0, s24, v25
	v_add_co_ci_u32_e64 v76, null, s25, v26, s0
	;; [unrolled: 2-line block ×4, first 2 shown]
	v_add_co_u32 v77, s0, 0, v68
	v_cndmask_b32_e32 v73, v75, v73, vcc_lo
	v_cndmask_b32_e32 v74, v76, v74, vcc_lo
	v_add_co_ci_u32_e64 v78, null, v13, v7, s0
	global_load_dwordx4 v[73:76], v[73:74], off
	v_add_nc_u32_e32 v78, 64, v78
	v_ashrrev_i64 v[79:80], 29, v[77:78]
	v_ashrrev_i64 v[77:78], 28, v[77:78]
	v_add_co_u32 v79, s0, s4, v79
	v_add_co_ci_u32_e64 v80, null, s5, v80, s0
	v_add_co_u32 v77, s0, s22, v77
	v_add_co_ci_u32_e64 v78, null, s23, v78, s0
	global_store_dwordx2 v[79:80], v[49:50], off
	s_waitcnt vmcnt(0)
	global_store_dwordx4 v[77:78], v[73:76], off
	s_or_b32 exec_lo, exec_lo, s1
	s_and_saveexec_b32 s1, s77
	s_cbranch_execz .LBB298_72
.LBB298_128:                            ;   in Loop: Header=BB298_21 Depth=1
	v_add_co_u32 v73, s0, s24, v35
	v_add_co_ci_u32_e64 v74, null, s25, v36, s0
	v_add_co_u32 v75, s0, s24, v23
	v_add_co_ci_u32_e64 v76, null, s25, v24, s0
	;; [unrolled: 2-line block ×4, first 2 shown]
	v_add_co_u32 v77, s0, 0, v68
	v_cndmask_b32_e32 v73, v75, v73, vcc_lo
	v_cndmask_b32_e32 v74, v76, v74, vcc_lo
	v_add_co_ci_u32_e64 v78, null, v13, v7, s0
	global_load_dwordx4 v[73:76], v[73:74], off
	v_add_nc_u32_e32 v78, 0x60, v78
	v_ashrrev_i64 v[79:80], 29, v[77:78]
	v_ashrrev_i64 v[77:78], 28, v[77:78]
	v_add_co_u32 v79, s0, s4, v79
	v_add_co_ci_u32_e64 v80, null, s5, v80, s0
	v_add_co_u32 v77, s0, s22, v77
	v_add_co_ci_u32_e64 v78, null, s23, v78, s0
	global_store_dwordx2 v[79:80], v[51:52], off
	s_waitcnt vmcnt(0)
	global_store_dwordx4 v[77:78], v[73:76], off
	s_or_b32 exec_lo, exec_lo, s1
	s_and_saveexec_b32 s1, s78
	s_cbranch_execz .LBB298_73
.LBB298_129:                            ;   in Loop: Header=BB298_21 Depth=1
	v_add_co_u32 v73, s0, s24, v35
	v_add_co_ci_u32_e64 v74, null, s25, v36, s0
	v_add_co_u32 v75, s0, s24, v21
	v_add_co_ci_u32_e64 v76, null, s25, v22, s0
	;; [unrolled: 2-line block ×4, first 2 shown]
	v_add_co_u32 v77, s0, 0, v68
	v_cndmask_b32_e32 v73, v75, v73, vcc_lo
	v_cndmask_b32_e32 v74, v76, v74, vcc_lo
	v_add_co_ci_u32_e64 v78, null, v13, v7, s0
	global_load_dwordx4 v[73:76], v[73:74], off
	v_add_nc_u32_e32 v78, 0x80, v78
	v_ashrrev_i64 v[79:80], 29, v[77:78]
	v_ashrrev_i64 v[77:78], 28, v[77:78]
	v_add_co_u32 v79, s0, s4, v79
	v_add_co_ci_u32_e64 v80, null, s5, v80, s0
	v_add_co_u32 v77, s0, s22, v77
	v_add_co_ci_u32_e64 v78, null, s23, v78, s0
	global_store_dwordx2 v[79:80], v[53:54], off
	s_waitcnt vmcnt(0)
	global_store_dwordx4 v[77:78], v[73:76], off
	s_or_b32 exec_lo, exec_lo, s1
	s_and_saveexec_b32 s1, s79
	s_cbranch_execz .LBB298_74
.LBB298_130:                            ;   in Loop: Header=BB298_21 Depth=1
	v_add_co_u32 v73, s0, s24, v35
	v_add_co_ci_u32_e64 v74, null, s25, v36, s0
	v_add_co_u32 v75, s0, s24, v19
	v_add_co_ci_u32_e64 v76, null, s25, v20, s0
	;; [unrolled: 2-line block ×4, first 2 shown]
	v_add_co_u32 v77, s0, 0, v68
	v_cndmask_b32_e32 v73, v75, v73, vcc_lo
	v_cndmask_b32_e32 v74, v76, v74, vcc_lo
	v_add_co_ci_u32_e64 v78, null, v13, v7, s0
	global_load_dwordx4 v[73:76], v[73:74], off
	v_add_nc_u32_e32 v78, 0xa0, v78
	v_ashrrev_i64 v[79:80], 29, v[77:78]
	v_ashrrev_i64 v[77:78], 28, v[77:78]
	v_add_co_u32 v79, s0, s4, v79
	v_add_co_ci_u32_e64 v80, null, s5, v80, s0
	v_add_co_u32 v77, s0, s22, v77
	v_add_co_ci_u32_e64 v78, null, s23, v78, s0
	global_store_dwordx2 v[79:80], v[55:56], off
	s_waitcnt vmcnt(0)
	global_store_dwordx4 v[77:78], v[73:76], off
	s_or_b32 exec_lo, exec_lo, s1
	s_and_saveexec_b32 s1, s80
	s_cbranch_execz .LBB298_75
.LBB298_131:                            ;   in Loop: Header=BB298_21 Depth=1
	v_add_co_u32 v73, s0, s24, v35
	v_add_co_ci_u32_e64 v74, null, s25, v36, s0
	v_add_co_u32 v75, s0, s24, v17
	v_add_co_ci_u32_e64 v76, null, s25, v18, s0
	;; [unrolled: 2-line block ×4, first 2 shown]
	v_add_co_u32 v77, s0, 0, v68
	v_cndmask_b32_e32 v73, v75, v73, vcc_lo
	v_cndmask_b32_e32 v74, v76, v74, vcc_lo
	v_add_co_ci_u32_e64 v78, null, v13, v7, s0
	global_load_dwordx4 v[73:76], v[73:74], off
	v_add_nc_u32_e32 v78, 0xc0, v78
	v_ashrrev_i64 v[79:80], 29, v[77:78]
	v_ashrrev_i64 v[77:78], 28, v[77:78]
	v_add_co_u32 v79, s0, s4, v79
	v_add_co_ci_u32_e64 v80, null, s5, v80, s0
	v_add_co_u32 v77, s0, s22, v77
	v_add_co_ci_u32_e64 v78, null, s23, v78, s0
	global_store_dwordx2 v[79:80], v[57:58], off
	s_waitcnt vmcnt(0)
	global_store_dwordx4 v[77:78], v[73:76], off
	s_or_b32 exec_lo, exec_lo, s1
	s_and_saveexec_b32 s1, s81
	s_cbranch_execz .LBB298_76
.LBB298_132:                            ;   in Loop: Header=BB298_21 Depth=1
	v_add_co_u32 v73, s0, s24, v35
	v_add_co_ci_u32_e64 v74, null, s25, v36, s0
	v_add_co_u32 v75, s0, s24, v15
	v_add_co_ci_u32_e64 v76, null, s25, v16, s0
	;; [unrolled: 2-line block ×4, first 2 shown]
	v_add_co_u32 v77, s0, 0, v68
	v_cndmask_b32_e32 v73, v75, v73, vcc_lo
	v_cndmask_b32_e32 v74, v76, v74, vcc_lo
	v_add_co_ci_u32_e64 v78, null, v13, v7, s0
	global_load_dwordx4 v[73:76], v[73:74], off
	v_add_nc_u32_e32 v78, 0xe0, v78
	v_ashrrev_i64 v[79:80], 29, v[77:78]
	v_ashrrev_i64 v[77:78], 28, v[77:78]
	v_add_co_u32 v79, s0, s4, v79
	v_add_co_ci_u32_e64 v80, null, s5, v80, s0
	v_add_co_u32 v77, s0, s22, v77
	v_add_co_ci_u32_e64 v78, null, s23, v78, s0
	global_store_dwordx2 v[79:80], v[61:62], off
	s_waitcnt vmcnt(0)
	global_store_dwordx4 v[77:78], v[73:76], off
	s_or_b32 exec_lo, exec_lo, s1
	s_and_saveexec_b32 s1, s82
	s_cbranch_execz .LBB298_77
.LBB298_133:                            ;   in Loop: Header=BB298_21 Depth=1
	v_add_co_u32 v73, s0, s24, v29
	v_add_co_ci_u32_e64 v74, null, s25, v30, s0
	v_add_co_u32 v75, s0, s24, v33
	v_add_co_ci_u32_e64 v76, null, s25, v34, s0
	;; [unrolled: 2-line block ×3, first 2 shown]
	v_add_co_u32 v77, s0, 0, v66
	v_cndmask_b32_e32 v73, v73, v75, vcc_lo
	v_cndmask_b32_e32 v74, v74, v76, vcc_lo
	v_add_co_ci_u32_e64 v78, null, v13, v5, s0
	global_load_dwordx4 v[73:76], v[73:74], off
	v_ashrrev_i64 v[79:80], 29, v[77:78]
	v_ashrrev_i64 v[77:78], 28, v[77:78]
	v_add_co_u32 v79, s0, s4, v79
	v_add_co_ci_u32_e64 v80, null, s5, v80, s0
	v_add_co_u32 v77, s0, s22, v77
	v_add_co_ci_u32_e64 v78, null, s23, v78, s0
	global_store_dwordx2 v[79:80], v[59:60], off
	s_waitcnt vmcnt(0)
	global_store_dwordx4 v[77:78], v[73:76], off
	s_or_b32 exec_lo, exec_lo, s1
	s_and_saveexec_b32 s1, s83
	s_cbranch_execz .LBB298_78
.LBB298_134:                            ;   in Loop: Header=BB298_21 Depth=1
	v_add_co_u32 v73, s0, s24, v33
	v_add_co_ci_u32_e64 v74, null, s25, v34, s0
	v_add_co_u32 v75, s0, s24, v27
	v_add_co_ci_u32_e64 v76, null, s25, v28, s0
	;; [unrolled: 2-line block ×4, first 2 shown]
	v_add_co_u32 v77, s0, 0, v66
	v_cndmask_b32_e32 v73, v75, v73, vcc_lo
	v_cndmask_b32_e32 v74, v76, v74, vcc_lo
	v_add_co_ci_u32_e64 v78, null, v13, v5, s0
	global_load_dwordx4 v[73:76], v[73:74], off
	v_add_nc_u32_e32 v78, 32, v78
	v_ashrrev_i64 v[79:80], 29, v[77:78]
	v_ashrrev_i64 v[77:78], 28, v[77:78]
	v_add_co_u32 v79, s0, s4, v79
	v_add_co_ci_u32_e64 v80, null, s5, v80, s0
	v_add_co_u32 v77, s0, s22, v77
	v_add_co_ci_u32_e64 v78, null, s23, v78, s0
	global_store_dwordx2 v[79:80], v[47:48], off
	s_waitcnt vmcnt(0)
	global_store_dwordx4 v[77:78], v[73:76], off
	s_or_b32 exec_lo, exec_lo, s1
	s_and_saveexec_b32 s1, s84
	s_cbranch_execz .LBB298_79
.LBB298_135:                            ;   in Loop: Header=BB298_21 Depth=1
	v_add_co_u32 v73, s0, s24, v33
	v_add_co_ci_u32_e64 v74, null, s25, v34, s0
	v_add_co_u32 v75, s0, s24, v25
	v_add_co_ci_u32_e64 v76, null, s25, v26, s0
	v_add_co_u32 v73, s0, 0x400, v73
	v_add_co_ci_u32_e64 v74, null, 0, v74, s0
	v_add_co_u32 v75, s0, 0xc00, v75
	v_add_co_ci_u32_e64 v76, null, 0, v76, s0
	v_add_co_u32 v77, s0, 0, v66
	v_cndmask_b32_e32 v73, v75, v73, vcc_lo
	v_cndmask_b32_e32 v74, v76, v74, vcc_lo
	v_add_co_ci_u32_e64 v78, null, v13, v5, s0
	global_load_dwordx4 v[73:76], v[73:74], off
	v_add_nc_u32_e32 v78, 64, v78
	v_ashrrev_i64 v[79:80], 29, v[77:78]
	v_ashrrev_i64 v[77:78], 28, v[77:78]
	v_add_co_u32 v79, s0, s4, v79
	v_add_co_ci_u32_e64 v80, null, s5, v80, s0
	v_add_co_u32 v77, s0, s22, v77
	v_add_co_ci_u32_e64 v78, null, s23, v78, s0
	global_store_dwordx2 v[79:80], v[49:50], off
	s_waitcnt vmcnt(0)
	global_store_dwordx4 v[77:78], v[73:76], off
	s_or_b32 exec_lo, exec_lo, s1
	s_and_saveexec_b32 s1, s85
	s_cbranch_execz .LBB298_80
.LBB298_136:                            ;   in Loop: Header=BB298_21 Depth=1
	v_add_co_u32 v73, s0, s24, v33
	v_add_co_ci_u32_e64 v74, null, s25, v34, s0
	v_add_co_u32 v75, s0, s24, v23
	v_add_co_ci_u32_e64 v76, null, s25, v24, s0
	;; [unrolled: 2-line block ×4, first 2 shown]
	v_add_co_u32 v77, s0, 0, v66
	v_cndmask_b32_e32 v73, v75, v73, vcc_lo
	v_cndmask_b32_e32 v74, v76, v74, vcc_lo
	v_add_co_ci_u32_e64 v78, null, v13, v5, s0
	global_load_dwordx4 v[73:76], v[73:74], off
	v_add_nc_u32_e32 v78, 0x60, v78
	v_ashrrev_i64 v[79:80], 29, v[77:78]
	v_ashrrev_i64 v[77:78], 28, v[77:78]
	v_add_co_u32 v79, s0, s4, v79
	v_add_co_ci_u32_e64 v80, null, s5, v80, s0
	v_add_co_u32 v77, s0, s22, v77
	v_add_co_ci_u32_e64 v78, null, s23, v78, s0
	global_store_dwordx2 v[79:80], v[51:52], off
	s_waitcnt vmcnt(0)
	global_store_dwordx4 v[77:78], v[73:76], off
	s_or_b32 exec_lo, exec_lo, s1
	s_and_saveexec_b32 s1, s86
	s_cbranch_execz .LBB298_81
.LBB298_137:                            ;   in Loop: Header=BB298_21 Depth=1
	v_add_co_u32 v73, s0, s24, v33
	v_add_co_ci_u32_e64 v74, null, s25, v34, s0
	v_add_co_u32 v75, s0, s24, v21
	v_add_co_ci_u32_e64 v76, null, s25, v22, s0
	;; [unrolled: 2-line block ×4, first 2 shown]
	v_add_co_u32 v77, s0, 0, v66
	v_cndmask_b32_e32 v73, v75, v73, vcc_lo
	v_cndmask_b32_e32 v74, v76, v74, vcc_lo
	v_add_co_ci_u32_e64 v78, null, v13, v5, s0
	global_load_dwordx4 v[73:76], v[73:74], off
	v_add_nc_u32_e32 v78, 0x80, v78
	v_ashrrev_i64 v[79:80], 29, v[77:78]
	v_ashrrev_i64 v[77:78], 28, v[77:78]
	v_add_co_u32 v79, s0, s4, v79
	v_add_co_ci_u32_e64 v80, null, s5, v80, s0
	v_add_co_u32 v77, s0, s22, v77
	v_add_co_ci_u32_e64 v78, null, s23, v78, s0
	global_store_dwordx2 v[79:80], v[53:54], off
	s_waitcnt vmcnt(0)
	global_store_dwordx4 v[77:78], v[73:76], off
	s_or_b32 exec_lo, exec_lo, s1
	s_and_saveexec_b32 s1, s87
	s_cbranch_execz .LBB298_82
.LBB298_138:                            ;   in Loop: Header=BB298_21 Depth=1
	v_add_co_u32 v73, s0, s24, v33
	v_add_co_ci_u32_e64 v74, null, s25, v34, s0
	v_add_co_u32 v75, s0, s24, v19
	v_add_co_ci_u32_e64 v76, null, s25, v20, s0
	;; [unrolled: 2-line block ×4, first 2 shown]
	v_add_co_u32 v77, s0, 0, v66
	v_cndmask_b32_e32 v73, v75, v73, vcc_lo
	v_cndmask_b32_e32 v74, v76, v74, vcc_lo
	v_add_co_ci_u32_e64 v78, null, v13, v5, s0
	global_load_dwordx4 v[73:76], v[73:74], off
	v_add_nc_u32_e32 v78, 0xa0, v78
	v_ashrrev_i64 v[79:80], 29, v[77:78]
	v_ashrrev_i64 v[77:78], 28, v[77:78]
	v_add_co_u32 v79, s0, s4, v79
	v_add_co_ci_u32_e64 v80, null, s5, v80, s0
	v_add_co_u32 v77, s0, s22, v77
	v_add_co_ci_u32_e64 v78, null, s23, v78, s0
	global_store_dwordx2 v[79:80], v[55:56], off
	s_waitcnt vmcnt(0)
	global_store_dwordx4 v[77:78], v[73:76], off
	s_or_b32 exec_lo, exec_lo, s1
	s_and_saveexec_b32 s1, s88
	s_cbranch_execz .LBB298_83
.LBB298_139:                            ;   in Loop: Header=BB298_21 Depth=1
	v_add_co_u32 v73, s0, s24, v33
	v_add_co_ci_u32_e64 v74, null, s25, v34, s0
	v_add_co_u32 v75, s0, s24, v17
	v_add_co_ci_u32_e64 v76, null, s25, v18, s0
	;; [unrolled: 2-line block ×4, first 2 shown]
	v_add_co_u32 v77, s0, 0, v66
	v_cndmask_b32_e32 v73, v75, v73, vcc_lo
	v_cndmask_b32_e32 v74, v76, v74, vcc_lo
	v_add_co_ci_u32_e64 v78, null, v13, v5, s0
	global_load_dwordx4 v[73:76], v[73:74], off
	v_add_nc_u32_e32 v78, 0xc0, v78
	v_ashrrev_i64 v[79:80], 29, v[77:78]
	v_ashrrev_i64 v[77:78], 28, v[77:78]
	v_add_co_u32 v79, s0, s4, v79
	v_add_co_ci_u32_e64 v80, null, s5, v80, s0
	v_add_co_u32 v77, s0, s22, v77
	v_add_co_ci_u32_e64 v78, null, s23, v78, s0
	global_store_dwordx2 v[79:80], v[57:58], off
	s_waitcnt vmcnt(0)
	global_store_dwordx4 v[77:78], v[73:76], off
	s_or_b32 exec_lo, exec_lo, s1
	s_and_saveexec_b32 s1, s8
	s_cbranch_execz .LBB298_84
.LBB298_140:                            ;   in Loop: Header=BB298_21 Depth=1
	v_add_co_u32 v73, s0, s24, v33
	v_add_co_ci_u32_e64 v74, null, s25, v34, s0
	v_add_co_u32 v75, s0, s24, v15
	v_add_co_ci_u32_e64 v76, null, s25, v16, s0
	;; [unrolled: 2-line block ×4, first 2 shown]
	v_add_co_u32 v77, s0, 0, v66
	v_cndmask_b32_e32 v73, v75, v73, vcc_lo
	v_cndmask_b32_e32 v74, v76, v74, vcc_lo
	v_add_co_ci_u32_e64 v78, null, v13, v5, s0
	global_load_dwordx4 v[73:76], v[73:74], off
	v_add_nc_u32_e32 v78, 0xe0, v78
	v_ashrrev_i64 v[79:80], 29, v[77:78]
	v_ashrrev_i64 v[77:78], 28, v[77:78]
	v_add_co_u32 v79, s0, s4, v79
	v_add_co_ci_u32_e64 v80, null, s5, v80, s0
	v_add_co_u32 v77, s0, s22, v77
	v_add_co_ci_u32_e64 v78, null, s23, v78, s0
	global_store_dwordx2 v[79:80], v[61:62], off
	s_waitcnt vmcnt(0)
	global_store_dwordx4 v[77:78], v[73:76], off
	s_or_b32 exec_lo, exec_lo, s1
	s_and_saveexec_b32 s1, s10
	s_cbranch_execz .LBB298_85
.LBB298_141:                            ;   in Loop: Header=BB298_21 Depth=1
	v_add_co_u32 v73, s0, s24, v29
	v_add_co_ci_u32_e64 v74, null, s25, v30, s0
	v_add_co_u32 v75, s0, s24, v31
	v_add_co_ci_u32_e64 v76, null, s25, v32, s0
	v_add_co_u32 v73, s0, 0xe00, v73
	v_add_co_ci_u32_e64 v74, null, 0, v74, s0
	v_add_co_u32 v77, s0, 0, v64
	v_cndmask_b32_e32 v73, v73, v75, vcc_lo
	v_cndmask_b32_e32 v74, v74, v76, vcc_lo
	v_add_co_ci_u32_e64 v78, null, v13, v3, s0
	global_load_dwordx4 v[73:76], v[73:74], off
	v_ashrrev_i64 v[79:80], 29, v[77:78]
	v_ashrrev_i64 v[77:78], 28, v[77:78]
	v_add_co_u32 v79, s0, s4, v79
	v_add_co_ci_u32_e64 v80, null, s5, v80, s0
	v_add_co_u32 v77, s0, s22, v77
	v_add_co_ci_u32_e64 v78, null, s23, v78, s0
	global_store_dwordx2 v[79:80], v[59:60], off
	s_waitcnt vmcnt(0)
	global_store_dwordx4 v[77:78], v[73:76], off
	s_or_b32 exec_lo, exec_lo, s1
	s_and_saveexec_b32 s1, s11
	s_cbranch_execz .LBB298_86
.LBB298_142:                            ;   in Loop: Header=BB298_21 Depth=1
	v_add_co_u32 v59, s0, s24, v31
	v_add_co_ci_u32_e64 v60, null, s25, v32, s0
	v_add_co_u32 v73, s0, s24, v27
	v_add_co_ci_u32_e64 v74, null, s25, v28, s0
	;; [unrolled: 2-line block ×4, first 2 shown]
	v_cndmask_b32_e32 v59, v73, v59, vcc_lo
	v_cndmask_b32_e32 v60, v74, v60, vcc_lo
	global_load_dwordx4 v[73:76], v[59:60], off
	v_add_co_u32 v59, s0, 0, v64
	v_add_co_ci_u32_e64 v60, null, v13, v3, s0
	v_add_nc_u32_e32 v60, 32, v60
	v_ashrrev_i64 v[77:78], 29, v[59:60]
	v_ashrrev_i64 v[59:60], 28, v[59:60]
	v_add_co_u32 v77, s0, s4, v77
	v_add_co_ci_u32_e64 v78, null, s5, v78, s0
	v_add_co_u32 v59, s0, s22, v59
	v_add_co_ci_u32_e64 v60, null, s23, v60, s0
	global_store_dwordx2 v[77:78], v[47:48], off
	s_waitcnt vmcnt(0)
	global_store_dwordx4 v[59:60], v[73:76], off
	s_or_b32 exec_lo, exec_lo, s1
	s_and_saveexec_b32 s1, s12
	s_cbranch_execz .LBB298_87
.LBB298_143:                            ;   in Loop: Header=BB298_21 Depth=1
	v_add_co_u32 v47, s0, s24, v31
	v_add_co_ci_u32_e64 v48, null, s25, v32, s0
	v_add_co_u32 v59, s0, s24, v25
	v_add_co_ci_u32_e64 v60, null, s25, v26, s0
	;; [unrolled: 2-line block ×4, first 2 shown]
	v_cndmask_b32_e32 v47, v59, v47, vcc_lo
	v_cndmask_b32_e32 v48, v60, v48, vcc_lo
	global_load_dwordx4 v[73:76], v[47:48], off
	v_add_co_u32 v47, s0, 0, v64
	v_add_co_ci_u32_e64 v48, null, v13, v3, s0
	v_add_nc_u32_e32 v48, 64, v48
	v_ashrrev_i64 v[59:60], 29, v[47:48]
	v_ashrrev_i64 v[47:48], 28, v[47:48]
	v_add_co_u32 v59, s0, s4, v59
	v_add_co_ci_u32_e64 v60, null, s5, v60, s0
	v_add_co_u32 v47, s0, s22, v47
	v_add_co_ci_u32_e64 v48, null, s23, v48, s0
	global_store_dwordx2 v[59:60], v[49:50], off
	s_waitcnt vmcnt(0)
	global_store_dwordx4 v[47:48], v[73:76], off
	s_or_b32 exec_lo, exec_lo, s1
	s_and_saveexec_b32 s1, s13
	s_cbranch_execz .LBB298_88
.LBB298_144:                            ;   in Loop: Header=BB298_21 Depth=1
	v_add_co_u32 v47, s0, s24, v31
	v_add_co_ci_u32_e64 v48, null, s25, v32, s0
	v_add_co_u32 v49, s0, s24, v23
	v_add_co_ci_u32_e64 v50, null, s25, v24, s0
	;; [unrolled: 2-line block ×4, first 2 shown]
	v_add_co_u32 v59, s0, 0, v64
	v_cndmask_b32_e32 v47, v49, v47, vcc_lo
	v_cndmask_b32_e32 v48, v50, v48, vcc_lo
	v_add_co_ci_u32_e64 v60, null, v13, v3, s0
	global_load_dwordx4 v[47:50], v[47:48], off
	v_add_nc_u32_e32 v60, 0x60, v60
	v_ashrrev_i64 v[73:74], 29, v[59:60]
	v_ashrrev_i64 v[59:60], 28, v[59:60]
	v_add_co_u32 v73, s0, s4, v73
	v_add_co_ci_u32_e64 v74, null, s5, v74, s0
	v_add_co_u32 v59, s0, s22, v59
	v_add_co_ci_u32_e64 v60, null, s23, v60, s0
	global_store_dwordx2 v[73:74], v[51:52], off
	s_waitcnt vmcnt(0)
	global_store_dwordx4 v[59:60], v[47:50], off
	s_or_b32 exec_lo, exec_lo, s1
	s_and_saveexec_b32 s1, s14
	s_cbranch_execz .LBB298_89
.LBB298_145:                            ;   in Loop: Header=BB298_21 Depth=1
	v_add_co_u32 v47, s0, s24, v31
	v_add_co_ci_u32_e64 v48, null, s25, v32, s0
	v_add_co_u32 v49, s0, s24, v21
	v_add_co_ci_u32_e64 v50, null, s25, v22, s0
	;; [unrolled: 2-line block ×4, first 2 shown]
	v_add_co_u32 v51, s0, 0, v64
	v_cndmask_b32_e32 v47, v49, v47, vcc_lo
	v_cndmask_b32_e32 v48, v50, v48, vcc_lo
	v_add_co_ci_u32_e64 v52, null, v13, v3, s0
	global_load_dwordx4 v[47:50], v[47:48], off
	v_add_nc_u32_e32 v52, 0x80, v52
	v_ashrrev_i64 v[59:60], 29, v[51:52]
	v_ashrrev_i64 v[51:52], 28, v[51:52]
	v_add_co_u32 v59, s0, s4, v59
	v_add_co_ci_u32_e64 v60, null, s5, v60, s0
	v_add_co_u32 v51, s0, s22, v51
	v_add_co_ci_u32_e64 v52, null, s23, v52, s0
	global_store_dwordx2 v[59:60], v[53:54], off
	s_waitcnt vmcnt(0)
	global_store_dwordx4 v[51:52], v[47:50], off
	s_or_b32 exec_lo, exec_lo, s1
	s_and_saveexec_b32 s1, s15
	s_cbranch_execz .LBB298_90
.LBB298_146:                            ;   in Loop: Header=BB298_21 Depth=1
	v_add_co_u32 v47, s0, s24, v31
	v_add_co_ci_u32_e64 v48, null, s25, v32, s0
	v_add_co_u32 v49, s0, s24, v19
	v_add_co_ci_u32_e64 v50, null, s25, v20, s0
	;; [unrolled: 2-line block ×4, first 2 shown]
	v_add_co_u32 v51, s0, 0, v64
	v_cndmask_b32_e32 v47, v49, v47, vcc_lo
	v_cndmask_b32_e32 v48, v50, v48, vcc_lo
	v_add_co_ci_u32_e64 v52, null, v13, v3, s0
	global_load_dwordx4 v[47:50], v[47:48], off
	v_add_nc_u32_e32 v52, 0xa0, v52
	v_ashrrev_i64 v[53:54], 29, v[51:52]
	v_ashrrev_i64 v[51:52], 28, v[51:52]
	v_add_co_u32 v53, s0, s4, v53
	v_add_co_ci_u32_e64 v54, null, s5, v54, s0
	v_add_co_u32 v51, s0, s22, v51
	v_add_co_ci_u32_e64 v52, null, s23, v52, s0
	global_store_dwordx2 v[53:54], v[55:56], off
	s_waitcnt vmcnt(0)
	global_store_dwordx4 v[51:52], v[47:50], off
	s_or_b32 exec_lo, exec_lo, s1
	s_and_saveexec_b32 s1, s16
	s_cbranch_execz .LBB298_91
.LBB298_147:                            ;   in Loop: Header=BB298_21 Depth=1
	v_add_co_u32 v47, s0, s24, v31
	v_add_co_ci_u32_e64 v48, null, s25, v32, s0
	v_add_co_u32 v49, s0, s24, v17
	v_add_co_ci_u32_e64 v50, null, s25, v18, s0
	;; [unrolled: 2-line block ×4, first 2 shown]
	v_add_co_u32 v51, s0, 0, v64
	v_cndmask_b32_e32 v47, v49, v47, vcc_lo
	v_cndmask_b32_e32 v48, v50, v48, vcc_lo
	v_add_co_ci_u32_e64 v52, null, v13, v3, s0
	global_load_dwordx4 v[47:50], v[47:48], off
	v_add_nc_u32_e32 v52, 0xc0, v52
	v_ashrrev_i64 v[53:54], 29, v[51:52]
	v_ashrrev_i64 v[51:52], 28, v[51:52]
	v_add_co_u32 v53, s0, s4, v53
	v_add_co_ci_u32_e64 v54, null, s5, v54, s0
	v_add_co_u32 v51, s0, s22, v51
	v_add_co_ci_u32_e64 v52, null, s23, v52, s0
	global_store_dwordx2 v[53:54], v[57:58], off
	s_waitcnt vmcnt(0)
	global_store_dwordx4 v[51:52], v[47:50], off
	s_or_b32 exec_lo, exec_lo, s1
	s_and_saveexec_b32 s1, s9
	s_cbranch_execz .LBB298_20
.LBB298_148:                            ;   in Loop: Header=BB298_21 Depth=1
	v_add_co_u32 v47, s0, s24, v31
	v_add_co_ci_u32_e64 v48, null, s25, v32, s0
	v_add_co_u32 v49, s0, s24, v15
	v_add_co_ci_u32_e64 v50, null, s25, v16, s0
	;; [unrolled: 2-line block ×4, first 2 shown]
	v_add_co_u32 v51, s0, 0, v64
	v_cndmask_b32_e32 v47, v49, v47, vcc_lo
	v_cndmask_b32_e32 v48, v50, v48, vcc_lo
	v_add_co_ci_u32_e64 v52, null, v13, v3, s0
	global_load_dwordx4 v[47:50], v[47:48], off
	v_add_nc_u32_e32 v52, 0xe0, v52
	v_ashrrev_i64 v[53:54], 29, v[51:52]
	v_ashrrev_i64 v[51:52], 28, v[51:52]
	v_add_co_u32 v53, s0, s4, v53
	v_add_co_ci_u32_e64 v54, null, s5, v54, s0
	v_add_co_u32 v51, s0, s22, v51
	v_add_co_ci_u32_e64 v52, null, s23, v52, s0
	global_store_dwordx2 v[53:54], v[61:62], off
	s_waitcnt vmcnt(0)
	global_store_dwordx4 v[51:52], v[47:50], off
	s_branch .LBB298_20
.LBB298_149:
	s_endpgm
	.section	.rodata,"a",@progbits
	.p2align	6, 0x0
	.amdhsa_kernel _ZN9rocsparseL35bsr2csr_block_per_row_33_256_kernelILj1024ELj256ELj32E21rocsparse_complex_numIdEilEEv20rocsparse_direction_T4_S4_21rocsparse_index_base_PKT2_PKT3_PKS4_S4_S5_PS6_PS9_PS4_
		.amdhsa_group_segment_fixed_size 0
		.amdhsa_private_segment_fixed_size 0
		.amdhsa_kernarg_size 96
		.amdhsa_user_sgpr_count 6
		.amdhsa_user_sgpr_private_segment_buffer 1
		.amdhsa_user_sgpr_dispatch_ptr 0
		.amdhsa_user_sgpr_queue_ptr 0
		.amdhsa_user_sgpr_kernarg_segment_ptr 1
		.amdhsa_user_sgpr_dispatch_id 0
		.amdhsa_user_sgpr_flat_scratch_init 0
		.amdhsa_user_sgpr_private_segment_size 0
		.amdhsa_wavefront_size32 1
		.amdhsa_uses_dynamic_stack 0
		.amdhsa_system_sgpr_private_segment_wavefront_offset 0
		.amdhsa_system_sgpr_workgroup_id_x 1
		.amdhsa_system_sgpr_workgroup_id_y 0
		.amdhsa_system_sgpr_workgroup_id_z 0
		.amdhsa_system_sgpr_workgroup_info 0
		.amdhsa_system_vgpr_workitem_id 0
		.amdhsa_next_free_vgpr 81
		.amdhsa_next_free_sgpr 90
		.amdhsa_reserve_vcc 1
		.amdhsa_reserve_flat_scratch 0
		.amdhsa_float_round_mode_32 0
		.amdhsa_float_round_mode_16_64 0
		.amdhsa_float_denorm_mode_32 3
		.amdhsa_float_denorm_mode_16_64 3
		.amdhsa_dx10_clamp 1
		.amdhsa_ieee_mode 1
		.amdhsa_fp16_overflow 0
		.amdhsa_workgroup_processor_mode 1
		.amdhsa_memory_ordered 1
		.amdhsa_forward_progress 1
		.amdhsa_shared_vgpr_count 0
		.amdhsa_exception_fp_ieee_invalid_op 0
		.amdhsa_exception_fp_denorm_src 0
		.amdhsa_exception_fp_ieee_div_zero 0
		.amdhsa_exception_fp_ieee_overflow 0
		.amdhsa_exception_fp_ieee_underflow 0
		.amdhsa_exception_fp_ieee_inexact 0
		.amdhsa_exception_int_div_zero 0
	.end_amdhsa_kernel
	.section	.text._ZN9rocsparseL35bsr2csr_block_per_row_33_256_kernelILj1024ELj256ELj32E21rocsparse_complex_numIdEilEEv20rocsparse_direction_T4_S4_21rocsparse_index_base_PKT2_PKT3_PKS4_S4_S5_PS6_PS9_PS4_,"axG",@progbits,_ZN9rocsparseL35bsr2csr_block_per_row_33_256_kernelILj1024ELj256ELj32E21rocsparse_complex_numIdEilEEv20rocsparse_direction_T4_S4_21rocsparse_index_base_PKT2_PKT3_PKS4_S4_S5_PS6_PS9_PS4_,comdat
.Lfunc_end298:
	.size	_ZN9rocsparseL35bsr2csr_block_per_row_33_256_kernelILj1024ELj256ELj32E21rocsparse_complex_numIdEilEEv20rocsparse_direction_T4_S4_21rocsparse_index_base_PKT2_PKT3_PKS4_S4_S5_PS6_PS9_PS4_, .Lfunc_end298-_ZN9rocsparseL35bsr2csr_block_per_row_33_256_kernelILj1024ELj256ELj32E21rocsparse_complex_numIdEilEEv20rocsparse_direction_T4_S4_21rocsparse_index_base_PKT2_PKT3_PKS4_S4_S5_PS6_PS9_PS4_
                                        ; -- End function
	.set _ZN9rocsparseL35bsr2csr_block_per_row_33_256_kernelILj1024ELj256ELj32E21rocsparse_complex_numIdEilEEv20rocsparse_direction_T4_S4_21rocsparse_index_base_PKT2_PKT3_PKS4_S4_S5_PS6_PS9_PS4_.num_vgpr, 81
	.set _ZN9rocsparseL35bsr2csr_block_per_row_33_256_kernelILj1024ELj256ELj32E21rocsparse_complex_numIdEilEEv20rocsparse_direction_T4_S4_21rocsparse_index_base_PKT2_PKT3_PKS4_S4_S5_PS6_PS9_PS4_.num_agpr, 0
	.set _ZN9rocsparseL35bsr2csr_block_per_row_33_256_kernelILj1024ELj256ELj32E21rocsparse_complex_numIdEilEEv20rocsparse_direction_T4_S4_21rocsparse_index_base_PKT2_PKT3_PKS4_S4_S5_PS6_PS9_PS4_.numbered_sgpr, 90
	.set _ZN9rocsparseL35bsr2csr_block_per_row_33_256_kernelILj1024ELj256ELj32E21rocsparse_complex_numIdEilEEv20rocsparse_direction_T4_S4_21rocsparse_index_base_PKT2_PKT3_PKS4_S4_S5_PS6_PS9_PS4_.num_named_barrier, 0
	.set _ZN9rocsparseL35bsr2csr_block_per_row_33_256_kernelILj1024ELj256ELj32E21rocsparse_complex_numIdEilEEv20rocsparse_direction_T4_S4_21rocsparse_index_base_PKT2_PKT3_PKS4_S4_S5_PS6_PS9_PS4_.private_seg_size, 0
	.set _ZN9rocsparseL35bsr2csr_block_per_row_33_256_kernelILj1024ELj256ELj32E21rocsparse_complex_numIdEilEEv20rocsparse_direction_T4_S4_21rocsparse_index_base_PKT2_PKT3_PKS4_S4_S5_PS6_PS9_PS4_.uses_vcc, 1
	.set _ZN9rocsparseL35bsr2csr_block_per_row_33_256_kernelILj1024ELj256ELj32E21rocsparse_complex_numIdEilEEv20rocsparse_direction_T4_S4_21rocsparse_index_base_PKT2_PKT3_PKS4_S4_S5_PS6_PS9_PS4_.uses_flat_scratch, 0
	.set _ZN9rocsparseL35bsr2csr_block_per_row_33_256_kernelILj1024ELj256ELj32E21rocsparse_complex_numIdEilEEv20rocsparse_direction_T4_S4_21rocsparse_index_base_PKT2_PKT3_PKS4_S4_S5_PS6_PS9_PS4_.has_dyn_sized_stack, 0
	.set _ZN9rocsparseL35bsr2csr_block_per_row_33_256_kernelILj1024ELj256ELj32E21rocsparse_complex_numIdEilEEv20rocsparse_direction_T4_S4_21rocsparse_index_base_PKT2_PKT3_PKS4_S4_S5_PS6_PS9_PS4_.has_recursion, 0
	.set _ZN9rocsparseL35bsr2csr_block_per_row_33_256_kernelILj1024ELj256ELj32E21rocsparse_complex_numIdEilEEv20rocsparse_direction_T4_S4_21rocsparse_index_base_PKT2_PKT3_PKS4_S4_S5_PS6_PS9_PS4_.has_indirect_call, 0
	.section	.AMDGPU.csdata,"",@progbits
; Kernel info:
; codeLenInByte = 15012
; TotalNumSgprs: 92
; NumVgprs: 81
; ScratchSize: 0
; MemoryBound: 0
; FloatMode: 240
; IeeeMode: 1
; LDSByteSize: 0 bytes/workgroup (compile time only)
; SGPRBlocks: 0
; VGPRBlocks: 10
; NumSGPRsForWavesPerEU: 92
; NumVGPRsForWavesPerEU: 81
; Occupancy: 10
; WaveLimiterHint : 0
; COMPUTE_PGM_RSRC2:SCRATCH_EN: 0
; COMPUTE_PGM_RSRC2:USER_SGPR: 6
; COMPUTE_PGM_RSRC2:TRAP_HANDLER: 0
; COMPUTE_PGM_RSRC2:TGID_X_EN: 1
; COMPUTE_PGM_RSRC2:TGID_Y_EN: 0
; COMPUTE_PGM_RSRC2:TGID_Z_EN: 0
; COMPUTE_PGM_RSRC2:TIDIG_COMP_CNT: 0
	.section	.text._ZN9rocsparseL35bsr2csr_block_dim_equals_one_kernelILj1024E21rocsparse_complex_numIdEllEEvT2_S3_21rocsparse_index_base_PKT0_PKT1_PKS3_S4_PS5_PS8_PS3_,"axG",@progbits,_ZN9rocsparseL35bsr2csr_block_dim_equals_one_kernelILj1024E21rocsparse_complex_numIdEllEEvT2_S3_21rocsparse_index_base_PKT0_PKT1_PKS3_S4_PS5_PS8_PS3_,comdat
	.globl	_ZN9rocsparseL35bsr2csr_block_dim_equals_one_kernelILj1024E21rocsparse_complex_numIdEllEEvT2_S3_21rocsparse_index_base_PKT0_PKT1_PKS3_S4_PS5_PS8_PS3_ ; -- Begin function _ZN9rocsparseL35bsr2csr_block_dim_equals_one_kernelILj1024E21rocsparse_complex_numIdEllEEvT2_S3_21rocsparse_index_base_PKT0_PKT1_PKS3_S4_PS5_PS8_PS3_
	.p2align	8
	.type	_ZN9rocsparseL35bsr2csr_block_dim_equals_one_kernelILj1024E21rocsparse_complex_numIdEllEEvT2_S3_21rocsparse_index_base_PKT0_PKT1_PKS3_S4_PS5_PS8_PS3_,@function
_ZN9rocsparseL35bsr2csr_block_dim_equals_one_kernelILj1024E21rocsparse_complex_numIdEllEEvT2_S3_21rocsparse_index_base_PKT0_PKT1_PKS3_S4_PS5_PS8_PS3_: ; @_ZN9rocsparseL35bsr2csr_block_dim_equals_one_kernelILj1024E21rocsparse_complex_numIdEllEEvT2_S3_21rocsparse_index_base_PKT0_PKT1_PKS3_S4_PS5_PS8_PS3_
; %bb.0:
	s_clause 0x6
	s_load_dwordx2 s[0:1], s[4:5], 0x0
	s_load_dword s18, s[4:5], 0x10
	s_load_dwordx4 s[8:11], s[4:5], 0x18
	s_load_dwordx2 s[2:3], s[4:5], 0x28
	s_load_dwordx2 s[12:13], s[4:5], 0x48
	s_load_dword s19, s[4:5], 0x30
	s_load_dwordx2 s[14:15], s[4:5], 0x38
	v_lshl_or_b32 v0, s6, 10, v0
	v_mov_b32_e32 v1, 0
	s_mov_b32 s20, exec_lo
	s_waitcnt lgkmcnt(0)
	v_cmpx_gt_i64_e64 s[0:1], v[0:1]
	s_cbranch_execz .LBB299_6
; %bb.1:
	s_load_dwordx2 s[6:7], s[4:5], 0x40
	s_mov_b32 s21, exec_lo
                                        ; implicit-def: $sgpr16_sgpr17
	v_cmpx_ne_u32_e32 0, v0
	s_xor_b32 s21, exec_lo, s21
; %bb.2:
	s_sub_u32 s16, s19, s18
	s_subb_u32 s17, 0, 0
; %bb.3:
	s_or_saveexec_b32 s21, s21
	v_mov_b32_e32 v2, s16
	v_mov_b32_e32 v3, s17
	s_xor_b32 exec_lo, exec_lo, s21
	s_cbranch_execz .LBB299_5
; %bb.4:
	s_load_dwordx2 s[16:17], s[10:11], 0x0
	s_sub_u32 s22, s19, s18
	s_subb_u32 s23, 0, 0
	v_mov_b32_e32 v2, s22
	v_mov_b32_e32 v6, 0
	;; [unrolled: 1-line block ×3, first 2 shown]
	s_waitcnt lgkmcnt(0)
	s_add_u32 s16, s22, s16
	s_addc_u32 s17, s23, s17
	v_mov_b32_e32 v4, s16
	v_mov_b32_e32 v5, s17
	global_store_dwordx2 v6, v[4:5], s[6:7]
.LBB299_5:
	s_or_b32 exec_lo, exec_lo, s21
	v_lshlrev_b64 v[4:5], 3, v[0:1]
	v_add_co_u32 v6, vcc_lo, s10, v4
	v_add_co_ci_u32_e64 v7, null, s11, v5, vcc_lo
	global_load_dwordx2 v[6:7], v[6:7], off offset:8
	s_waitcnt vmcnt(0)
	v_add_co_u32 v2, vcc_lo, v2, v6
	v_add_co_ci_u32_e64 v3, null, v3, v7, vcc_lo
	s_waitcnt lgkmcnt(0)
	v_add_co_u32 v4, vcc_lo, s6, v4
	v_add_co_ci_u32_e64 v5, null, s7, v5, vcc_lo
	global_store_dwordx2 v[4:5], v[2:3], off offset:8
.LBB299_6:
	s_or_b32 exec_lo, exec_lo, s20
	s_lshl_b64 s[0:1], s[0:1], 3
	s_add_u32 s0, s10, s0
	s_addc_u32 s1, s11, s1
	s_clause 0x1
	s_load_dwordx2 s[0:1], s[0:1], 0x0
	s_load_dwordx2 s[6:7], s[10:11], 0x0
	s_waitcnt lgkmcnt(0)
	s_sub_u32 s6, s0, s6
	s_subb_u32 s7, s1, s7
	s_mov_b32 s0, exec_lo
	v_cmpx_gt_i64_e64 s[6:7], v[0:1]
	s_cbranch_execz .LBB299_9
; %bb.7:
	s_load_dword s0, s[4:5], 0x50
	v_lshlrev_b64 v[2:3], 4, v[0:1]
	v_lshlrev_b64 v[4:5], 3, v[0:1]
	s_sub_u32 s18, s19, s18
	s_mov_b32 s5, 0
	s_subb_u32 s19, 0, 0
	s_waitcnt lgkmcnt(0)
	s_lshl_b32 s4, s0, 10
	s_lshl_b64 s[10:11], s[4:5], 4
	s_lshl_b64 s[16:17], s[4:5], 3
	s_inst_prefetch 0x1
	.p2align	6
.LBB299_8:                              ; =>This Inner Loop Header: Depth=1
	v_add_co_u32 v6, vcc_lo, s2, v4
	v_add_co_ci_u32_e64 v7, null, s3, v5, vcc_lo
	v_add_co_u32 v8, vcc_lo, s8, v2
	v_add_co_ci_u32_e64 v9, null, s9, v3, vcc_lo
	global_load_dwordx2 v[10:11], v[6:7], off
	global_load_dwordx4 v[6:9], v[8:9], off
	v_add_co_u32 v12, vcc_lo, s12, v4
	v_add_co_ci_u32_e64 v13, null, s13, v5, vcc_lo
	v_add_co_u32 v14, vcc_lo, s14, v2
	v_add_co_ci_u32_e64 v15, null, s15, v3, vcc_lo
	;; [unrolled: 2-line block ×4, first 2 shown]
	v_cmp_le_i64_e64 s0, s[6:7], v[0:1]
	v_add_co_u32 v4, vcc_lo, v4, s16
	v_add_co_ci_u32_e64 v5, null, s17, v5, vcc_lo
	s_or_b32 s5, s0, s5
	s_waitcnt vmcnt(1)
	v_add_co_u32 v10, s1, s18, v10
	v_add_co_ci_u32_e64 v11, null, s19, v11, s1
	s_waitcnt vmcnt(0)
	global_store_dwordx4 v[14:15], v[6:9], off
	global_store_dwordx2 v[12:13], v[10:11], off
	s_andn2_b32 exec_lo, exec_lo, s5
	s_cbranch_execnz .LBB299_8
.LBB299_9:
	s_inst_prefetch 0x2
	s_endpgm
	.section	.rodata,"a",@progbits
	.p2align	6, 0x0
	.amdhsa_kernel _ZN9rocsparseL35bsr2csr_block_dim_equals_one_kernelILj1024E21rocsparse_complex_numIdEllEEvT2_S3_21rocsparse_index_base_PKT0_PKT1_PKS3_S4_PS5_PS8_PS3_
		.amdhsa_group_segment_fixed_size 0
		.amdhsa_private_segment_fixed_size 0
		.amdhsa_kernarg_size 336
		.amdhsa_user_sgpr_count 6
		.amdhsa_user_sgpr_private_segment_buffer 1
		.amdhsa_user_sgpr_dispatch_ptr 0
		.amdhsa_user_sgpr_queue_ptr 0
		.amdhsa_user_sgpr_kernarg_segment_ptr 1
		.amdhsa_user_sgpr_dispatch_id 0
		.amdhsa_user_sgpr_flat_scratch_init 0
		.amdhsa_user_sgpr_private_segment_size 0
		.amdhsa_wavefront_size32 1
		.amdhsa_uses_dynamic_stack 0
		.amdhsa_system_sgpr_private_segment_wavefront_offset 0
		.amdhsa_system_sgpr_workgroup_id_x 1
		.amdhsa_system_sgpr_workgroup_id_y 0
		.amdhsa_system_sgpr_workgroup_id_z 0
		.amdhsa_system_sgpr_workgroup_info 0
		.amdhsa_system_vgpr_workitem_id 0
		.amdhsa_next_free_vgpr 16
		.amdhsa_next_free_sgpr 24
		.amdhsa_reserve_vcc 1
		.amdhsa_reserve_flat_scratch 0
		.amdhsa_float_round_mode_32 0
		.amdhsa_float_round_mode_16_64 0
		.amdhsa_float_denorm_mode_32 3
		.amdhsa_float_denorm_mode_16_64 3
		.amdhsa_dx10_clamp 1
		.amdhsa_ieee_mode 1
		.amdhsa_fp16_overflow 0
		.amdhsa_workgroup_processor_mode 1
		.amdhsa_memory_ordered 1
		.amdhsa_forward_progress 1
		.amdhsa_shared_vgpr_count 0
		.amdhsa_exception_fp_ieee_invalid_op 0
		.amdhsa_exception_fp_denorm_src 0
		.amdhsa_exception_fp_ieee_div_zero 0
		.amdhsa_exception_fp_ieee_overflow 0
		.amdhsa_exception_fp_ieee_underflow 0
		.amdhsa_exception_fp_ieee_inexact 0
		.amdhsa_exception_int_div_zero 0
	.end_amdhsa_kernel
	.section	.text._ZN9rocsparseL35bsr2csr_block_dim_equals_one_kernelILj1024E21rocsparse_complex_numIdEllEEvT2_S3_21rocsparse_index_base_PKT0_PKT1_PKS3_S4_PS5_PS8_PS3_,"axG",@progbits,_ZN9rocsparseL35bsr2csr_block_dim_equals_one_kernelILj1024E21rocsparse_complex_numIdEllEEvT2_S3_21rocsparse_index_base_PKT0_PKT1_PKS3_S4_PS5_PS8_PS3_,comdat
.Lfunc_end299:
	.size	_ZN9rocsparseL35bsr2csr_block_dim_equals_one_kernelILj1024E21rocsparse_complex_numIdEllEEvT2_S3_21rocsparse_index_base_PKT0_PKT1_PKS3_S4_PS5_PS8_PS3_, .Lfunc_end299-_ZN9rocsparseL35bsr2csr_block_dim_equals_one_kernelILj1024E21rocsparse_complex_numIdEllEEvT2_S3_21rocsparse_index_base_PKT0_PKT1_PKS3_S4_PS5_PS8_PS3_
                                        ; -- End function
	.set _ZN9rocsparseL35bsr2csr_block_dim_equals_one_kernelILj1024E21rocsparse_complex_numIdEllEEvT2_S3_21rocsparse_index_base_PKT0_PKT1_PKS3_S4_PS5_PS8_PS3_.num_vgpr, 16
	.set _ZN9rocsparseL35bsr2csr_block_dim_equals_one_kernelILj1024E21rocsparse_complex_numIdEllEEvT2_S3_21rocsparse_index_base_PKT0_PKT1_PKS3_S4_PS5_PS8_PS3_.num_agpr, 0
	.set _ZN9rocsparseL35bsr2csr_block_dim_equals_one_kernelILj1024E21rocsparse_complex_numIdEllEEvT2_S3_21rocsparse_index_base_PKT0_PKT1_PKS3_S4_PS5_PS8_PS3_.numbered_sgpr, 24
	.set _ZN9rocsparseL35bsr2csr_block_dim_equals_one_kernelILj1024E21rocsparse_complex_numIdEllEEvT2_S3_21rocsparse_index_base_PKT0_PKT1_PKS3_S4_PS5_PS8_PS3_.num_named_barrier, 0
	.set _ZN9rocsparseL35bsr2csr_block_dim_equals_one_kernelILj1024E21rocsparse_complex_numIdEllEEvT2_S3_21rocsparse_index_base_PKT0_PKT1_PKS3_S4_PS5_PS8_PS3_.private_seg_size, 0
	.set _ZN9rocsparseL35bsr2csr_block_dim_equals_one_kernelILj1024E21rocsparse_complex_numIdEllEEvT2_S3_21rocsparse_index_base_PKT0_PKT1_PKS3_S4_PS5_PS8_PS3_.uses_vcc, 1
	.set _ZN9rocsparseL35bsr2csr_block_dim_equals_one_kernelILj1024E21rocsparse_complex_numIdEllEEvT2_S3_21rocsparse_index_base_PKT0_PKT1_PKS3_S4_PS5_PS8_PS3_.uses_flat_scratch, 0
	.set _ZN9rocsparseL35bsr2csr_block_dim_equals_one_kernelILj1024E21rocsparse_complex_numIdEllEEvT2_S3_21rocsparse_index_base_PKT0_PKT1_PKS3_S4_PS5_PS8_PS3_.has_dyn_sized_stack, 0
	.set _ZN9rocsparseL35bsr2csr_block_dim_equals_one_kernelILj1024E21rocsparse_complex_numIdEllEEvT2_S3_21rocsparse_index_base_PKT0_PKT1_PKS3_S4_PS5_PS8_PS3_.has_recursion, 0
	.set _ZN9rocsparseL35bsr2csr_block_dim_equals_one_kernelILj1024E21rocsparse_complex_numIdEllEEvT2_S3_21rocsparse_index_base_PKT0_PKT1_PKS3_S4_PS5_PS8_PS3_.has_indirect_call, 0
	.section	.AMDGPU.csdata,"",@progbits
; Kernel info:
; codeLenInByte = 644
; TotalNumSgprs: 26
; NumVgprs: 16
; ScratchSize: 0
; MemoryBound: 0
; FloatMode: 240
; IeeeMode: 1
; LDSByteSize: 0 bytes/workgroup (compile time only)
; SGPRBlocks: 0
; VGPRBlocks: 1
; NumSGPRsForWavesPerEU: 26
; NumVGPRsForWavesPerEU: 16
; Occupancy: 16
; WaveLimiterHint : 0
; COMPUTE_PGM_RSRC2:SCRATCH_EN: 0
; COMPUTE_PGM_RSRC2:USER_SGPR: 6
; COMPUTE_PGM_RSRC2:TRAP_HANDLER: 0
; COMPUTE_PGM_RSRC2:TGID_X_EN: 1
; COMPUTE_PGM_RSRC2:TGID_Y_EN: 0
; COMPUTE_PGM_RSRC2:TGID_Z_EN: 0
; COMPUTE_PGM_RSRC2:TIDIG_COMP_CNT: 0
	.section	.text._ZN9rocsparseL32bsr2csr_block_per_row_2_7_kernelILj256ELj2E21rocsparse_complex_numIdEllEEv20rocsparse_direction_T3_S4_21rocsparse_index_base_PKT1_PKT2_PKS4_S4_S5_PS6_PS9_PS4_,"axG",@progbits,_ZN9rocsparseL32bsr2csr_block_per_row_2_7_kernelILj256ELj2E21rocsparse_complex_numIdEllEEv20rocsparse_direction_T3_S4_21rocsparse_index_base_PKT1_PKT2_PKS4_S4_S5_PS6_PS9_PS4_,comdat
	.globl	_ZN9rocsparseL32bsr2csr_block_per_row_2_7_kernelILj256ELj2E21rocsparse_complex_numIdEllEEv20rocsparse_direction_T3_S4_21rocsparse_index_base_PKT1_PKT2_PKS4_S4_S5_PS6_PS9_PS4_ ; -- Begin function _ZN9rocsparseL32bsr2csr_block_per_row_2_7_kernelILj256ELj2E21rocsparse_complex_numIdEllEEv20rocsparse_direction_T3_S4_21rocsparse_index_base_PKT1_PKT2_PKS4_S4_S5_PS6_PS9_PS4_
	.p2align	8
	.type	_ZN9rocsparseL32bsr2csr_block_per_row_2_7_kernelILj256ELj2E21rocsparse_complex_numIdEllEEv20rocsparse_direction_T3_S4_21rocsparse_index_base_PKT1_PKT2_PKS4_S4_S5_PS6_PS9_PS4_,@function
_ZN9rocsparseL32bsr2csr_block_per_row_2_7_kernelILj256ELj2E21rocsparse_complex_numIdEllEEv20rocsparse_direction_T3_S4_21rocsparse_index_base_PKT1_PKT2_PKS4_S4_S5_PS6_PS9_PS4_: ; @_ZN9rocsparseL32bsr2csr_block_per_row_2_7_kernelILj256ELj2E21rocsparse_complex_numIdEllEEv20rocsparse_direction_T3_S4_21rocsparse_index_base_PKT1_PKT2_PKS4_S4_S5_PS6_PS9_PS4_
; %bb.0:
	s_load_dwordx2 s[0:1], s[4:5], 0x28
	s_mov_b32 s9, 0
	s_clause 0x1
	s_load_dword s10, s[4:5], 0x40
	s_load_dwordx2 s[12:13], s[4:5], 0x50
	s_mov_b32 s7, s9
	v_or_b32_e32 v1, s6, v0
	s_lshl_b64 s[2:3], s[6:7], 3
	s_mov_b32 s8, exec_lo
	s_waitcnt lgkmcnt(0)
	s_add_u32 s0, s0, s2
	s_addc_u32 s1, s1, s3
	s_load_dwordx4 s[0:3], s[0:1], 0x0
	v_cmpx_eq_u32_e32 0, v1
	s_cbranch_execz .LBB300_2
; %bb.1:
	s_mov_b32 s11, s9
	v_mov_b32_e32 v1, s10
	v_mov_b32_e32 v3, 0
	;; [unrolled: 1-line block ×3, first 2 shown]
	global_store_dwordx2 v3, v[1:2], s[12:13]
.LBB300_2:
	s_or_b32 exec_lo, exec_lo, s8
	s_load_dword s8, s[4:5], 0x18
	v_lshrrev_b32_e32 v2, 1, v0
	v_and_b32_e32 v9, 1, v0
	v_lshlrev_b32_e32 v7, 3, v9
	s_waitcnt lgkmcnt(0)
	s_sub_u32 s14, s0, s8
	s_subb_u32 s15, s1, 0
	s_sub_u32 s2, s2, s8
	s_subb_u32 s3, s3, 0
	s_lshl_b64 s[16:17], s[14:15], 2
	s_sub_u32 s18, s2, s14
	s_subb_u32 s19, s3, s15
	v_add_co_u32 v0, s11, s14, v2
	v_add_co_ci_u32_e64 v1, null, s15, 0, s11
	s_lshl_b64 s[14:15], s[18:19], 1
	s_lshr_b64 s[18:19], s[18:19], 31
	v_mul_lo_u32 v3, s14, v9
	v_mul_lo_u32 v4, s18, v9
	s_add_u32 s11, s14, s10
	s_addc_u32 s14, s15, 0
	s_add_u32 s11, s11, s16
	s_addc_u32 s14, s14, s17
	s_lshl_b64 s[6:7], s[6:7], 4
	v_add_co_u32 v5, vcc_lo, s11, v3
	v_add_co_ci_u32_e64 v6, null, s14, v4, vcc_lo
	s_add_u32 s6, s12, s6
	s_addc_u32 s7, s13, s7
	global_store_dwordx2 v7, v[5:6], s[6:7] offset:8
	s_mov_b32 s6, exec_lo
	v_cmpx_gt_i64_e64 s[2:3], v[0:1]
	s_cbranch_execz .LBB300_5
; %bb.3:
	s_clause 0x4
	s_load_dwordx2 s[6:7], s[4:5], 0x30
	s_load_dwordx2 s[12:13], s[4:5], 0x48
	s_load_dword s11, s[4:5], 0x0
	s_load_dwordx2 s[14:15], s[4:5], 0x20
	s_load_dwordx2 s[4:5], s[4:5], 0x58
	v_lshlrev_b32_e32 v2, 1, v2
	v_lshlrev_b64 v[5:6], 3, v[0:1]
	v_lshlrev_b64 v[10:11], 6, v[0:1]
	v_lshlrev_b32_e32 v8, 4, v9
	v_lshlrev_b32_e32 v9, 5, v9
	s_waitcnt lgkmcnt(0)
	s_cmp_eq_u32 s11, 0
	s_cselect_b32 vcc_lo, -1, 0
	s_lshl_b64 s[0:1], s[0:1], 2
	v_add_co_u32 v3, s0, v3, s0
	v_add_co_ci_u32_e64 v4, null, s1, v4, s0
	v_add_co_u32 v2, s0, v3, v2
	v_add_co_ci_u32_e64 v3, null, 0, v4, s0
	s_lshl_b64 s[0:1], s[8:9], 2
	v_sub_co_u32 v12, s0, v2, s0
	v_subrev_co_ci_u32_e64 v13, null, s1, v3, s0
	v_add_co_u32 v2, s0, s6, v5
	v_add_co_ci_u32_e64 v3, null, s7, v6, s0
	v_lshlrev_b64 v[4:5], 3, v[12:13]
	v_lshlrev_b64 v[6:7], 4, v[12:13]
	v_add_co_u32 v10, s0, s14, v10
	v_add_co_ci_u32_e64 v11, null, s15, v11, s0
	v_add_co_u32 v4, s0, s4, v4
	v_add_co_ci_u32_e64 v5, null, s5, v5, s0
	v_add_co_u32 v6, s0, s12, v6
	v_add_co_ci_u32_e64 v7, null, s13, v7, s0
	v_add_co_u32 v4, s0, v4, 8
	v_add_co_ci_u32_e64 v5, null, 0, v5, s0
	v_add_co_u32 v6, s0, v6, 16
	v_add_co_ci_u32_e64 v7, null, 0, v7, s0
	s_mov_b32 s4, 0
.LBB300_4:                              ; =>This Inner Loop Header: Depth=1
	v_add_co_u32 v14, s0, v10, v8
	v_add_co_ci_u32_e64 v15, null, 0, v11, s0
	v_add_co_u32 v16, s0, v10, v9
	v_add_co_ci_u32_e64 v17, null, 0, v11, s0
	global_load_dwordx2 v[20:21], v[2:3], off
	v_cndmask_b32_e32 v12, v14, v16, vcc_lo
	v_add_co_u32 v16, s0, v16, 16
	v_cndmask_b32_e32 v13, v15, v17, vcc_lo
	v_add_co_ci_u32_e64 v17, null, 0, v17, s0
	v_add_co_u32 v18, s0, v14, 32
	v_add_co_ci_u32_e64 v19, null, 0, v15, s0
	global_load_dwordx4 v[12:15], v[12:13], off
	v_cndmask_b32_e32 v16, v18, v16, vcc_lo
	v_add_co_u32 v0, s0, 0x80, v0
	v_cndmask_b32_e32 v17, v19, v17, vcc_lo
	v_add_co_ci_u32_e64 v1, null, 0, v1, s0
	v_add_co_u32 v2, s0, 0x400, v2
	global_load_dwordx4 v[16:19], v[16:17], off
	v_add_co_ci_u32_e64 v3, null, 0, v3, s0
	v_add_co_u32 v10, s0, 0x2000, v10
	v_add_co_ci_u32_e64 v11, null, 0, v11, s0
	v_cmp_le_i64_e64 s0, s[2:3], v[0:1]
	s_or_b32 s4, s0, s4
	s_waitcnt vmcnt(2)
	v_sub_co_u32 v20, s1, v20, s8
	v_subrev_co_ci_u32_e64 v21, null, 0, v21, s1
	v_lshlrev_b64 v[20:21], 1, v[20:21]
	s_waitcnt vmcnt(1)
	global_store_dwordx4 v[6:7], v[12:15], off offset:-16
	v_add_co_u32 v12, s1, v20, s10
	v_add_co_ci_u32_e64 v13, null, 0, v21, s1
	s_waitcnt vmcnt(0)
	global_store_dwordx4 v[6:7], v[16:19], off
	v_add_co_u32 v6, s1, 0x1000, v6
	v_add_co_ci_u32_e64 v7, null, 0, v7, s1
	v_add_co_u32 v14, s1, v12, 1
	v_add_co_ci_u32_e64 v15, null, 0, v13, s1
	global_store_dwordx4 v[4:5], v[12:15], off offset:-8
	v_add_co_u32 v4, s1, 0x800, v4
	v_add_co_ci_u32_e64 v5, null, 0, v5, s1
	s_andn2_b32 exec_lo, exec_lo, s4
	s_cbranch_execnz .LBB300_4
.LBB300_5:
	s_endpgm
	.section	.rodata,"a",@progbits
	.p2align	6, 0x0
	.amdhsa_kernel _ZN9rocsparseL32bsr2csr_block_per_row_2_7_kernelILj256ELj2E21rocsparse_complex_numIdEllEEv20rocsparse_direction_T3_S4_21rocsparse_index_base_PKT1_PKT2_PKS4_S4_S5_PS6_PS9_PS4_
		.amdhsa_group_segment_fixed_size 0
		.amdhsa_private_segment_fixed_size 0
		.amdhsa_kernarg_size 96
		.amdhsa_user_sgpr_count 6
		.amdhsa_user_sgpr_private_segment_buffer 1
		.amdhsa_user_sgpr_dispatch_ptr 0
		.amdhsa_user_sgpr_queue_ptr 0
		.amdhsa_user_sgpr_kernarg_segment_ptr 1
		.amdhsa_user_sgpr_dispatch_id 0
		.amdhsa_user_sgpr_flat_scratch_init 0
		.amdhsa_user_sgpr_private_segment_size 0
		.amdhsa_wavefront_size32 1
		.amdhsa_uses_dynamic_stack 0
		.amdhsa_system_sgpr_private_segment_wavefront_offset 0
		.amdhsa_system_sgpr_workgroup_id_x 1
		.amdhsa_system_sgpr_workgroup_id_y 0
		.amdhsa_system_sgpr_workgroup_id_z 0
		.amdhsa_system_sgpr_workgroup_info 0
		.amdhsa_system_vgpr_workitem_id 0
		.amdhsa_next_free_vgpr 22
		.amdhsa_next_free_sgpr 20
		.amdhsa_reserve_vcc 1
		.amdhsa_reserve_flat_scratch 0
		.amdhsa_float_round_mode_32 0
		.amdhsa_float_round_mode_16_64 0
		.amdhsa_float_denorm_mode_32 3
		.amdhsa_float_denorm_mode_16_64 3
		.amdhsa_dx10_clamp 1
		.amdhsa_ieee_mode 1
		.amdhsa_fp16_overflow 0
		.amdhsa_workgroup_processor_mode 1
		.amdhsa_memory_ordered 1
		.amdhsa_forward_progress 1
		.amdhsa_shared_vgpr_count 0
		.amdhsa_exception_fp_ieee_invalid_op 0
		.amdhsa_exception_fp_denorm_src 0
		.amdhsa_exception_fp_ieee_div_zero 0
		.amdhsa_exception_fp_ieee_overflow 0
		.amdhsa_exception_fp_ieee_underflow 0
		.amdhsa_exception_fp_ieee_inexact 0
		.amdhsa_exception_int_div_zero 0
	.end_amdhsa_kernel
	.section	.text._ZN9rocsparseL32bsr2csr_block_per_row_2_7_kernelILj256ELj2E21rocsparse_complex_numIdEllEEv20rocsparse_direction_T3_S4_21rocsparse_index_base_PKT1_PKT2_PKS4_S4_S5_PS6_PS9_PS4_,"axG",@progbits,_ZN9rocsparseL32bsr2csr_block_per_row_2_7_kernelILj256ELj2E21rocsparse_complex_numIdEllEEv20rocsparse_direction_T3_S4_21rocsparse_index_base_PKT1_PKT2_PKS4_S4_S5_PS6_PS9_PS4_,comdat
.Lfunc_end300:
	.size	_ZN9rocsparseL32bsr2csr_block_per_row_2_7_kernelILj256ELj2E21rocsparse_complex_numIdEllEEv20rocsparse_direction_T3_S4_21rocsparse_index_base_PKT1_PKT2_PKS4_S4_S5_PS6_PS9_PS4_, .Lfunc_end300-_ZN9rocsparseL32bsr2csr_block_per_row_2_7_kernelILj256ELj2E21rocsparse_complex_numIdEllEEv20rocsparse_direction_T3_S4_21rocsparse_index_base_PKT1_PKT2_PKS4_S4_S5_PS6_PS9_PS4_
                                        ; -- End function
	.set _ZN9rocsparseL32bsr2csr_block_per_row_2_7_kernelILj256ELj2E21rocsparse_complex_numIdEllEEv20rocsparse_direction_T3_S4_21rocsparse_index_base_PKT1_PKT2_PKS4_S4_S5_PS6_PS9_PS4_.num_vgpr, 22
	.set _ZN9rocsparseL32bsr2csr_block_per_row_2_7_kernelILj256ELj2E21rocsparse_complex_numIdEllEEv20rocsparse_direction_T3_S4_21rocsparse_index_base_PKT1_PKT2_PKS4_S4_S5_PS6_PS9_PS4_.num_agpr, 0
	.set _ZN9rocsparseL32bsr2csr_block_per_row_2_7_kernelILj256ELj2E21rocsparse_complex_numIdEllEEv20rocsparse_direction_T3_S4_21rocsparse_index_base_PKT1_PKT2_PKS4_S4_S5_PS6_PS9_PS4_.numbered_sgpr, 20
	.set _ZN9rocsparseL32bsr2csr_block_per_row_2_7_kernelILj256ELj2E21rocsparse_complex_numIdEllEEv20rocsparse_direction_T3_S4_21rocsparse_index_base_PKT1_PKT2_PKS4_S4_S5_PS6_PS9_PS4_.num_named_barrier, 0
	.set _ZN9rocsparseL32bsr2csr_block_per_row_2_7_kernelILj256ELj2E21rocsparse_complex_numIdEllEEv20rocsparse_direction_T3_S4_21rocsparse_index_base_PKT1_PKT2_PKS4_S4_S5_PS6_PS9_PS4_.private_seg_size, 0
	.set _ZN9rocsparseL32bsr2csr_block_per_row_2_7_kernelILj256ELj2E21rocsparse_complex_numIdEllEEv20rocsparse_direction_T3_S4_21rocsparse_index_base_PKT1_PKT2_PKS4_S4_S5_PS6_PS9_PS4_.uses_vcc, 1
	.set _ZN9rocsparseL32bsr2csr_block_per_row_2_7_kernelILj256ELj2E21rocsparse_complex_numIdEllEEv20rocsparse_direction_T3_S4_21rocsparse_index_base_PKT1_PKT2_PKS4_S4_S5_PS6_PS9_PS4_.uses_flat_scratch, 0
	.set _ZN9rocsparseL32bsr2csr_block_per_row_2_7_kernelILj256ELj2E21rocsparse_complex_numIdEllEEv20rocsparse_direction_T3_S4_21rocsparse_index_base_PKT1_PKT2_PKS4_S4_S5_PS6_PS9_PS4_.has_dyn_sized_stack, 0
	.set _ZN9rocsparseL32bsr2csr_block_per_row_2_7_kernelILj256ELj2E21rocsparse_complex_numIdEllEEv20rocsparse_direction_T3_S4_21rocsparse_index_base_PKT1_PKT2_PKS4_S4_S5_PS6_PS9_PS4_.has_recursion, 0
	.set _ZN9rocsparseL32bsr2csr_block_per_row_2_7_kernelILj256ELj2E21rocsparse_complex_numIdEllEEv20rocsparse_direction_T3_S4_21rocsparse_index_base_PKT1_PKT2_PKS4_S4_S5_PS6_PS9_PS4_.has_indirect_call, 0
	.section	.AMDGPU.csdata,"",@progbits
; Kernel info:
; codeLenInByte = 840
; TotalNumSgprs: 22
; NumVgprs: 22
; ScratchSize: 0
; MemoryBound: 0
; FloatMode: 240
; IeeeMode: 1
; LDSByteSize: 0 bytes/workgroup (compile time only)
; SGPRBlocks: 0
; VGPRBlocks: 2
; NumSGPRsForWavesPerEU: 22
; NumVGPRsForWavesPerEU: 22
; Occupancy: 16
; WaveLimiterHint : 0
; COMPUTE_PGM_RSRC2:SCRATCH_EN: 0
; COMPUTE_PGM_RSRC2:USER_SGPR: 6
; COMPUTE_PGM_RSRC2:TRAP_HANDLER: 0
; COMPUTE_PGM_RSRC2:TGID_X_EN: 1
; COMPUTE_PGM_RSRC2:TGID_Y_EN: 0
; COMPUTE_PGM_RSRC2:TGID_Z_EN: 0
; COMPUTE_PGM_RSRC2:TIDIG_COMP_CNT: 0
	.section	.text._ZN9rocsparseL32bsr2csr_block_per_row_2_7_kernelILj256ELj3E21rocsparse_complex_numIdEllEEv20rocsparse_direction_T3_S4_21rocsparse_index_base_PKT1_PKT2_PKS4_S4_S5_PS6_PS9_PS4_,"axG",@progbits,_ZN9rocsparseL32bsr2csr_block_per_row_2_7_kernelILj256ELj3E21rocsparse_complex_numIdEllEEv20rocsparse_direction_T3_S4_21rocsparse_index_base_PKT1_PKT2_PKS4_S4_S5_PS6_PS9_PS4_,comdat
	.globl	_ZN9rocsparseL32bsr2csr_block_per_row_2_7_kernelILj256ELj3E21rocsparse_complex_numIdEllEEv20rocsparse_direction_T3_S4_21rocsparse_index_base_PKT1_PKT2_PKS4_S4_S5_PS6_PS9_PS4_ ; -- Begin function _ZN9rocsparseL32bsr2csr_block_per_row_2_7_kernelILj256ELj3E21rocsparse_complex_numIdEllEEv20rocsparse_direction_T3_S4_21rocsparse_index_base_PKT1_PKT2_PKS4_S4_S5_PS6_PS9_PS4_
	.p2align	8
	.type	_ZN9rocsparseL32bsr2csr_block_per_row_2_7_kernelILj256ELj3E21rocsparse_complex_numIdEllEEv20rocsparse_direction_T3_S4_21rocsparse_index_base_PKT1_PKT2_PKS4_S4_S5_PS6_PS9_PS4_,@function
_ZN9rocsparseL32bsr2csr_block_per_row_2_7_kernelILj256ELj3E21rocsparse_complex_numIdEllEEv20rocsparse_direction_T3_S4_21rocsparse_index_base_PKT1_PKT2_PKS4_S4_S5_PS6_PS9_PS4_: ; @_ZN9rocsparseL32bsr2csr_block_per_row_2_7_kernelILj256ELj3E21rocsparse_complex_numIdEllEEv20rocsparse_direction_T3_S4_21rocsparse_index_base_PKT1_PKT2_PKS4_S4_S5_PS6_PS9_PS4_
; %bb.0:
	s_clause 0x2
	s_load_dwordx2 s[0:1], s[4:5], 0x28
	s_load_dword s8, s[4:5], 0x40
	s_load_dwordx2 s[12:13], s[4:5], 0x50
	s_mov_b32 s7, 0
	v_or_b32_e32 v1, s6, v0
	s_lshl_b64 s[2:3], s[6:7], 3
	s_waitcnt lgkmcnt(0)
	s_add_u32 s0, s0, s2
	s_addc_u32 s1, s1, s3
	s_mov_b32 s2, exec_lo
	v_cmpx_eq_u32_e32 0, v1
	s_cbranch_execz .LBB301_2
; %bb.1:
	v_mov_b32_e32 v1, s8
	v_mov_b32_e32 v2, 0
	global_store_dwordx2 v2, v[1:2], s[12:13]
.LBB301_2:
	s_or_b32 exec_lo, exec_lo, s2
	v_and_b32_e32 v9, 3, v0
	s_mov_b32 s2, exec_lo
	v_cmpx_ne_u32_e32 3, v9
	s_cbranch_execz .LBB301_6
; %bb.3:
	s_load_dwordx4 s[0:3], s[0:1], 0x0
	s_load_dword s7, s[4:5], 0x18
	v_lshrrev_b32_e32 v4, 2, v0
	s_mul_i32 s16, s6, 24
	v_lshlrev_b32_e32 v8, 3, v9
	s_waitcnt lgkmcnt(0)
	s_sub_u32 s9, s0, s7
	s_subb_u32 s14, s1, 0
	s_sub_u32 s10, s2, s7
	s_mul_hi_u32 s2, s9, 9
	s_mul_i32 s15, s14, 9
	s_subb_u32 s11, s3, 0
	s_add_i32 s2, s2, s15
	s_sub_u32 s3, s10, s9
	s_subb_u32 s17, s11, s14
	s_mul_i32 s15, s3, 3
	s_mul_hi_u32 s3, s3, 3
	v_mad_u64_u32 v[2:3], null, s15, v9, 0
	s_mul_i32 s17, s17, 3
	s_mul_i32 s18, s9, 9
	s_add_i32 s3, s3, s17
	v_mov_b32_e32 v0, v3
	v_mad_u64_u32 v[5:6], null, s3, v9, v[0:1]
	v_add_co_u32 v0, s9, s9, v4
	v_add_co_ci_u32_e64 v1, null, s14, 0, s9
	s_add_u32 s9, s15, s8
	s_addc_u32 s3, s3, 0
	s_add_u32 s9, s9, s18
	s_addc_u32 s2, s3, s2
	v_add_co_u32 v6, vcc_lo, s9, v2
	v_add_co_ci_u32_e64 v7, null, s2, v5, vcc_lo
	v_cmp_gt_i64_e32 vcc_lo, s[10:11], v[0:1]
	v_mov_b32_e32 v3, v5
	s_mul_hi_u32 s3, s6, 24
	s_add_u32 s2, s12, s16
	s_addc_u32 s3, s13, s3
	s_mov_b32 s9, 0
	global_store_dwordx2 v8, v[6:7], s[2:3] offset:8
	s_and_b32 exec_lo, exec_lo, vcc_lo
	s_cbranch_execz .LBB301_6
; %bb.4:
	v_mad_u64_u32 v[5:6], null, s0, 9, v[2:3]
	s_clause 0x2
	s_load_dwordx2 s[2:3], s[4:5], 0x48
	s_load_dwordx2 s[12:13], s[4:5], 0x20
	s_load_dword s6, s[4:5], 0x0
	v_lshlrev_b32_e32 v10, 4, v9
	v_mul_hi_u32_u24_e32 v11, 48, v9
	v_mul_u32_u24_e32 v9, 48, v9
	v_mov_b32_e32 v2, v6
	v_mad_u64_u32 v[2:3], null, s1, 9, v[2:3]
	s_clause 0x1
	s_load_dwordx2 s[0:1], s[4:5], 0x30
	s_load_dwordx2 s[4:5], s[4:5], 0x58
	v_mov_b32_e32 v6, v2
	s_waitcnt lgkmcnt(0)
	v_mad_u64_u32 v[2:3], null, 0x90, v0, s[12:13]
	s_mul_i32 s13, s7, 9
	s_mul_hi_u32 s12, s7, 9
	v_mad_u64_u32 v[4:5], null, v4, 3, v[5:6]
	v_lshlrev_b64 v[6:7], 3, v[0:1]
	s_cmp_eq_u32 s6, 0
	v_sub_co_u32 v12, vcc_lo, v4, s13
	v_subrev_co_ci_u32_e64 v13, null, s12, v5, vcc_lo
	v_mad_u64_u32 v[14:15], null, 0x90, v1, v[3:4]
	v_add_co_u32 v3, vcc_lo, s0, v6
	v_lshlrev_b64 v[15:16], 4, v[12:13]
	v_lshlrev_b64 v[5:6], 3, v[12:13]
	v_add_co_ci_u32_e64 v4, null, s1, v7, vcc_lo
	v_mov_b32_e32 v12, v14
	v_add_co_u32 v7, vcc_lo, s2, v15
	v_add_co_ci_u32_e64 v8, null, s3, v16, vcc_lo
	v_add_co_u32 v13, vcc_lo, s4, v5
	v_add_co_ci_u32_e64 v14, null, s5, v6, vcc_lo
	;; [unrolled: 2-line block ×4, first 2 shown]
	s_cselect_b32 vcc_lo, -1, 0
	s_mov_b32 s3, s9
.LBB301_5:                              ; =>This Inner Loop Header: Depth=1
	v_add_co_u32 v13, s0, v2, v9
	v_add_co_ci_u32_e64 v14, null, v12, v11, s0
	v_add_co_u32 v15, s0, v2, v10
	v_add_co_ci_u32_e64 v16, null, 0, v12, s0
	v_add_co_u32 v17, s0, v13, 16
	global_load_dwordx2 v[25:26], v[3:4], off
	v_add_co_ci_u32_e64 v18, null, 0, v14, s0
	v_add_co_u32 v19, s0, v15, 48
	v_add_co_ci_u32_e64 v20, null, 0, v16, s0
	v_add_co_u32 v21, s0, v13, 32
	;; [unrolled: 2-line block ×3, first 2 shown]
	v_add_co_ci_u32_e64 v24, null, 0, v16, s0
	v_cndmask_b32_e32 v14, v16, v14, vcc_lo
	v_cndmask_b32_e32 v13, v15, v13, vcc_lo
	;; [unrolled: 1-line block ×6, first 2 shown]
	global_load_dwordx4 v[13:16], v[13:14], off
	global_load_dwordx4 v[17:20], v[17:18], off
	;; [unrolled: 1-line block ×3, first 2 shown]
	v_add_co_u32 v0, s0, v0, 64
	v_add_co_ci_u32_e64 v1, null, 0, v1, s0
	v_add_co_u32 v3, s0, 0x200, v3
	v_add_co_ci_u32_e64 v4, null, 0, v4, s0
	;; [unrolled: 2-line block ×3, first 2 shown]
	v_cmp_le_i64_e64 s0, s[10:11], v[0:1]
	s_or_b32 s3, s0, s3
	s_waitcnt vmcnt(3)
	v_sub_co_u32 v25, s1, v25, s7
	v_subrev_co_ci_u32_e64 v27, null, 0, v26, s1
	v_mad_u64_u32 v[25:26], null, v25, 3, s[8:9]
	s_waitcnt vmcnt(2)
	global_store_dwordx4 v[5:6], v[13:16], off offset:-16
	v_mov_b32_e32 v13, v26
	s_waitcnt vmcnt(1)
	global_store_dwordx4 v[5:6], v[17:20], off
	s_waitcnt vmcnt(0)
	global_store_dwordx4 v[5:6], v[21:24], off offset:16
	v_add_co_u32 v5, s1, 0xc00, v5
	v_add_co_ci_u32_e64 v6, null, 0, v6, s1
	v_mad_u64_u32 v[26:27], null, v27, 3, v[13:14]
	v_add_co_u32 v27, s2, v25, 1
	v_add_co_u32 v13, s1, v25, 2
	v_add_co_ci_u32_e64 v28, null, 0, v26, s2
	v_add_co_ci_u32_e64 v14, null, 0, v26, s1
	global_store_dwordx4 v[7:8], v[25:28], off offset:-8
	global_store_dwordx2 v[7:8], v[13:14], off offset:8
	v_add_co_u32 v7, s1, 0x600, v7
	v_add_co_ci_u32_e64 v8, null, 0, v8, s1
	s_andn2_b32 exec_lo, exec_lo, s3
	s_cbranch_execnz .LBB301_5
.LBB301_6:
	s_endpgm
	.section	.rodata,"a",@progbits
	.p2align	6, 0x0
	.amdhsa_kernel _ZN9rocsparseL32bsr2csr_block_per_row_2_7_kernelILj256ELj3E21rocsparse_complex_numIdEllEEv20rocsparse_direction_T3_S4_21rocsparse_index_base_PKT1_PKT2_PKS4_S4_S5_PS6_PS9_PS4_
		.amdhsa_group_segment_fixed_size 0
		.amdhsa_private_segment_fixed_size 0
		.amdhsa_kernarg_size 96
		.amdhsa_user_sgpr_count 6
		.amdhsa_user_sgpr_private_segment_buffer 1
		.amdhsa_user_sgpr_dispatch_ptr 0
		.amdhsa_user_sgpr_queue_ptr 0
		.amdhsa_user_sgpr_kernarg_segment_ptr 1
		.amdhsa_user_sgpr_dispatch_id 0
		.amdhsa_user_sgpr_flat_scratch_init 0
		.amdhsa_user_sgpr_private_segment_size 0
		.amdhsa_wavefront_size32 1
		.amdhsa_uses_dynamic_stack 0
		.amdhsa_system_sgpr_private_segment_wavefront_offset 0
		.amdhsa_system_sgpr_workgroup_id_x 1
		.amdhsa_system_sgpr_workgroup_id_y 0
		.amdhsa_system_sgpr_workgroup_id_z 0
		.amdhsa_system_sgpr_workgroup_info 0
		.amdhsa_system_vgpr_workitem_id 0
		.amdhsa_next_free_vgpr 29
		.amdhsa_next_free_sgpr 19
		.amdhsa_reserve_vcc 1
		.amdhsa_reserve_flat_scratch 0
		.amdhsa_float_round_mode_32 0
		.amdhsa_float_round_mode_16_64 0
		.amdhsa_float_denorm_mode_32 3
		.amdhsa_float_denorm_mode_16_64 3
		.amdhsa_dx10_clamp 1
		.amdhsa_ieee_mode 1
		.amdhsa_fp16_overflow 0
		.amdhsa_workgroup_processor_mode 1
		.amdhsa_memory_ordered 1
		.amdhsa_forward_progress 1
		.amdhsa_shared_vgpr_count 0
		.amdhsa_exception_fp_ieee_invalid_op 0
		.amdhsa_exception_fp_denorm_src 0
		.amdhsa_exception_fp_ieee_div_zero 0
		.amdhsa_exception_fp_ieee_overflow 0
		.amdhsa_exception_fp_ieee_underflow 0
		.amdhsa_exception_fp_ieee_inexact 0
		.amdhsa_exception_int_div_zero 0
	.end_amdhsa_kernel
	.section	.text._ZN9rocsparseL32bsr2csr_block_per_row_2_7_kernelILj256ELj3E21rocsparse_complex_numIdEllEEv20rocsparse_direction_T3_S4_21rocsparse_index_base_PKT1_PKT2_PKS4_S4_S5_PS6_PS9_PS4_,"axG",@progbits,_ZN9rocsparseL32bsr2csr_block_per_row_2_7_kernelILj256ELj3E21rocsparse_complex_numIdEllEEv20rocsparse_direction_T3_S4_21rocsparse_index_base_PKT1_PKT2_PKS4_S4_S5_PS6_PS9_PS4_,comdat
.Lfunc_end301:
	.size	_ZN9rocsparseL32bsr2csr_block_per_row_2_7_kernelILj256ELj3E21rocsparse_complex_numIdEllEEv20rocsparse_direction_T3_S4_21rocsparse_index_base_PKT1_PKT2_PKS4_S4_S5_PS6_PS9_PS4_, .Lfunc_end301-_ZN9rocsparseL32bsr2csr_block_per_row_2_7_kernelILj256ELj3E21rocsparse_complex_numIdEllEEv20rocsparse_direction_T3_S4_21rocsparse_index_base_PKT1_PKT2_PKS4_S4_S5_PS6_PS9_PS4_
                                        ; -- End function
	.set _ZN9rocsparseL32bsr2csr_block_per_row_2_7_kernelILj256ELj3E21rocsparse_complex_numIdEllEEv20rocsparse_direction_T3_S4_21rocsparse_index_base_PKT1_PKT2_PKS4_S4_S5_PS6_PS9_PS4_.num_vgpr, 29
	.set _ZN9rocsparseL32bsr2csr_block_per_row_2_7_kernelILj256ELj3E21rocsparse_complex_numIdEllEEv20rocsparse_direction_T3_S4_21rocsparse_index_base_PKT1_PKT2_PKS4_S4_S5_PS6_PS9_PS4_.num_agpr, 0
	.set _ZN9rocsparseL32bsr2csr_block_per_row_2_7_kernelILj256ELj3E21rocsparse_complex_numIdEllEEv20rocsparse_direction_T3_S4_21rocsparse_index_base_PKT1_PKT2_PKS4_S4_S5_PS6_PS9_PS4_.numbered_sgpr, 19
	.set _ZN9rocsparseL32bsr2csr_block_per_row_2_7_kernelILj256ELj3E21rocsparse_complex_numIdEllEEv20rocsparse_direction_T3_S4_21rocsparse_index_base_PKT1_PKT2_PKS4_S4_S5_PS6_PS9_PS4_.num_named_barrier, 0
	.set _ZN9rocsparseL32bsr2csr_block_per_row_2_7_kernelILj256ELj3E21rocsparse_complex_numIdEllEEv20rocsparse_direction_T3_S4_21rocsparse_index_base_PKT1_PKT2_PKS4_S4_S5_PS6_PS9_PS4_.private_seg_size, 0
	.set _ZN9rocsparseL32bsr2csr_block_per_row_2_7_kernelILj256ELj3E21rocsparse_complex_numIdEllEEv20rocsparse_direction_T3_S4_21rocsparse_index_base_PKT1_PKT2_PKS4_S4_S5_PS6_PS9_PS4_.uses_vcc, 1
	.set _ZN9rocsparseL32bsr2csr_block_per_row_2_7_kernelILj256ELj3E21rocsparse_complex_numIdEllEEv20rocsparse_direction_T3_S4_21rocsparse_index_base_PKT1_PKT2_PKS4_S4_S5_PS6_PS9_PS4_.uses_flat_scratch, 0
	.set _ZN9rocsparseL32bsr2csr_block_per_row_2_7_kernelILj256ELj3E21rocsparse_complex_numIdEllEEv20rocsparse_direction_T3_S4_21rocsparse_index_base_PKT1_PKT2_PKS4_S4_S5_PS6_PS9_PS4_.has_dyn_sized_stack, 0
	.set _ZN9rocsparseL32bsr2csr_block_per_row_2_7_kernelILj256ELj3E21rocsparse_complex_numIdEllEEv20rocsparse_direction_T3_S4_21rocsparse_index_base_PKT1_PKT2_PKS4_S4_S5_PS6_PS9_PS4_.has_recursion, 0
	.set _ZN9rocsparseL32bsr2csr_block_per_row_2_7_kernelILj256ELj3E21rocsparse_complex_numIdEllEEv20rocsparse_direction_T3_S4_21rocsparse_index_base_PKT1_PKT2_PKS4_S4_S5_PS6_PS9_PS4_.has_indirect_call, 0
	.section	.AMDGPU.csdata,"",@progbits
; Kernel info:
; codeLenInByte = 960
; TotalNumSgprs: 21
; NumVgprs: 29
; ScratchSize: 0
; MemoryBound: 0
; FloatMode: 240
; IeeeMode: 1
; LDSByteSize: 0 bytes/workgroup (compile time only)
; SGPRBlocks: 0
; VGPRBlocks: 3
; NumSGPRsForWavesPerEU: 21
; NumVGPRsForWavesPerEU: 29
; Occupancy: 16
; WaveLimiterHint : 0
; COMPUTE_PGM_RSRC2:SCRATCH_EN: 0
; COMPUTE_PGM_RSRC2:USER_SGPR: 6
; COMPUTE_PGM_RSRC2:TRAP_HANDLER: 0
; COMPUTE_PGM_RSRC2:TGID_X_EN: 1
; COMPUTE_PGM_RSRC2:TGID_Y_EN: 0
; COMPUTE_PGM_RSRC2:TGID_Z_EN: 0
; COMPUTE_PGM_RSRC2:TIDIG_COMP_CNT: 0
	.section	.text._ZN9rocsparseL32bsr2csr_block_per_row_2_7_kernelILj256ELj4E21rocsparse_complex_numIdEllEEv20rocsparse_direction_T3_S4_21rocsparse_index_base_PKT1_PKT2_PKS4_S4_S5_PS6_PS9_PS4_,"axG",@progbits,_ZN9rocsparseL32bsr2csr_block_per_row_2_7_kernelILj256ELj4E21rocsparse_complex_numIdEllEEv20rocsparse_direction_T3_S4_21rocsparse_index_base_PKT1_PKT2_PKS4_S4_S5_PS6_PS9_PS4_,comdat
	.globl	_ZN9rocsparseL32bsr2csr_block_per_row_2_7_kernelILj256ELj4E21rocsparse_complex_numIdEllEEv20rocsparse_direction_T3_S4_21rocsparse_index_base_PKT1_PKT2_PKS4_S4_S5_PS6_PS9_PS4_ ; -- Begin function _ZN9rocsparseL32bsr2csr_block_per_row_2_7_kernelILj256ELj4E21rocsparse_complex_numIdEllEEv20rocsparse_direction_T3_S4_21rocsparse_index_base_PKT1_PKT2_PKS4_S4_S5_PS6_PS9_PS4_
	.p2align	8
	.type	_ZN9rocsparseL32bsr2csr_block_per_row_2_7_kernelILj256ELj4E21rocsparse_complex_numIdEllEEv20rocsparse_direction_T3_S4_21rocsparse_index_base_PKT1_PKT2_PKS4_S4_S5_PS6_PS9_PS4_,@function
_ZN9rocsparseL32bsr2csr_block_per_row_2_7_kernelILj256ELj4E21rocsparse_complex_numIdEllEEv20rocsparse_direction_T3_S4_21rocsparse_index_base_PKT1_PKT2_PKS4_S4_S5_PS6_PS9_PS4_: ; @_ZN9rocsparseL32bsr2csr_block_per_row_2_7_kernelILj256ELj4E21rocsparse_complex_numIdEllEEv20rocsparse_direction_T3_S4_21rocsparse_index_base_PKT1_PKT2_PKS4_S4_S5_PS6_PS9_PS4_
; %bb.0:
	s_load_dwordx2 s[0:1], s[4:5], 0x28
	s_mov_b32 s9, 0
	s_clause 0x1
	s_load_dword s10, s[4:5], 0x40
	s_load_dwordx2 s[12:13], s[4:5], 0x50
	s_mov_b32 s7, s9
	v_or_b32_e32 v1, s6, v0
	s_lshl_b64 s[2:3], s[6:7], 3
	s_mov_b32 s8, exec_lo
	s_waitcnt lgkmcnt(0)
	s_add_u32 s0, s0, s2
	s_addc_u32 s1, s1, s3
	s_load_dwordx4 s[0:3], s[0:1], 0x0
	v_cmpx_eq_u32_e32 0, v1
	s_cbranch_execz .LBB302_2
; %bb.1:
	s_mov_b32 s11, s9
	v_mov_b32_e32 v1, s10
	v_mov_b32_e32 v3, 0
	;; [unrolled: 1-line block ×3, first 2 shown]
	global_store_dwordx2 v3, v[1:2], s[12:13]
.LBB302_2:
	s_or_b32 exec_lo, exec_lo, s8
	s_load_dword s8, s[4:5], 0x18
	v_and_b32_e32 v4, 3, v0
	v_lshrrev_b32_e32 v5, 2, v0
	v_lshlrev_b32_e32 v9, 3, v4
	s_waitcnt lgkmcnt(0)
	s_sub_u32 s14, s0, s8
	s_subb_u32 s15, s1, 0
	s_sub_u32 s2, s2, s8
	s_subb_u32 s3, s3, 0
	s_lshl_b64 s[16:17], s[14:15], 4
	s_sub_u32 s18, s2, s14
	s_subb_u32 s19, s3, s15
	v_add_co_u32 v0, s11, s14, v5
	s_lshl_b64 s[20:21], s[18:19], 2
	v_add_co_ci_u32_e64 v1, null, s15, 0, s11
	v_mad_u64_u32 v[2:3], null, s20, v4, 0
	s_lshr_b64 s[14:15], s[18:19], 30
	s_add_u32 s11, s20, s10
	v_mad_u64_u32 v[6:7], null, s14, v4, v[3:4]
	s_addc_u32 s14, s21, 0
	s_add_u32 s11, s11, s16
	s_addc_u32 s14, s14, s17
	v_add_co_u32 v7, vcc_lo, s11, v2
	s_lshl_b64 s[6:7], s[6:7], 5
	v_add_co_ci_u32_e64 v8, null, s14, v6, vcc_lo
	v_mov_b32_e32 v3, v6
	s_add_u32 s6, s12, s6
	s_addc_u32 s7, s13, s7
	global_store_dwordx2 v9, v[7:8], s[6:7] offset:8
	s_mov_b32 s6, exec_lo
	v_cmpx_gt_i64_e64 s[2:3], v[0:1]
	s_cbranch_execz .LBB302_5
; %bb.3:
	s_clause 0x4
	s_load_dwordx2 s[6:7], s[4:5], 0x30
	s_load_dwordx2 s[12:13], s[4:5], 0x48
	s_load_dword s11, s[4:5], 0x0
	s_load_dwordx2 s[14:15], s[4:5], 0x20
	s_load_dwordx2 s[4:5], s[4:5], 0x58
	v_lshlrev_b32_e32 v5, 2, v5
	v_lshlrev_b64 v[10:11], 8, v[0:1]
	v_lshlrev_b64 v[6:7], 3, v[0:1]
	v_mul_hi_u32_u24_e32 v8, 48, v4
	v_mul_u32_u24_e32 v9, 48, v4
	v_lshl_or_b32 v10, v4, 4, v10
	s_waitcnt lgkmcnt(0)
	s_cmp_eq_u32 s11, 0
	s_cselect_b32 vcc_lo, -1, 0
	s_lshl_b64 s[0:1], s[0:1], 4
	v_add_co_u32 v2, s0, v2, s0
	v_add_co_ci_u32_e64 v3, null, s1, v3, s0
	v_add_co_u32 v2, s0, v2, v5
	v_add_co_ci_u32_e64 v3, null, 0, v3, s0
	s_lshl_b64 s[0:1], s[8:9], 4
	v_sub_co_u32 v4, s0, v2, s0
	v_subrev_co_ci_u32_e64 v5, null, s1, v3, s0
	v_add_co_u32 v2, s0, s6, v6
	v_add_co_ci_u32_e64 v3, null, s7, v7, s0
	v_lshlrev_b64 v[6:7], 3, v[4:5]
	v_lshlrev_b64 v[4:5], 4, v[4:5]
	v_add_co_u32 v10, s0, s14, v10
	v_add_co_ci_u32_e64 v11, null, s15, v11, s0
	v_add_co_u32 v6, s0, s4, v6
	v_add_co_ci_u32_e64 v7, null, s5, v7, s0
	;; [unrolled: 2-line block ×5, first 2 shown]
	s_mov_b32 s4, 0
.LBB302_4:                              ; =>This Inner Loop Header: Depth=1
	v_add_co_u32 v14, s0, v10, v9
	v_add_co_ci_u32_e64 v15, null, v11, v8, s0
	v_add_co_u32 v16, s0, v10, 64
	v_add_co_ci_u32_e64 v17, null, 0, v11, s0
	v_add_co_u32 v18, s0, 0x80, v10
	global_load_dwordx2 v[28:29], v[2:3], off
	v_add_co_ci_u32_e64 v19, null, 0, v11, s0
	v_add_co_u32 v22, s0, 0xc0, v10
	v_add_co_ci_u32_e64 v23, null, 0, v11, s0
	v_add_co_u32 v20, s0, v14, 16
	;; [unrolled: 2-line block ×4, first 2 shown]
	v_cndmask_b32_e32 v13, v11, v15, vcc_lo
	v_cndmask_b32_e32 v12, v10, v14, vcc_lo
	v_add_co_ci_u32_e64 v27, null, 0, v15, s0
	v_cndmask_b32_e32 v17, v17, v21, vcc_lo
	v_cndmask_b32_e32 v16, v16, v20, vcc_lo
	;; [unrolled: 1-line block ×4, first 2 shown]
	global_load_dwordx4 v[12:15], v[12:13], off
	v_cndmask_b32_e32 v25, v23, v27, vcc_lo
	v_cndmask_b32_e32 v24, v22, v26, vcc_lo
	global_load_dwordx4 v[16:19], v[16:17], off
	global_load_dwordx4 v[20:23], v[20:21], off
	;; [unrolled: 1-line block ×3, first 2 shown]
	v_add_co_u32 v0, s0, v0, 64
	v_add_co_ci_u32_e64 v1, null, 0, v1, s0
	v_add_co_u32 v2, s0, 0x200, v2
	v_add_co_ci_u32_e64 v3, null, 0, v3, s0
	;; [unrolled: 2-line block ×3, first 2 shown]
	v_cmp_le_i64_e64 s0, s[2:3], v[0:1]
	s_or_b32 s4, s0, s4
	s_waitcnt vmcnt(4)
	v_sub_co_u32 v28, s1, v28, s8
	v_subrev_co_ci_u32_e64 v29, null, 0, v29, s1
	v_lshlrev_b64 v[28:29], 2, v[28:29]
	s_waitcnt vmcnt(3)
	global_store_dwordx4 v[6:7], v[12:15], off offset:-32
	v_add_co_u32 v12, s1, v28, s10
	v_add_co_ci_u32_e64 v13, null, 0, v29, s1
	s_waitcnt vmcnt(2)
	global_store_dwordx4 v[6:7], v[16:19], off offset:-16
	s_waitcnt vmcnt(1)
	global_store_dwordx4 v[6:7], v[20:23], off
	s_waitcnt vmcnt(0)
	global_store_dwordx4 v[6:7], v[24:27], off offset:16
	v_add_co_u32 v6, s1, 0x1000, v6
	v_add_co_ci_u32_e64 v7, null, 0, v7, s1
	v_add_co_u32 v14, s1, v12, 1
	v_add_co_ci_u32_e64 v15, null, 0, v13, s1
	;; [unrolled: 2-line block ×4, first 2 shown]
	global_store_dwordx4 v[4:5], v[12:15], off offset:-16
	global_store_dwordx4 v[4:5], v[16:19], off
	v_add_co_u32 v4, s1, 0x800, v4
	v_add_co_ci_u32_e64 v5, null, 0, v5, s1
	s_andn2_b32 exec_lo, exec_lo, s4
	s_cbranch_execnz .LBB302_4
.LBB302_5:
	s_endpgm
	.section	.rodata,"a",@progbits
	.p2align	6, 0x0
	.amdhsa_kernel _ZN9rocsparseL32bsr2csr_block_per_row_2_7_kernelILj256ELj4E21rocsparse_complex_numIdEllEEv20rocsparse_direction_T3_S4_21rocsparse_index_base_PKT1_PKT2_PKS4_S4_S5_PS6_PS9_PS4_
		.amdhsa_group_segment_fixed_size 0
		.amdhsa_private_segment_fixed_size 0
		.amdhsa_kernarg_size 96
		.amdhsa_user_sgpr_count 6
		.amdhsa_user_sgpr_private_segment_buffer 1
		.amdhsa_user_sgpr_dispatch_ptr 0
		.amdhsa_user_sgpr_queue_ptr 0
		.amdhsa_user_sgpr_kernarg_segment_ptr 1
		.amdhsa_user_sgpr_dispatch_id 0
		.amdhsa_user_sgpr_flat_scratch_init 0
		.amdhsa_user_sgpr_private_segment_size 0
		.amdhsa_wavefront_size32 1
		.amdhsa_uses_dynamic_stack 0
		.amdhsa_system_sgpr_private_segment_wavefront_offset 0
		.amdhsa_system_sgpr_workgroup_id_x 1
		.amdhsa_system_sgpr_workgroup_id_y 0
		.amdhsa_system_sgpr_workgroup_id_z 0
		.amdhsa_system_sgpr_workgroup_info 0
		.amdhsa_system_vgpr_workitem_id 0
		.amdhsa_next_free_vgpr 30
		.amdhsa_next_free_sgpr 22
		.amdhsa_reserve_vcc 1
		.amdhsa_reserve_flat_scratch 0
		.amdhsa_float_round_mode_32 0
		.amdhsa_float_round_mode_16_64 0
		.amdhsa_float_denorm_mode_32 3
		.amdhsa_float_denorm_mode_16_64 3
		.amdhsa_dx10_clamp 1
		.amdhsa_ieee_mode 1
		.amdhsa_fp16_overflow 0
		.amdhsa_workgroup_processor_mode 1
		.amdhsa_memory_ordered 1
		.amdhsa_forward_progress 1
		.amdhsa_shared_vgpr_count 0
		.amdhsa_exception_fp_ieee_invalid_op 0
		.amdhsa_exception_fp_denorm_src 0
		.amdhsa_exception_fp_ieee_div_zero 0
		.amdhsa_exception_fp_ieee_overflow 0
		.amdhsa_exception_fp_ieee_underflow 0
		.amdhsa_exception_fp_ieee_inexact 0
		.amdhsa_exception_int_div_zero 0
	.end_amdhsa_kernel
	.section	.text._ZN9rocsparseL32bsr2csr_block_per_row_2_7_kernelILj256ELj4E21rocsparse_complex_numIdEllEEv20rocsparse_direction_T3_S4_21rocsparse_index_base_PKT1_PKT2_PKS4_S4_S5_PS6_PS9_PS4_,"axG",@progbits,_ZN9rocsparseL32bsr2csr_block_per_row_2_7_kernelILj256ELj4E21rocsparse_complex_numIdEllEEv20rocsparse_direction_T3_S4_21rocsparse_index_base_PKT1_PKT2_PKS4_S4_S5_PS6_PS9_PS4_,comdat
.Lfunc_end302:
	.size	_ZN9rocsparseL32bsr2csr_block_per_row_2_7_kernelILj256ELj4E21rocsparse_complex_numIdEllEEv20rocsparse_direction_T3_S4_21rocsparse_index_base_PKT1_PKT2_PKS4_S4_S5_PS6_PS9_PS4_, .Lfunc_end302-_ZN9rocsparseL32bsr2csr_block_per_row_2_7_kernelILj256ELj4E21rocsparse_complex_numIdEllEEv20rocsparse_direction_T3_S4_21rocsparse_index_base_PKT1_PKT2_PKS4_S4_S5_PS6_PS9_PS4_
                                        ; -- End function
	.set _ZN9rocsparseL32bsr2csr_block_per_row_2_7_kernelILj256ELj4E21rocsparse_complex_numIdEllEEv20rocsparse_direction_T3_S4_21rocsparse_index_base_PKT1_PKT2_PKS4_S4_S5_PS6_PS9_PS4_.num_vgpr, 30
	.set _ZN9rocsparseL32bsr2csr_block_per_row_2_7_kernelILj256ELj4E21rocsparse_complex_numIdEllEEv20rocsparse_direction_T3_S4_21rocsparse_index_base_PKT1_PKT2_PKS4_S4_S5_PS6_PS9_PS4_.num_agpr, 0
	.set _ZN9rocsparseL32bsr2csr_block_per_row_2_7_kernelILj256ELj4E21rocsparse_complex_numIdEllEEv20rocsparse_direction_T3_S4_21rocsparse_index_base_PKT1_PKT2_PKS4_S4_S5_PS6_PS9_PS4_.numbered_sgpr, 22
	.set _ZN9rocsparseL32bsr2csr_block_per_row_2_7_kernelILj256ELj4E21rocsparse_complex_numIdEllEEv20rocsparse_direction_T3_S4_21rocsparse_index_base_PKT1_PKT2_PKS4_S4_S5_PS6_PS9_PS4_.num_named_barrier, 0
	.set _ZN9rocsparseL32bsr2csr_block_per_row_2_7_kernelILj256ELj4E21rocsparse_complex_numIdEllEEv20rocsparse_direction_T3_S4_21rocsparse_index_base_PKT1_PKT2_PKS4_S4_S5_PS6_PS9_PS4_.private_seg_size, 0
	.set _ZN9rocsparseL32bsr2csr_block_per_row_2_7_kernelILj256ELj4E21rocsparse_complex_numIdEllEEv20rocsparse_direction_T3_S4_21rocsparse_index_base_PKT1_PKT2_PKS4_S4_S5_PS6_PS9_PS4_.uses_vcc, 1
	.set _ZN9rocsparseL32bsr2csr_block_per_row_2_7_kernelILj256ELj4E21rocsparse_complex_numIdEllEEv20rocsparse_direction_T3_S4_21rocsparse_index_base_PKT1_PKT2_PKS4_S4_S5_PS6_PS9_PS4_.uses_flat_scratch, 0
	.set _ZN9rocsparseL32bsr2csr_block_per_row_2_7_kernelILj256ELj4E21rocsparse_complex_numIdEllEEv20rocsparse_direction_T3_S4_21rocsparse_index_base_PKT1_PKT2_PKS4_S4_S5_PS6_PS9_PS4_.has_dyn_sized_stack, 0
	.set _ZN9rocsparseL32bsr2csr_block_per_row_2_7_kernelILj256ELj4E21rocsparse_complex_numIdEllEEv20rocsparse_direction_T3_S4_21rocsparse_index_base_PKT1_PKT2_PKS4_S4_S5_PS6_PS9_PS4_.has_recursion, 0
	.set _ZN9rocsparseL32bsr2csr_block_per_row_2_7_kernelILj256ELj4E21rocsparse_complex_numIdEllEEv20rocsparse_direction_T3_S4_21rocsparse_index_base_PKT1_PKT2_PKS4_S4_S5_PS6_PS9_PS4_.has_indirect_call, 0
	.section	.AMDGPU.csdata,"",@progbits
; Kernel info:
; codeLenInByte = 1000
; TotalNumSgprs: 24
; NumVgprs: 30
; ScratchSize: 0
; MemoryBound: 0
; FloatMode: 240
; IeeeMode: 1
; LDSByteSize: 0 bytes/workgroup (compile time only)
; SGPRBlocks: 0
; VGPRBlocks: 3
; NumSGPRsForWavesPerEU: 24
; NumVGPRsForWavesPerEU: 30
; Occupancy: 16
; WaveLimiterHint : 0
; COMPUTE_PGM_RSRC2:SCRATCH_EN: 0
; COMPUTE_PGM_RSRC2:USER_SGPR: 6
; COMPUTE_PGM_RSRC2:TRAP_HANDLER: 0
; COMPUTE_PGM_RSRC2:TGID_X_EN: 1
; COMPUTE_PGM_RSRC2:TGID_Y_EN: 0
; COMPUTE_PGM_RSRC2:TGID_Z_EN: 0
; COMPUTE_PGM_RSRC2:TIDIG_COMP_CNT: 0
	.section	.text._ZN9rocsparseL32bsr2csr_block_per_row_2_7_kernelILj256ELj5E21rocsparse_complex_numIdEllEEv20rocsparse_direction_T3_S4_21rocsparse_index_base_PKT1_PKT2_PKS4_S4_S5_PS6_PS9_PS4_,"axG",@progbits,_ZN9rocsparseL32bsr2csr_block_per_row_2_7_kernelILj256ELj5E21rocsparse_complex_numIdEllEEv20rocsparse_direction_T3_S4_21rocsparse_index_base_PKT1_PKT2_PKS4_S4_S5_PS6_PS9_PS4_,comdat
	.globl	_ZN9rocsparseL32bsr2csr_block_per_row_2_7_kernelILj256ELj5E21rocsparse_complex_numIdEllEEv20rocsparse_direction_T3_S4_21rocsparse_index_base_PKT1_PKT2_PKS4_S4_S5_PS6_PS9_PS4_ ; -- Begin function _ZN9rocsparseL32bsr2csr_block_per_row_2_7_kernelILj256ELj5E21rocsparse_complex_numIdEllEEv20rocsparse_direction_T3_S4_21rocsparse_index_base_PKT1_PKT2_PKS4_S4_S5_PS6_PS9_PS4_
	.p2align	8
	.type	_ZN9rocsparseL32bsr2csr_block_per_row_2_7_kernelILj256ELj5E21rocsparse_complex_numIdEllEEv20rocsparse_direction_T3_S4_21rocsparse_index_base_PKT1_PKT2_PKS4_S4_S5_PS6_PS9_PS4_,@function
_ZN9rocsparseL32bsr2csr_block_per_row_2_7_kernelILj256ELj5E21rocsparse_complex_numIdEllEEv20rocsparse_direction_T3_S4_21rocsparse_index_base_PKT1_PKT2_PKS4_S4_S5_PS6_PS9_PS4_: ; @_ZN9rocsparseL32bsr2csr_block_per_row_2_7_kernelILj256ELj5E21rocsparse_complex_numIdEllEEv20rocsparse_direction_T3_S4_21rocsparse_index_base_PKT1_PKT2_PKS4_S4_S5_PS6_PS9_PS4_
; %bb.0:
	s_clause 0x2
	s_load_dwordx2 s[0:1], s[4:5], 0x28
	s_load_dword s8, s[4:5], 0x40
	s_load_dwordx2 s[12:13], s[4:5], 0x50
	s_mov_b32 s7, 0
	v_or_b32_e32 v1, s6, v0
	s_lshl_b64 s[2:3], s[6:7], 3
	s_waitcnt lgkmcnt(0)
	s_add_u32 s0, s0, s2
	s_addc_u32 s1, s1, s3
	s_mov_b32 s2, exec_lo
	v_cmpx_eq_u32_e32 0, v1
	s_cbranch_execz .LBB303_2
; %bb.1:
	v_mov_b32_e32 v1, s8
	v_mov_b32_e32 v2, 0
	global_store_dwordx2 v2, v[1:2], s[12:13]
.LBB303_2:
	s_or_b32 exec_lo, exec_lo, s2
	v_and_b32_e32 v4, 7, v0
	s_mov_b32 s2, exec_lo
	v_cmpx_gt_u32_e32 5, v4
	s_cbranch_execz .LBB303_6
; %bb.3:
	s_load_dwordx4 s[0:3], s[0:1], 0x0
	s_load_dword s7, s[4:5], 0x18
	v_lshrrev_b32_e32 v5, 3, v0
	s_mul_i32 s16, s6, 40
	v_lshlrev_b32_e32 v9, 3, v4
	s_waitcnt lgkmcnt(0)
	s_sub_u32 s9, s0, s7
	s_subb_u32 s14, s1, 0
	s_sub_u32 s10, s2, s7
	s_mul_hi_u32 s2, s9, 25
	s_mul_i32 s15, s14, 25
	s_subb_u32 s11, s3, 0
	s_add_i32 s2, s2, s15
	s_sub_u32 s3, s10, s9
	s_subb_u32 s17, s11, s14
	s_mul_i32 s15, s3, 5
	s_mul_hi_u32 s3, s3, 5
	v_mad_u64_u32 v[2:3], null, s15, v4, 0
	s_mul_i32 s17, s17, 5
	s_mul_i32 s18, s9, 25
	s_add_i32 s3, s3, s17
	v_mov_b32_e32 v0, v3
	v_mad_u64_u32 v[6:7], null, s3, v4, v[0:1]
	v_add_co_u32 v0, s9, s9, v5
	v_add_co_ci_u32_e64 v1, null, s14, 0, s9
	s_add_u32 s9, s15, s8
	s_addc_u32 s3, s3, 0
	s_add_u32 s9, s9, s18
	s_addc_u32 s2, s3, s2
	v_add_co_u32 v7, vcc_lo, s9, v2
	v_add_co_ci_u32_e64 v8, null, s2, v6, vcc_lo
	v_cmp_gt_i64_e32 vcc_lo, s[10:11], v[0:1]
	v_mov_b32_e32 v3, v6
	s_mul_hi_u32 s3, s6, 40
	s_add_u32 s2, s12, s16
	s_addc_u32 s3, s13, s3
	s_mov_b32 s9, 0
	global_store_dwordx2 v9, v[7:8], s[2:3] offset:8
	s_and_b32 exec_lo, exec_lo, vcc_lo
	s_cbranch_execz .LBB303_6
; %bb.4:
	v_mad_u64_u32 v[6:7], null, s0, 25, v[2:3]
	s_clause 0x1
	s_load_dwordx2 s[2:3], s[4:5], 0x48
	s_load_dwordx2 s[12:13], s[4:5], 0x20
	v_lshlrev_b32_e32 v9, 4, v4
	v_mul_hi_u32_u24_e32 v10, 0x50, v4
	v_mul_u32_u24_e32 v11, 0x50, v4
	v_mov_b32_e32 v2, v7
	v_mad_u64_u32 v[2:3], null, s1, 25, v[2:3]
	s_clause 0x2
	s_load_dwordx2 s[0:1], s[4:5], 0x30
	s_load_dword s6, s[4:5], 0x0
	s_load_dwordx2 s[4:5], s[4:5], 0x58
	v_mov_b32_e32 v7, v2
	s_waitcnt lgkmcnt(0)
	v_mad_u64_u32 v[2:3], null, 0x190, v0, s[12:13]
	s_mul_i32 s13, s7, 25
	s_mul_hi_u32 s12, s7, 25
	v_mad_u64_u32 v[5:6], null, v5, 5, v[6:7]
	v_lshlrev_b64 v[7:8], 3, v[0:1]
	v_mad_u64_u32 v[12:13], null, 0x190, v1, v[3:4]
	v_sub_co_u32 v5, vcc_lo, v5, s13
	v_subrev_co_ci_u32_e64 v6, null, s12, v6, vcc_lo
	v_add_co_u32 v3, vcc_lo, s0, v7
	v_add_co_ci_u32_e64 v4, null, s1, v8, vcc_lo
	v_lshlrev_b64 v[13:14], 4, v[5:6]
	v_lshlrev_b64 v[5:6], 3, v[5:6]
	s_cmp_eq_u32 s6, 0
	v_add_co_u32 v7, vcc_lo, s2, v13
	v_add_co_ci_u32_e64 v8, null, s3, v14, vcc_lo
	v_add_co_u32 v13, vcc_lo, s4, v5
	v_add_co_ci_u32_e64 v14, null, s5, v6, vcc_lo
	;; [unrolled: 2-line block ×4, first 2 shown]
	s_cselect_b32 vcc_lo, -1, 0
	s_mov_b32 s5, s9
.LBB303_5:                              ; =>This Inner Loop Header: Depth=1
	v_add_co_u32 v15, s0, v2, v9
	v_add_co_ci_u32_e64 v16, null, 0, v12, s0
	v_add_co_u32 v17, s0, v2, v11
	v_add_co_ci_u32_e64 v18, null, v12, v10, s0
	global_load_dwordx2 v[33:34], v[3:4], off
	v_add_co_u32 v19, s0, v17, 16
	v_add_co_ci_u32_e64 v20, null, 0, v18, s0
	v_add_co_u32 v21, s0, 0x50, v15
	v_add_co_ci_u32_e64 v22, null, 0, v16, s0
	;; [unrolled: 2-line block ×5, first 2 shown]
	v_add_co_u32 v29, s0, 0xf0, v15
	v_cndmask_b32_e32 v14, v16, v18, vcc_lo
	v_cndmask_b32_e32 v13, v15, v17, vcc_lo
	v_add_co_ci_u32_e64 v30, null, 0, v16, s0
	v_add_co_u32 v31, s0, v17, 64
	v_add_co_ci_u32_e64 v32, null, 0, v18, s0
	v_add_co_u32 v35, s0, 0x140, v15
	v_add_co_ci_u32_e64 v36, null, 0, v16, s0
	global_load_dwordx4 v[13:16], v[13:14], off
	v_cndmask_b32_e32 v18, v22, v20, vcc_lo
	v_cndmask_b32_e32 v17, v21, v19, vcc_lo
	;; [unrolled: 1-line block ×8, first 2 shown]
	global_load_dwordx4 v[17:20], v[17:18], off
	global_load_dwordx4 v[21:24], v[21:22], off
	;; [unrolled: 1-line block ×4, first 2 shown]
	v_add_co_u32 v0, s0, v0, 32
	v_add_co_ci_u32_e64 v1, null, 0, v1, s0
	v_add_co_u32 v3, s0, 0x100, v3
	v_add_co_ci_u32_e64 v4, null, 0, v4, s0
	;; [unrolled: 2-line block ×3, first 2 shown]
	v_cmp_le_i64_e64 s0, s[10:11], v[0:1]
	s_or_b32 s5, s0, s5
	s_waitcnt vmcnt(5)
	v_sub_co_u32 v33, s1, v33, s7
	v_subrev_co_ci_u32_e64 v35, null, 0, v34, s1
	v_mad_u64_u32 v[33:34], null, v33, 5, s[8:9]
	s_waitcnt vmcnt(4)
	global_store_dwordx4 v[5:6], v[13:16], off offset:-32
	v_mov_b32_e32 v13, v34
	s_waitcnt vmcnt(3)
	global_store_dwordx4 v[5:6], v[17:20], off offset:-16
	s_waitcnt vmcnt(2)
	global_store_dwordx4 v[5:6], v[21:24], off
	s_waitcnt vmcnt(1)
	global_store_dwordx4 v[5:6], v[25:28], off offset:16
	s_waitcnt vmcnt(0)
	global_store_dwordx4 v[5:6], v[29:32], off offset:32
	v_mad_u64_u32 v[34:35], null, v35, 5, v[13:14]
	v_add_co_u32 v5, s1, 0xa00, v5
	v_add_co_u32 v35, s4, v33, 1
	v_add_co_ci_u32_e64 v6, null, 0, v6, s1
	v_add_co_u32 v13, s1, v33, 2
	v_add_co_u32 v15, s2, v33, 3
	;; [unrolled: 1-line block ×3, first 2 shown]
	v_add_co_ci_u32_e64 v36, null, 0, v34, s4
	v_add_co_ci_u32_e64 v14, null, 0, v34, s1
	;; [unrolled: 1-line block ×4, first 2 shown]
	global_store_dwordx4 v[7:8], v[33:36], off offset:-16
	global_store_dwordx4 v[7:8], v[13:16], off
	global_store_dwordx2 v[7:8], v[17:18], off offset:16
	v_add_co_u32 v7, s1, 0x500, v7
	v_add_co_ci_u32_e64 v8, null, 0, v8, s1
	s_andn2_b32 exec_lo, exec_lo, s5
	s_cbranch_execnz .LBB303_5
.LBB303_6:
	s_endpgm
	.section	.rodata,"a",@progbits
	.p2align	6, 0x0
	.amdhsa_kernel _ZN9rocsparseL32bsr2csr_block_per_row_2_7_kernelILj256ELj5E21rocsparse_complex_numIdEllEEv20rocsparse_direction_T3_S4_21rocsparse_index_base_PKT1_PKT2_PKS4_S4_S5_PS6_PS9_PS4_
		.amdhsa_group_segment_fixed_size 0
		.amdhsa_private_segment_fixed_size 0
		.amdhsa_kernarg_size 96
		.amdhsa_user_sgpr_count 6
		.amdhsa_user_sgpr_private_segment_buffer 1
		.amdhsa_user_sgpr_dispatch_ptr 0
		.amdhsa_user_sgpr_queue_ptr 0
		.amdhsa_user_sgpr_kernarg_segment_ptr 1
		.amdhsa_user_sgpr_dispatch_id 0
		.amdhsa_user_sgpr_flat_scratch_init 0
		.amdhsa_user_sgpr_private_segment_size 0
		.amdhsa_wavefront_size32 1
		.amdhsa_uses_dynamic_stack 0
		.amdhsa_system_sgpr_private_segment_wavefront_offset 0
		.amdhsa_system_sgpr_workgroup_id_x 1
		.amdhsa_system_sgpr_workgroup_id_y 0
		.amdhsa_system_sgpr_workgroup_id_z 0
		.amdhsa_system_sgpr_workgroup_info 0
		.amdhsa_system_vgpr_workitem_id 0
		.amdhsa_next_free_vgpr 37
		.amdhsa_next_free_sgpr 19
		.amdhsa_reserve_vcc 1
		.amdhsa_reserve_flat_scratch 0
		.amdhsa_float_round_mode_32 0
		.amdhsa_float_round_mode_16_64 0
		.amdhsa_float_denorm_mode_32 3
		.amdhsa_float_denorm_mode_16_64 3
		.amdhsa_dx10_clamp 1
		.amdhsa_ieee_mode 1
		.amdhsa_fp16_overflow 0
		.amdhsa_workgroup_processor_mode 1
		.amdhsa_memory_ordered 1
		.amdhsa_forward_progress 1
		.amdhsa_shared_vgpr_count 0
		.amdhsa_exception_fp_ieee_invalid_op 0
		.amdhsa_exception_fp_denorm_src 0
		.amdhsa_exception_fp_ieee_div_zero 0
		.amdhsa_exception_fp_ieee_overflow 0
		.amdhsa_exception_fp_ieee_underflow 0
		.amdhsa_exception_fp_ieee_inexact 0
		.amdhsa_exception_int_div_zero 0
	.end_amdhsa_kernel
	.section	.text._ZN9rocsparseL32bsr2csr_block_per_row_2_7_kernelILj256ELj5E21rocsparse_complex_numIdEllEEv20rocsparse_direction_T3_S4_21rocsparse_index_base_PKT1_PKT2_PKS4_S4_S5_PS6_PS9_PS4_,"axG",@progbits,_ZN9rocsparseL32bsr2csr_block_per_row_2_7_kernelILj256ELj5E21rocsparse_complex_numIdEllEEv20rocsparse_direction_T3_S4_21rocsparse_index_base_PKT1_PKT2_PKS4_S4_S5_PS6_PS9_PS4_,comdat
.Lfunc_end303:
	.size	_ZN9rocsparseL32bsr2csr_block_per_row_2_7_kernelILj256ELj5E21rocsparse_complex_numIdEllEEv20rocsparse_direction_T3_S4_21rocsparse_index_base_PKT1_PKT2_PKS4_S4_S5_PS6_PS9_PS4_, .Lfunc_end303-_ZN9rocsparseL32bsr2csr_block_per_row_2_7_kernelILj256ELj5E21rocsparse_complex_numIdEllEEv20rocsparse_direction_T3_S4_21rocsparse_index_base_PKT1_PKT2_PKS4_S4_S5_PS6_PS9_PS4_
                                        ; -- End function
	.set _ZN9rocsparseL32bsr2csr_block_per_row_2_7_kernelILj256ELj5E21rocsparse_complex_numIdEllEEv20rocsparse_direction_T3_S4_21rocsparse_index_base_PKT1_PKT2_PKS4_S4_S5_PS6_PS9_PS4_.num_vgpr, 37
	.set _ZN9rocsparseL32bsr2csr_block_per_row_2_7_kernelILj256ELj5E21rocsparse_complex_numIdEllEEv20rocsparse_direction_T3_S4_21rocsparse_index_base_PKT1_PKT2_PKS4_S4_S5_PS6_PS9_PS4_.num_agpr, 0
	.set _ZN9rocsparseL32bsr2csr_block_per_row_2_7_kernelILj256ELj5E21rocsparse_complex_numIdEllEEv20rocsparse_direction_T3_S4_21rocsparse_index_base_PKT1_PKT2_PKS4_S4_S5_PS6_PS9_PS4_.numbered_sgpr, 19
	.set _ZN9rocsparseL32bsr2csr_block_per_row_2_7_kernelILj256ELj5E21rocsparse_complex_numIdEllEEv20rocsparse_direction_T3_S4_21rocsparse_index_base_PKT1_PKT2_PKS4_S4_S5_PS6_PS9_PS4_.num_named_barrier, 0
	.set _ZN9rocsparseL32bsr2csr_block_per_row_2_7_kernelILj256ELj5E21rocsparse_complex_numIdEllEEv20rocsparse_direction_T3_S4_21rocsparse_index_base_PKT1_PKT2_PKS4_S4_S5_PS6_PS9_PS4_.private_seg_size, 0
	.set _ZN9rocsparseL32bsr2csr_block_per_row_2_7_kernelILj256ELj5E21rocsparse_complex_numIdEllEEv20rocsparse_direction_T3_S4_21rocsparse_index_base_PKT1_PKT2_PKS4_S4_S5_PS6_PS9_PS4_.uses_vcc, 1
	.set _ZN9rocsparseL32bsr2csr_block_per_row_2_7_kernelILj256ELj5E21rocsparse_complex_numIdEllEEv20rocsparse_direction_T3_S4_21rocsparse_index_base_PKT1_PKT2_PKS4_S4_S5_PS6_PS9_PS4_.uses_flat_scratch, 0
	.set _ZN9rocsparseL32bsr2csr_block_per_row_2_7_kernelILj256ELj5E21rocsparse_complex_numIdEllEEv20rocsparse_direction_T3_S4_21rocsparse_index_base_PKT1_PKT2_PKS4_S4_S5_PS6_PS9_PS4_.has_dyn_sized_stack, 0
	.set _ZN9rocsparseL32bsr2csr_block_per_row_2_7_kernelILj256ELj5E21rocsparse_complex_numIdEllEEv20rocsparse_direction_T3_S4_21rocsparse_index_base_PKT1_PKT2_PKS4_S4_S5_PS6_PS9_PS4_.has_recursion, 0
	.set _ZN9rocsparseL32bsr2csr_block_per_row_2_7_kernelILj256ELj5E21rocsparse_complex_numIdEllEEv20rocsparse_direction_T3_S4_21rocsparse_index_base_PKT1_PKT2_PKS4_S4_S5_PS6_PS9_PS4_.has_indirect_call, 0
	.section	.AMDGPU.csdata,"",@progbits
; Kernel info:
; codeLenInByte = 1136
; TotalNumSgprs: 21
; NumVgprs: 37
; ScratchSize: 0
; MemoryBound: 0
; FloatMode: 240
; IeeeMode: 1
; LDSByteSize: 0 bytes/workgroup (compile time only)
; SGPRBlocks: 0
; VGPRBlocks: 4
; NumSGPRsForWavesPerEU: 21
; NumVGPRsForWavesPerEU: 37
; Occupancy: 16
; WaveLimiterHint : 0
; COMPUTE_PGM_RSRC2:SCRATCH_EN: 0
; COMPUTE_PGM_RSRC2:USER_SGPR: 6
; COMPUTE_PGM_RSRC2:TRAP_HANDLER: 0
; COMPUTE_PGM_RSRC2:TGID_X_EN: 1
; COMPUTE_PGM_RSRC2:TGID_Y_EN: 0
; COMPUTE_PGM_RSRC2:TGID_Z_EN: 0
; COMPUTE_PGM_RSRC2:TIDIG_COMP_CNT: 0
	.section	.text._ZN9rocsparseL32bsr2csr_block_per_row_2_7_kernelILj256ELj6E21rocsparse_complex_numIdEllEEv20rocsparse_direction_T3_S4_21rocsparse_index_base_PKT1_PKT2_PKS4_S4_S5_PS6_PS9_PS4_,"axG",@progbits,_ZN9rocsparseL32bsr2csr_block_per_row_2_7_kernelILj256ELj6E21rocsparse_complex_numIdEllEEv20rocsparse_direction_T3_S4_21rocsparse_index_base_PKT1_PKT2_PKS4_S4_S5_PS6_PS9_PS4_,comdat
	.globl	_ZN9rocsparseL32bsr2csr_block_per_row_2_7_kernelILj256ELj6E21rocsparse_complex_numIdEllEEv20rocsparse_direction_T3_S4_21rocsparse_index_base_PKT1_PKT2_PKS4_S4_S5_PS6_PS9_PS4_ ; -- Begin function _ZN9rocsparseL32bsr2csr_block_per_row_2_7_kernelILj256ELj6E21rocsparse_complex_numIdEllEEv20rocsparse_direction_T3_S4_21rocsparse_index_base_PKT1_PKT2_PKS4_S4_S5_PS6_PS9_PS4_
	.p2align	8
	.type	_ZN9rocsparseL32bsr2csr_block_per_row_2_7_kernelILj256ELj6E21rocsparse_complex_numIdEllEEv20rocsparse_direction_T3_S4_21rocsparse_index_base_PKT1_PKT2_PKS4_S4_S5_PS6_PS9_PS4_,@function
_ZN9rocsparseL32bsr2csr_block_per_row_2_7_kernelILj256ELj6E21rocsparse_complex_numIdEllEEv20rocsparse_direction_T3_S4_21rocsparse_index_base_PKT1_PKT2_PKS4_S4_S5_PS6_PS9_PS4_: ; @_ZN9rocsparseL32bsr2csr_block_per_row_2_7_kernelILj256ELj6E21rocsparse_complex_numIdEllEEv20rocsparse_direction_T3_S4_21rocsparse_index_base_PKT1_PKT2_PKS4_S4_S5_PS6_PS9_PS4_
; %bb.0:
	s_clause 0x2
	s_load_dwordx2 s[0:1], s[4:5], 0x28
	s_load_dword s8, s[4:5], 0x40
	s_load_dwordx2 s[12:13], s[4:5], 0x50
	s_mov_b32 s7, 0
	v_or_b32_e32 v1, s6, v0
	s_lshl_b64 s[2:3], s[6:7], 3
	s_waitcnt lgkmcnt(0)
	s_add_u32 s0, s0, s2
	s_addc_u32 s1, s1, s3
	s_mov_b32 s2, exec_lo
	v_cmpx_eq_u32_e32 0, v1
	s_cbranch_execz .LBB304_2
; %bb.1:
	v_mov_b32_e32 v1, s8
	v_mov_b32_e32 v2, 0
	global_store_dwordx2 v2, v[1:2], s[12:13]
.LBB304_2:
	s_or_b32 exec_lo, exec_lo, s2
	v_and_b32_e32 v6, 7, v0
	s_mov_b32 s2, exec_lo
	v_cmpx_gt_u32_e32 6, v6
	s_cbranch_execz .LBB304_6
; %bb.3:
	s_load_dwordx4 s[0:3], s[0:1], 0x0
	s_load_dword s7, s[4:5], 0x18
	v_lshrrev_b32_e32 v7, 3, v0
	v_mov_b32_e32 v3, 0
	s_mul_i32 s16, s6, 48
	v_lshlrev_b32_e32 v2, 3, v6
	s_waitcnt lgkmcnt(0)
	s_sub_u32 s9, s0, s7
	s_subb_u32 s14, s1, 0
	s_sub_u32 s10, s2, s7
	s_mul_hi_u32 s2, s9, 36
	s_mul_i32 s15, s14, 36
	s_subb_u32 s11, s3, 0
	s_add_i32 s2, s2, s15
	s_sub_u32 s3, s10, s9
	s_subb_u32 s17, s11, s14
	s_mul_i32 s15, s3, 6
	s_mul_hi_u32 s3, s3, 6
	v_mad_u64_u32 v[4:5], null, s15, v6, 0
	s_mul_i32 s17, s17, 6
	s_mul_i32 s18, s9, 36
	s_add_i32 s3, s3, s17
	v_mov_b32_e32 v0, v5
	v_mad_u64_u32 v[8:9], null, s3, v6, v[0:1]
	v_add_co_u32 v0, s9, s9, v7
	v_add_co_ci_u32_e64 v1, null, s14, 0, s9
	s_add_u32 s9, s15, s8
	s_addc_u32 s3, s3, 0
	s_add_u32 s9, s9, s18
	s_addc_u32 s2, s3, s2
	v_add_co_u32 v9, vcc_lo, s9, v4
	v_add_co_ci_u32_e64 v10, null, s2, v8, vcc_lo
	v_cmp_gt_i64_e32 vcc_lo, s[10:11], v[0:1]
	v_mov_b32_e32 v5, v8
	s_mul_hi_u32 s3, s6, 48
	s_add_u32 s2, s12, s16
	s_addc_u32 s3, s13, s3
	s_mov_b32 s9, 0
	global_store_dwordx2 v2, v[9:10], s[2:3] offset:8
	s_and_b32 exec_lo, exec_lo, vcc_lo
	s_cbranch_execz .LBB304_6
; %bb.4:
	v_mad_u64_u32 v[4:5], null, s0, 36, v[4:5]
	v_lshlrev_b32_e32 v2, 4, v6
	s_clause 0x2
	s_load_dwordx2 s[2:3], s[4:5], 0x30
	s_load_dwordx2 s[12:13], s[4:5], 0x48
	s_load_dword s6, s[4:5], 0x0
	s_mul_i32 s15, s7, 36
	s_mul_hi_u32 s14, s7, 36
	v_mad_u64_u32 v[10:11], null, 0x240, v0, v[2:3]
	v_mad_u64_u32 v[8:9], null, s1, 36, v[5:6]
	s_clause 0x1
	s_load_dwordx2 s[0:1], s[4:5], 0x20
	s_load_dwordx2 s[4:5], s[4:5], 0x58
	v_mul_u32_u24_e32 v9, 0x50, v6
	v_mov_b32_e32 v2, v11
	v_mov_b32_e32 v5, v8
	v_mul_hi_u32_u24_e32 v8, 0x50, v6
	v_mad_u64_u32 v[3:4], null, v7, 6, v[4:5]
	v_lshlrev_b64 v[5:6], 3, v[0:1]
	s_waitcnt lgkmcnt(0)
	s_cmp_eq_u32 s6, 0
	s_mov_b32 s6, s9
	v_mad_u64_u32 v[11:12], null, 0x240, v1, v[2:3]
	v_sub_co_u32 v12, vcc_lo, v3, s15
	v_subrev_co_ci_u32_e64 v13, null, s14, v4, vcc_lo
	v_add_co_u32 v2, vcc_lo, s2, v5
	v_add_co_ci_u32_e64 v3, null, s3, v6, vcc_lo
	v_lshlrev_b64 v[4:5], 4, v[12:13]
	v_lshlrev_b64 v[6:7], 3, v[12:13]
	v_add_co_u32 v10, vcc_lo, s0, v10
	v_add_co_ci_u32_e64 v11, null, s1, v11, vcc_lo
	v_add_co_u32 v4, vcc_lo, s12, v4
	v_add_co_ci_u32_e64 v5, null, s13, v5, vcc_lo
	v_add_co_u32 v6, vcc_lo, s4, v6
	v_add_co_ci_u32_e64 v7, null, s5, v7, vcc_lo
	v_add_co_u32 v4, vcc_lo, v4, 48
	v_add_co_ci_u32_e64 v5, null, 0, v5, vcc_lo
	v_add_co_u32 v6, vcc_lo, v6, 24
	v_add_co_ci_u32_e64 v7, null, 0, v7, vcc_lo
	s_cselect_b32 vcc_lo, -1, 0
.LBB304_5:                              ; =>This Inner Loop Header: Depth=1
	v_add_co_u32 v14, s0, v10, v9
	v_add_co_ci_u32_e64 v15, null, v11, v8, s0
	v_add_co_u32 v16, s0, 0x60, v10
	v_add_co_ci_u32_e64 v17, null, 0, v11, s0
	;; [unrolled: 2-line block ×4, first 2 shown]
	v_add_co_u32 v26, s0, 0x180, v10
	global_load_dwordx2 v[36:37], v[2:3], off
	v_add_co_ci_u32_e64 v27, null, 0, v11, s0
	v_add_co_u32 v30, s0, 0x1e0, v10
	v_add_co_ci_u32_e64 v31, null, 0, v11, s0
	v_add_co_u32 v20, s0, v14, 16
	v_add_co_ci_u32_e64 v21, null, 0, v15, s0
	v_add_co_u32 v24, s0, v14, 32
	v_add_co_ci_u32_e64 v25, null, 0, v15, s0
	v_add_co_u32 v28, s0, v14, 48
	v_cndmask_b32_e32 v13, v11, v15, vcc_lo
	v_cndmask_b32_e32 v12, v10, v14, vcc_lo
	v_add_co_ci_u32_e64 v29, null, 0, v15, s0
	v_add_co_u32 v32, s0, v14, 64
	v_add_co_ci_u32_e64 v33, null, 0, v15, s0
	v_add_co_u32 v34, s0, 0x50, v14
	v_add_co_ci_u32_e64 v35, null, 0, v15, s0
	global_load_dwordx4 v[12:15], v[12:13], off
	v_cndmask_b32_e32 v17, v17, v21, vcc_lo
	v_cndmask_b32_e32 v16, v16, v20, vcc_lo
	;; [unrolled: 1-line block ×10, first 2 shown]
	global_load_dwordx4 v[16:19], v[16:17], off
	global_load_dwordx4 v[20:23], v[20:21], off
	;; [unrolled: 1-line block ×5, first 2 shown]
	v_add_co_u32 v0, s0, v0, 32
	v_add_co_ci_u32_e64 v1, null, 0, v1, s0
	v_add_co_u32 v2, s0, 0x100, v2
	v_add_co_ci_u32_e64 v3, null, 0, v3, s0
	;; [unrolled: 2-line block ×3, first 2 shown]
	v_cmp_le_i64_e64 s0, s[10:11], v[0:1]
	s_or_b32 s6, s0, s6
	s_waitcnt vmcnt(6)
	v_sub_co_u32 v36, s1, v36, s7
	v_subrev_co_ci_u32_e64 v38, null, 0, v37, s1
	v_mad_u64_u32 v[36:37], null, v36, 6, s[8:9]
	s_waitcnt vmcnt(5)
	global_store_dwordx4 v[4:5], v[12:15], off offset:-48
	v_mov_b32_e32 v12, v37
	s_waitcnt vmcnt(4)
	global_store_dwordx4 v[4:5], v[16:19], off offset:-32
	s_waitcnt vmcnt(3)
	global_store_dwordx4 v[4:5], v[20:23], off offset:-16
	s_waitcnt vmcnt(2)
	global_store_dwordx4 v[4:5], v[24:27], off
	s_waitcnt vmcnt(1)
	global_store_dwordx4 v[4:5], v[28:31], off offset:16
	s_waitcnt vmcnt(0)
	global_store_dwordx4 v[4:5], v[32:35], off offset:32
	v_mad_u64_u32 v[37:38], null, v38, 6, v[12:13]
	v_add_co_u32 v4, s1, 0xc00, v4
	v_add_co_u32 v38, s5, v36, 1
	v_add_co_ci_u32_e64 v5, null, 0, v5, s1
	v_add_co_u32 v12, s1, v36, 2
	v_add_co_u32 v14, s2, v36, 3
	;; [unrolled: 1-line block ×4, first 2 shown]
	v_add_co_ci_u32_e64 v39, null, 0, v37, s5
	v_add_co_ci_u32_e64 v13, null, 0, v37, s1
	;; [unrolled: 1-line block ×5, first 2 shown]
	global_store_dwordx4 v[6:7], v[36:39], off offset:-24
	global_store_dwordx4 v[6:7], v[12:15], off offset:-8
	global_store_dwordx4 v[6:7], v[16:19], off offset:8
	v_add_co_u32 v6, s1, 0x600, v6
	v_add_co_ci_u32_e64 v7, null, 0, v7, s1
	s_andn2_b32 exec_lo, exec_lo, s6
	s_cbranch_execnz .LBB304_5
.LBB304_6:
	s_endpgm
	.section	.rodata,"a",@progbits
	.p2align	6, 0x0
	.amdhsa_kernel _ZN9rocsparseL32bsr2csr_block_per_row_2_7_kernelILj256ELj6E21rocsparse_complex_numIdEllEEv20rocsparse_direction_T3_S4_21rocsparse_index_base_PKT1_PKT2_PKS4_S4_S5_PS6_PS9_PS4_
		.amdhsa_group_segment_fixed_size 0
		.amdhsa_private_segment_fixed_size 0
		.amdhsa_kernarg_size 96
		.amdhsa_user_sgpr_count 6
		.amdhsa_user_sgpr_private_segment_buffer 1
		.amdhsa_user_sgpr_dispatch_ptr 0
		.amdhsa_user_sgpr_queue_ptr 0
		.amdhsa_user_sgpr_kernarg_segment_ptr 1
		.amdhsa_user_sgpr_dispatch_id 0
		.amdhsa_user_sgpr_flat_scratch_init 0
		.amdhsa_user_sgpr_private_segment_size 0
		.amdhsa_wavefront_size32 1
		.amdhsa_uses_dynamic_stack 0
		.amdhsa_system_sgpr_private_segment_wavefront_offset 0
		.amdhsa_system_sgpr_workgroup_id_x 1
		.amdhsa_system_sgpr_workgroup_id_y 0
		.amdhsa_system_sgpr_workgroup_id_z 0
		.amdhsa_system_sgpr_workgroup_info 0
		.amdhsa_system_vgpr_workitem_id 0
		.amdhsa_next_free_vgpr 40
		.amdhsa_next_free_sgpr 19
		.amdhsa_reserve_vcc 1
		.amdhsa_reserve_flat_scratch 0
		.amdhsa_float_round_mode_32 0
		.amdhsa_float_round_mode_16_64 0
		.amdhsa_float_denorm_mode_32 3
		.amdhsa_float_denorm_mode_16_64 3
		.amdhsa_dx10_clamp 1
		.amdhsa_ieee_mode 1
		.amdhsa_fp16_overflow 0
		.amdhsa_workgroup_processor_mode 1
		.amdhsa_memory_ordered 1
		.amdhsa_forward_progress 1
		.amdhsa_shared_vgpr_count 0
		.amdhsa_exception_fp_ieee_invalid_op 0
		.amdhsa_exception_fp_denorm_src 0
		.amdhsa_exception_fp_ieee_div_zero 0
		.amdhsa_exception_fp_ieee_overflow 0
		.amdhsa_exception_fp_ieee_underflow 0
		.amdhsa_exception_fp_ieee_inexact 0
		.amdhsa_exception_int_div_zero 0
	.end_amdhsa_kernel
	.section	.text._ZN9rocsparseL32bsr2csr_block_per_row_2_7_kernelILj256ELj6E21rocsparse_complex_numIdEllEEv20rocsparse_direction_T3_S4_21rocsparse_index_base_PKT1_PKT2_PKS4_S4_S5_PS6_PS9_PS4_,"axG",@progbits,_ZN9rocsparseL32bsr2csr_block_per_row_2_7_kernelILj256ELj6E21rocsparse_complex_numIdEllEEv20rocsparse_direction_T3_S4_21rocsparse_index_base_PKT1_PKT2_PKS4_S4_S5_PS6_PS9_PS4_,comdat
.Lfunc_end304:
	.size	_ZN9rocsparseL32bsr2csr_block_per_row_2_7_kernelILj256ELj6E21rocsparse_complex_numIdEllEEv20rocsparse_direction_T3_S4_21rocsparse_index_base_PKT1_PKT2_PKS4_S4_S5_PS6_PS9_PS4_, .Lfunc_end304-_ZN9rocsparseL32bsr2csr_block_per_row_2_7_kernelILj256ELj6E21rocsparse_complex_numIdEllEEv20rocsparse_direction_T3_S4_21rocsparse_index_base_PKT1_PKT2_PKS4_S4_S5_PS6_PS9_PS4_
                                        ; -- End function
	.set _ZN9rocsparseL32bsr2csr_block_per_row_2_7_kernelILj256ELj6E21rocsparse_complex_numIdEllEEv20rocsparse_direction_T3_S4_21rocsparse_index_base_PKT1_PKT2_PKS4_S4_S5_PS6_PS9_PS4_.num_vgpr, 40
	.set _ZN9rocsparseL32bsr2csr_block_per_row_2_7_kernelILj256ELj6E21rocsparse_complex_numIdEllEEv20rocsparse_direction_T3_S4_21rocsparse_index_base_PKT1_PKT2_PKS4_S4_S5_PS6_PS9_PS4_.num_agpr, 0
	.set _ZN9rocsparseL32bsr2csr_block_per_row_2_7_kernelILj256ELj6E21rocsparse_complex_numIdEllEEv20rocsparse_direction_T3_S4_21rocsparse_index_base_PKT1_PKT2_PKS4_S4_S5_PS6_PS9_PS4_.numbered_sgpr, 19
	.set _ZN9rocsparseL32bsr2csr_block_per_row_2_7_kernelILj256ELj6E21rocsparse_complex_numIdEllEEv20rocsparse_direction_T3_S4_21rocsparse_index_base_PKT1_PKT2_PKS4_S4_S5_PS6_PS9_PS4_.num_named_barrier, 0
	.set _ZN9rocsparseL32bsr2csr_block_per_row_2_7_kernelILj256ELj6E21rocsparse_complex_numIdEllEEv20rocsparse_direction_T3_S4_21rocsparse_index_base_PKT1_PKT2_PKS4_S4_S5_PS6_PS9_PS4_.private_seg_size, 0
	.set _ZN9rocsparseL32bsr2csr_block_per_row_2_7_kernelILj256ELj6E21rocsparse_complex_numIdEllEEv20rocsparse_direction_T3_S4_21rocsparse_index_base_PKT1_PKT2_PKS4_S4_S5_PS6_PS9_PS4_.uses_vcc, 1
	.set _ZN9rocsparseL32bsr2csr_block_per_row_2_7_kernelILj256ELj6E21rocsparse_complex_numIdEllEEv20rocsparse_direction_T3_S4_21rocsparse_index_base_PKT1_PKT2_PKS4_S4_S5_PS6_PS9_PS4_.uses_flat_scratch, 0
	.set _ZN9rocsparseL32bsr2csr_block_per_row_2_7_kernelILj256ELj6E21rocsparse_complex_numIdEllEEv20rocsparse_direction_T3_S4_21rocsparse_index_base_PKT1_PKT2_PKS4_S4_S5_PS6_PS9_PS4_.has_dyn_sized_stack, 0
	.set _ZN9rocsparseL32bsr2csr_block_per_row_2_7_kernelILj256ELj6E21rocsparse_complex_numIdEllEEv20rocsparse_direction_T3_S4_21rocsparse_index_base_PKT1_PKT2_PKS4_S4_S5_PS6_PS9_PS4_.has_recursion, 0
	.set _ZN9rocsparseL32bsr2csr_block_per_row_2_7_kernelILj256ELj6E21rocsparse_complex_numIdEllEEv20rocsparse_direction_T3_S4_21rocsparse_index_base_PKT1_PKT2_PKS4_S4_S5_PS6_PS9_PS4_.has_indirect_call, 0
	.section	.AMDGPU.csdata,"",@progbits
; Kernel info:
; codeLenInByte = 1224
; TotalNumSgprs: 21
; NumVgprs: 40
; ScratchSize: 0
; MemoryBound: 0
; FloatMode: 240
; IeeeMode: 1
; LDSByteSize: 0 bytes/workgroup (compile time only)
; SGPRBlocks: 0
; VGPRBlocks: 4
; NumSGPRsForWavesPerEU: 21
; NumVGPRsForWavesPerEU: 40
; Occupancy: 16
; WaveLimiterHint : 0
; COMPUTE_PGM_RSRC2:SCRATCH_EN: 0
; COMPUTE_PGM_RSRC2:USER_SGPR: 6
; COMPUTE_PGM_RSRC2:TRAP_HANDLER: 0
; COMPUTE_PGM_RSRC2:TGID_X_EN: 1
; COMPUTE_PGM_RSRC2:TGID_Y_EN: 0
; COMPUTE_PGM_RSRC2:TGID_Z_EN: 0
; COMPUTE_PGM_RSRC2:TIDIG_COMP_CNT: 0
	.section	.text._ZN9rocsparseL32bsr2csr_block_per_row_2_7_kernelILj256ELj7E21rocsparse_complex_numIdEllEEv20rocsparse_direction_T3_S4_21rocsparse_index_base_PKT1_PKT2_PKS4_S4_S5_PS6_PS9_PS4_,"axG",@progbits,_ZN9rocsparseL32bsr2csr_block_per_row_2_7_kernelILj256ELj7E21rocsparse_complex_numIdEllEEv20rocsparse_direction_T3_S4_21rocsparse_index_base_PKT1_PKT2_PKS4_S4_S5_PS6_PS9_PS4_,comdat
	.globl	_ZN9rocsparseL32bsr2csr_block_per_row_2_7_kernelILj256ELj7E21rocsparse_complex_numIdEllEEv20rocsparse_direction_T3_S4_21rocsparse_index_base_PKT1_PKT2_PKS4_S4_S5_PS6_PS9_PS4_ ; -- Begin function _ZN9rocsparseL32bsr2csr_block_per_row_2_7_kernelILj256ELj7E21rocsparse_complex_numIdEllEEv20rocsparse_direction_T3_S4_21rocsparse_index_base_PKT1_PKT2_PKS4_S4_S5_PS6_PS9_PS4_
	.p2align	8
	.type	_ZN9rocsparseL32bsr2csr_block_per_row_2_7_kernelILj256ELj7E21rocsparse_complex_numIdEllEEv20rocsparse_direction_T3_S4_21rocsparse_index_base_PKT1_PKT2_PKS4_S4_S5_PS6_PS9_PS4_,@function
_ZN9rocsparseL32bsr2csr_block_per_row_2_7_kernelILj256ELj7E21rocsparse_complex_numIdEllEEv20rocsparse_direction_T3_S4_21rocsparse_index_base_PKT1_PKT2_PKS4_S4_S5_PS6_PS9_PS4_: ; @_ZN9rocsparseL32bsr2csr_block_per_row_2_7_kernelILj256ELj7E21rocsparse_complex_numIdEllEEv20rocsparse_direction_T3_S4_21rocsparse_index_base_PKT1_PKT2_PKS4_S4_S5_PS6_PS9_PS4_
; %bb.0:
	s_clause 0x2
	s_load_dwordx2 s[0:1], s[4:5], 0x28
	s_load_dword s8, s[4:5], 0x40
	s_load_dwordx2 s[12:13], s[4:5], 0x50
	s_mov_b32 s7, 0
	v_or_b32_e32 v1, s6, v0
	s_lshl_b64 s[2:3], s[6:7], 3
	s_waitcnt lgkmcnt(0)
	s_add_u32 s0, s0, s2
	s_addc_u32 s1, s1, s3
	s_mov_b32 s2, exec_lo
	v_cmpx_eq_u32_e32 0, v1
	s_cbranch_execz .LBB305_2
; %bb.1:
	v_mov_b32_e32 v1, s8
	v_mov_b32_e32 v2, 0
	global_store_dwordx2 v2, v[1:2], s[12:13]
.LBB305_2:
	s_or_b32 exec_lo, exec_lo, s2
	v_and_b32_e32 v6, 7, v0
	s_mov_b32 s2, exec_lo
	v_cmpx_ne_u32_e32 7, v6
	s_cbranch_execz .LBB305_6
; %bb.3:
	s_load_dwordx4 s[0:3], s[0:1], 0x0
	s_load_dword s7, s[4:5], 0x18
	v_lshrrev_b32_e32 v7, 3, v0
	v_mov_b32_e32 v3, 0
	s_mul_i32 s16, s6, 56
	v_lshlrev_b32_e32 v2, 3, v6
	s_waitcnt lgkmcnt(0)
	s_sub_u32 s9, s0, s7
	s_subb_u32 s14, s1, 0
	s_sub_u32 s10, s2, s7
	s_mul_hi_u32 s2, s9, 49
	s_mul_i32 s15, s14, 49
	s_subb_u32 s11, s3, 0
	s_add_i32 s2, s2, s15
	s_sub_u32 s3, s10, s9
	s_subb_u32 s17, s11, s14
	s_mul_i32 s15, s3, 7
	s_mul_hi_u32 s3, s3, 7
	v_mad_u64_u32 v[4:5], null, s15, v6, 0
	s_mul_i32 s17, s17, 7
	s_mul_i32 s18, s9, 49
	s_add_i32 s3, s3, s17
	v_mov_b32_e32 v0, v5
	v_mad_u64_u32 v[8:9], null, s3, v6, v[0:1]
	v_add_co_u32 v0, s9, s9, v7
	v_add_co_ci_u32_e64 v1, null, s14, 0, s9
	s_add_u32 s9, s15, s8
	s_addc_u32 s3, s3, 0
	s_add_u32 s9, s9, s18
	s_addc_u32 s2, s3, s2
	v_add_co_u32 v9, vcc_lo, s9, v4
	v_add_co_ci_u32_e64 v10, null, s2, v8, vcc_lo
	v_cmp_gt_i64_e32 vcc_lo, s[10:11], v[0:1]
	v_mov_b32_e32 v5, v8
	s_mul_hi_u32 s3, s6, 56
	s_add_u32 s2, s12, s16
	s_addc_u32 s3, s13, s3
	s_mov_b32 s9, 0
	global_store_dwordx2 v2, v[9:10], s[2:3] offset:8
	s_and_b32 exec_lo, exec_lo, vcc_lo
	s_cbranch_execz .LBB305_6
; %bb.4:
	v_mad_u64_u32 v[4:5], null, s0, 49, v[4:5]
	v_lshlrev_b32_e32 v2, 4, v6
	s_clause 0x2
	s_load_dwordx2 s[2:3], s[4:5], 0x30
	s_load_dwordx2 s[12:13], s[4:5], 0x48
	s_load_dword s6, s[4:5], 0x0
	s_mul_i32 s15, s7, 49
	s_mul_hi_u32 s14, s7, 49
	v_mad_u64_u32 v[10:11], null, 0x310, v0, v[2:3]
	v_mad_u64_u32 v[8:9], null, s1, 49, v[5:6]
	s_clause 0x1
	s_load_dwordx2 s[0:1], s[4:5], 0x20
	s_load_dwordx2 s[4:5], s[4:5], 0x58
	v_mul_u32_u24_e32 v9, 0x60, v6
	v_mov_b32_e32 v2, v11
	v_mov_b32_e32 v5, v8
	v_mul_hi_u32_u24_e32 v8, 0x60, v6
	v_mad_u64_u32 v[3:4], null, v7, 7, v[4:5]
	v_lshlrev_b64 v[5:6], 3, v[0:1]
	s_waitcnt lgkmcnt(0)
	s_cmp_eq_u32 s6, 0
	v_mad_u64_u32 v[11:12], null, 0x310, v1, v[2:3]
	v_sub_co_u32 v12, vcc_lo, v3, s15
	v_subrev_co_ci_u32_e64 v13, null, s14, v4, vcc_lo
	v_add_co_u32 v2, vcc_lo, s2, v5
	v_add_co_ci_u32_e64 v3, null, s3, v6, vcc_lo
	v_lshlrev_b64 v[4:5], 4, v[12:13]
	v_lshlrev_b64 v[6:7], 3, v[12:13]
	v_add_co_u32 v10, vcc_lo, s0, v10
	v_add_co_ci_u32_e64 v11, null, s1, v11, vcc_lo
	v_add_co_u32 v4, vcc_lo, s12, v4
	v_add_co_ci_u32_e64 v5, null, s13, v5, vcc_lo
	;; [unrolled: 2-line block ×5, first 2 shown]
	s_cselect_b32 vcc_lo, -1, 0
	s_mov_b32 s12, s9
.LBB305_5:                              ; =>This Inner Loop Header: Depth=1
	v_add_co_u32 v14, s0, v10, v9
	v_add_co_ci_u32_e64 v15, null, v11, v8, s0
	v_add_co_u32 v16, s0, 0x70, v10
	v_add_co_ci_u32_e64 v17, null, 0, v11, s0
	;; [unrolled: 2-line block ×6, first 2 shown]
	v_add_co_u32 v34, s0, 0x2a0, v10
	global_load_dwordx2 v[40:41], v[2:3], off
	v_add_co_ci_u32_e64 v35, null, 0, v11, s0
	v_add_co_u32 v20, s0, v14, 16
	v_add_co_ci_u32_e64 v21, null, 0, v15, s0
	v_add_co_u32 v24, s0, v14, 32
	;; [unrolled: 2-line block ×4, first 2 shown]
	v_cndmask_b32_e32 v13, v11, v15, vcc_lo
	v_cndmask_b32_e32 v12, v10, v14, vcc_lo
	v_add_co_ci_u32_e64 v33, null, 0, v15, s0
	v_add_co_u32 v36, s0, 0x50, v14
	v_add_co_ci_u32_e64 v37, null, 0, v15, s0
	v_add_co_u32 v38, s0, 0x60, v14
	v_add_co_ci_u32_e64 v39, null, 0, v15, s0
	global_load_dwordx4 v[12:15], v[12:13], off
	v_cndmask_b32_e32 v17, v17, v21, vcc_lo
	v_cndmask_b32_e32 v16, v16, v20, vcc_lo
	;; [unrolled: 1-line block ×12, first 2 shown]
	global_load_dwordx4 v[16:19], v[16:17], off
	global_load_dwordx4 v[20:23], v[20:21], off
	;; [unrolled: 1-line block ×6, first 2 shown]
	v_add_co_u32 v0, s0, v0, 32
	v_add_co_ci_u32_e64 v1, null, 0, v1, s0
	v_add_co_u32 v2, s0, 0x100, v2
	v_add_co_ci_u32_e64 v3, null, 0, v3, s0
	;; [unrolled: 2-line block ×3, first 2 shown]
	v_cmp_le_i64_e64 s0, s[10:11], v[0:1]
	s_or_b32 s12, s0, s12
	s_waitcnt vmcnt(7)
	v_sub_co_u32 v40, s1, v40, s7
	v_subrev_co_ci_u32_e64 v42, null, 0, v41, s1
	v_mad_u64_u32 v[40:41], null, v40, 7, s[8:9]
	s_waitcnt vmcnt(6)
	global_store_dwordx4 v[4:5], v[12:15], off offset:-48
	v_mov_b32_e32 v12, v41
	s_waitcnt vmcnt(5)
	global_store_dwordx4 v[4:5], v[16:19], off offset:-32
	s_waitcnt vmcnt(4)
	global_store_dwordx4 v[4:5], v[20:23], off offset:-16
	s_waitcnt vmcnt(3)
	global_store_dwordx4 v[4:5], v[24:27], off
	s_waitcnt vmcnt(2)
	global_store_dwordx4 v[4:5], v[28:31], off offset:16
	s_waitcnt vmcnt(1)
	global_store_dwordx4 v[4:5], v[32:35], off offset:32
	;; [unrolled: 2-line block ×3, first 2 shown]
	v_mad_u64_u32 v[41:42], null, v42, 7, v[12:13]
	v_add_co_u32 v4, s1, 0xe00, v4
	v_add_co_u32 v42, s6, v40, 1
	v_add_co_ci_u32_e64 v5, null, 0, v5, s1
	v_add_co_u32 v12, s1, v40, 2
	v_add_co_u32 v14, s2, v40, 3
	;; [unrolled: 1-line block ×4, first 2 shown]
	v_add_co_ci_u32_e64 v43, null, 0, v41, s6
	v_add_co_u32 v20, s5, v40, 6
	v_add_co_ci_u32_e64 v13, null, 0, v41, s1
	v_add_co_ci_u32_e64 v15, null, 0, v41, s2
	;; [unrolled: 1-line block ×5, first 2 shown]
	global_store_dwordx4 v[6:7], v[40:43], off offset:-24
	global_store_dwordx4 v[6:7], v[12:15], off offset:-8
	global_store_dwordx4 v[6:7], v[16:19], off offset:8
	global_store_dwordx2 v[6:7], v[20:21], off offset:24
	v_add_co_u32 v6, s1, 0x700, v6
	v_add_co_ci_u32_e64 v7, null, 0, v7, s1
	s_andn2_b32 exec_lo, exec_lo, s12
	s_cbranch_execnz .LBB305_5
.LBB305_6:
	s_endpgm
	.section	.rodata,"a",@progbits
	.p2align	6, 0x0
	.amdhsa_kernel _ZN9rocsparseL32bsr2csr_block_per_row_2_7_kernelILj256ELj7E21rocsparse_complex_numIdEllEEv20rocsparse_direction_T3_S4_21rocsparse_index_base_PKT1_PKT2_PKS4_S4_S5_PS6_PS9_PS4_
		.amdhsa_group_segment_fixed_size 0
		.amdhsa_private_segment_fixed_size 0
		.amdhsa_kernarg_size 96
		.amdhsa_user_sgpr_count 6
		.amdhsa_user_sgpr_private_segment_buffer 1
		.amdhsa_user_sgpr_dispatch_ptr 0
		.amdhsa_user_sgpr_queue_ptr 0
		.amdhsa_user_sgpr_kernarg_segment_ptr 1
		.amdhsa_user_sgpr_dispatch_id 0
		.amdhsa_user_sgpr_flat_scratch_init 0
		.amdhsa_user_sgpr_private_segment_size 0
		.amdhsa_wavefront_size32 1
		.amdhsa_uses_dynamic_stack 0
		.amdhsa_system_sgpr_private_segment_wavefront_offset 0
		.amdhsa_system_sgpr_workgroup_id_x 1
		.amdhsa_system_sgpr_workgroup_id_y 0
		.amdhsa_system_sgpr_workgroup_id_z 0
		.amdhsa_system_sgpr_workgroup_info 0
		.amdhsa_system_vgpr_workitem_id 0
		.amdhsa_next_free_vgpr 44
		.amdhsa_next_free_sgpr 19
		.amdhsa_reserve_vcc 1
		.amdhsa_reserve_flat_scratch 0
		.amdhsa_float_round_mode_32 0
		.amdhsa_float_round_mode_16_64 0
		.amdhsa_float_denorm_mode_32 3
		.amdhsa_float_denorm_mode_16_64 3
		.amdhsa_dx10_clamp 1
		.amdhsa_ieee_mode 1
		.amdhsa_fp16_overflow 0
		.amdhsa_workgroup_processor_mode 1
		.amdhsa_memory_ordered 1
		.amdhsa_forward_progress 1
		.amdhsa_shared_vgpr_count 0
		.amdhsa_exception_fp_ieee_invalid_op 0
		.amdhsa_exception_fp_denorm_src 0
		.amdhsa_exception_fp_ieee_div_zero 0
		.amdhsa_exception_fp_ieee_overflow 0
		.amdhsa_exception_fp_ieee_underflow 0
		.amdhsa_exception_fp_ieee_inexact 0
		.amdhsa_exception_int_div_zero 0
	.end_amdhsa_kernel
	.section	.text._ZN9rocsparseL32bsr2csr_block_per_row_2_7_kernelILj256ELj7E21rocsparse_complex_numIdEllEEv20rocsparse_direction_T3_S4_21rocsparse_index_base_PKT1_PKT2_PKS4_S4_S5_PS6_PS9_PS4_,"axG",@progbits,_ZN9rocsparseL32bsr2csr_block_per_row_2_7_kernelILj256ELj7E21rocsparse_complex_numIdEllEEv20rocsparse_direction_T3_S4_21rocsparse_index_base_PKT1_PKT2_PKS4_S4_S5_PS6_PS9_PS4_,comdat
.Lfunc_end305:
	.size	_ZN9rocsparseL32bsr2csr_block_per_row_2_7_kernelILj256ELj7E21rocsparse_complex_numIdEllEEv20rocsparse_direction_T3_S4_21rocsparse_index_base_PKT1_PKT2_PKS4_S4_S5_PS6_PS9_PS4_, .Lfunc_end305-_ZN9rocsparseL32bsr2csr_block_per_row_2_7_kernelILj256ELj7E21rocsparse_complex_numIdEllEEv20rocsparse_direction_T3_S4_21rocsparse_index_base_PKT1_PKT2_PKS4_S4_S5_PS6_PS9_PS4_
                                        ; -- End function
	.set _ZN9rocsparseL32bsr2csr_block_per_row_2_7_kernelILj256ELj7E21rocsparse_complex_numIdEllEEv20rocsparse_direction_T3_S4_21rocsparse_index_base_PKT1_PKT2_PKS4_S4_S5_PS6_PS9_PS4_.num_vgpr, 44
	.set _ZN9rocsparseL32bsr2csr_block_per_row_2_7_kernelILj256ELj7E21rocsparse_complex_numIdEllEEv20rocsparse_direction_T3_S4_21rocsparse_index_base_PKT1_PKT2_PKS4_S4_S5_PS6_PS9_PS4_.num_agpr, 0
	.set _ZN9rocsparseL32bsr2csr_block_per_row_2_7_kernelILj256ELj7E21rocsparse_complex_numIdEllEEv20rocsparse_direction_T3_S4_21rocsparse_index_base_PKT1_PKT2_PKS4_S4_S5_PS6_PS9_PS4_.numbered_sgpr, 19
	.set _ZN9rocsparseL32bsr2csr_block_per_row_2_7_kernelILj256ELj7E21rocsparse_complex_numIdEllEEv20rocsparse_direction_T3_S4_21rocsparse_index_base_PKT1_PKT2_PKS4_S4_S5_PS6_PS9_PS4_.num_named_barrier, 0
	.set _ZN9rocsparseL32bsr2csr_block_per_row_2_7_kernelILj256ELj7E21rocsparse_complex_numIdEllEEv20rocsparse_direction_T3_S4_21rocsparse_index_base_PKT1_PKT2_PKS4_S4_S5_PS6_PS9_PS4_.private_seg_size, 0
	.set _ZN9rocsparseL32bsr2csr_block_per_row_2_7_kernelILj256ELj7E21rocsparse_complex_numIdEllEEv20rocsparse_direction_T3_S4_21rocsparse_index_base_PKT1_PKT2_PKS4_S4_S5_PS6_PS9_PS4_.uses_vcc, 1
	.set _ZN9rocsparseL32bsr2csr_block_per_row_2_7_kernelILj256ELj7E21rocsparse_complex_numIdEllEEv20rocsparse_direction_T3_S4_21rocsparse_index_base_PKT1_PKT2_PKS4_S4_S5_PS6_PS9_PS4_.uses_flat_scratch, 0
	.set _ZN9rocsparseL32bsr2csr_block_per_row_2_7_kernelILj256ELj7E21rocsparse_complex_numIdEllEEv20rocsparse_direction_T3_S4_21rocsparse_index_base_PKT1_PKT2_PKS4_S4_S5_PS6_PS9_PS4_.has_dyn_sized_stack, 0
	.set _ZN9rocsparseL32bsr2csr_block_per_row_2_7_kernelILj256ELj7E21rocsparse_complex_numIdEllEEv20rocsparse_direction_T3_S4_21rocsparse_index_base_PKT1_PKT2_PKS4_S4_S5_PS6_PS9_PS4_.has_recursion, 0
	.set _ZN9rocsparseL32bsr2csr_block_per_row_2_7_kernelILj256ELj7E21rocsparse_complex_numIdEllEEv20rocsparse_direction_T3_S4_21rocsparse_index_base_PKT1_PKT2_PKS4_S4_S5_PS6_PS9_PS4_.has_indirect_call, 0
	.section	.AMDGPU.csdata,"",@progbits
; Kernel info:
; codeLenInByte = 1316
; TotalNumSgprs: 21
; NumVgprs: 44
; ScratchSize: 0
; MemoryBound: 0
; FloatMode: 240
; IeeeMode: 1
; LDSByteSize: 0 bytes/workgroup (compile time only)
; SGPRBlocks: 0
; VGPRBlocks: 5
; NumSGPRsForWavesPerEU: 21
; NumVGPRsForWavesPerEU: 44
; Occupancy: 16
; WaveLimiterHint : 0
; COMPUTE_PGM_RSRC2:SCRATCH_EN: 0
; COMPUTE_PGM_RSRC2:USER_SGPR: 6
; COMPUTE_PGM_RSRC2:TRAP_HANDLER: 0
; COMPUTE_PGM_RSRC2:TGID_X_EN: 1
; COMPUTE_PGM_RSRC2:TGID_Y_EN: 0
; COMPUTE_PGM_RSRC2:TGID_Z_EN: 0
; COMPUTE_PGM_RSRC2:TIDIG_COMP_CNT: 0
	.section	.text._ZN9rocsparseL33bsr2csr_block_per_row_8_32_kernelILj1024ELj8E21rocsparse_complex_numIdEllEEv20rocsparse_direction_T3_S4_21rocsparse_index_base_PKT1_PKT2_PKS4_S4_S5_PS6_PS9_PS4_,"axG",@progbits,_ZN9rocsparseL33bsr2csr_block_per_row_8_32_kernelILj1024ELj8E21rocsparse_complex_numIdEllEEv20rocsparse_direction_T3_S4_21rocsparse_index_base_PKT1_PKT2_PKS4_S4_S5_PS6_PS9_PS4_,comdat
	.globl	_ZN9rocsparseL33bsr2csr_block_per_row_8_32_kernelILj1024ELj8E21rocsparse_complex_numIdEllEEv20rocsparse_direction_T3_S4_21rocsparse_index_base_PKT1_PKT2_PKS4_S4_S5_PS6_PS9_PS4_ ; -- Begin function _ZN9rocsparseL33bsr2csr_block_per_row_8_32_kernelILj1024ELj8E21rocsparse_complex_numIdEllEEv20rocsparse_direction_T3_S4_21rocsparse_index_base_PKT1_PKT2_PKS4_S4_S5_PS6_PS9_PS4_
	.p2align	8
	.type	_ZN9rocsparseL33bsr2csr_block_per_row_8_32_kernelILj1024ELj8E21rocsparse_complex_numIdEllEEv20rocsparse_direction_T3_S4_21rocsparse_index_base_PKT1_PKT2_PKS4_S4_S5_PS6_PS9_PS4_,@function
_ZN9rocsparseL33bsr2csr_block_per_row_8_32_kernelILj1024ELj8E21rocsparse_complex_numIdEllEEv20rocsparse_direction_T3_S4_21rocsparse_index_base_PKT1_PKT2_PKS4_S4_S5_PS6_PS9_PS4_: ; @_ZN9rocsparseL33bsr2csr_block_per_row_8_32_kernelILj1024ELj8E21rocsparse_complex_numIdEllEEv20rocsparse_direction_T3_S4_21rocsparse_index_base_PKT1_PKT2_PKS4_S4_S5_PS6_PS9_PS4_
; %bb.0:
	s_clause 0x2
	s_load_dwordx2 s[0:1], s[4:5], 0x28
	s_load_dword s13, s[4:5], 0x40
	s_load_dwordx2 s[10:11], s[4:5], 0x50
	s_mov_b32 s7, 0
	v_or_b32_e32 v1, s6, v0
	s_lshl_b64 s[2:3], s[6:7], 3
	s_waitcnt lgkmcnt(0)
	s_add_u32 s8, s0, s2
	s_addc_u32 s9, s1, s3
	s_mov_b32 s0, exec_lo
	v_cmpx_eq_u32_e32 0, v1
	s_cbranch_execz .LBB306_2
; %bb.1:
	v_mov_b32_e32 v1, s13
	v_mov_b32_e32 v2, 0
	global_store_dwordx2 v2, v[1:2], s[10:11]
.LBB306_2:
	s_or_b32 exec_lo, exec_lo, s0
	s_load_dwordx2 s[2:3], s[4:5], 0x38
	v_mov_b32_e32 v3, 0
	v_bfe_u32 v4, v0, 3, 3
	v_and_b32_e32 v2, 7, v0
	v_mov_b32_e32 v5, v3
	s_waitcnt lgkmcnt(0)
	v_cmp_gt_i64_e32 vcc_lo, s[2:3], v[4:5]
	v_cmp_gt_i64_e64 s0, s[2:3], v[2:3]
	s_and_b32 s0, vcc_lo, s0
	s_and_saveexec_b32 s1, s0
	s_cbranch_execz .LBB306_6
; %bb.3:
	s_load_dwordx4 s[16:19], s[8:9], 0x0
	s_load_dword s12, s[4:5], 0x18
	s_mul_i32 s1, s2, s3
	s_mul_hi_u32 s0, s2, s2
	v_lshrrev_b32_e32 v5, 6, v0
	v_mov_b32_e32 v6, v3
	s_waitcnt lgkmcnt(0)
	s_sub_u32 s15, s16, s12
	s_subb_u32 s16, s17, 0
	s_sub_u32 s8, s18, s12
	s_subb_u32 s9, s19, 0
	s_add_i32 s7, s0, s1
	s_mul_i32 s0, s2, s2
	s_add_i32 s1, s7, s1
	s_mul_hi_u32 s7, s15, s0
	s_mul_i32 s14, s15, s1
	s_mul_i32 s17, s16, s0
	s_add_i32 s7, s7, s14
	s_mul_i32 s14, s15, s0
	s_add_i32 s19, s7, s17
	s_sub_u32 s17, s8, s15
	s_subb_u32 s7, s9, s16
	s_mul_i32 s18, s17, s3
	s_mul_hi_u32 s20, s17, s2
	s_mul_i32 s21, s7, s2
	s_add_i32 s18, s20, s18
	s_mul_i32 s20, s17, s2
	s_add_i32 s21, s18, s21
	s_add_u32 s18, s20, s13
	s_addc_u32 s22, s21, 0
	s_add_u32 s18, s18, s14
	s_addc_u32 s19, s22, s19
	s_mul_i32 s14, s3, s6
	v_mad_u64_u32 v[7:8], null, s20, v4, s[18:19]
	s_mul_hi_u32 s19, s2, s6
	s_mul_i32 s18, s2, s6
	s_add_i32 s19, s19, s14
	s_mov_b32 s14, 0
	s_lshl_b64 s[18:19], s[18:19], 3
	v_mov_b32_e32 v0, v8
	s_add_u32 s10, s10, s18
	s_addc_u32 s11, s11, s19
	v_mad_u64_u32 v[8:9], null, s21, v4, v[0:1]
	v_add_co_u32 v0, s6, s15, v5
	v_add_co_ci_u32_e64 v1, null, s16, 0, s6
	v_lshlrev_b32_e32 v9, 3, v4
	v_cmp_gt_i64_e32 vcc_lo, s[8:9], v[0:1]
	global_store_dwordx2 v9, v[7:8], s[10:11] offset:8
	s_and_b32 exec_lo, exec_lo, vcc_lo
	s_cbranch_execz .LBB306_6
; %bb.4:
	v_mad_u64_u32 v[7:8], null, s2, v2, 0
	v_mad_u64_u32 v[9:10], null, s2, v4, 0
	s_load_dwordx2 s[10:11], s[4:5], 0x20
	v_mad_u64_u32 v[5:6], null, s2, s15, v[5:6]
	s_mul_i32 s6, s3, s15
	v_mov_b32_e32 v3, v8
	s_mul_i32 s15, s2, s16
	v_mov_b32_e32 v8, v10
	s_clause 0x2
	s_load_dwordx2 s[18:19], s[4:5], 0x30
	s_load_dwordx2 s[20:21], s[4:5], 0x48
	s_load_dword s16, s[4:5], 0x0
	v_lshlrev_b32_e32 v13, 4, v2
	v_mad_u64_u32 v[10:11], null, s3, v2, v[3:4]
	v_mad_u64_u32 v[11:12], null, s3, v4, v[8:9]
	v_add3_u32 v6, s15, s6, v6
	v_lshlrev_b32_e32 v3, 4, v4
	v_mul_lo_u32 v14, s1, v0
	v_mul_lo_u32 v15, s0, v1
	v_mov_b32_e32 v8, v10
	v_mad_u64_u32 v[5:6], null, s17, v4, v[5:6]
	v_mov_b32_e32 v10, v11
	s_load_dwordx2 s[4:5], s[4:5], 0x58
	v_lshlrev_b64 v[7:8], 4, v[7:8]
	v_lshlrev_b64 v[9:10], 4, v[9:10]
	v_mul_lo_u32 v16, s3, v5
	s_waitcnt lgkmcnt(0)
	s_cmp_eq_u32 s16, 0
	v_add_co_u32 v7, vcc_lo, s10, v7
	v_add_co_ci_u32_e64 v8, null, s11, v8, vcc_lo
	v_add_co_u32 v9, vcc_lo, s10, v9
	v_add_co_ci_u32_e64 v10, null, s11, v10, vcc_lo
	v_add_co_u32 v11, vcc_lo, v7, v3
	v_mov_b32_e32 v3, v6
	v_mad_u64_u32 v[6:7], null, s0, v0, 0
	v_add_co_ci_u32_e64 v12, null, 0, v8, vcc_lo
	v_mad_u64_u32 v[3:4], null, s7, v4, v[3:4]
	v_add_co_u32 v4, vcc_lo, v9, v13
	v_mad_u64_u32 v[8:9], null, s2, v5, 0
	v_add3_u32 v7, v7, v15, v14
	v_add_co_ci_u32_e64 v10, null, 0, v10, vcc_lo
	v_mul_lo_u32 v3, s2, v3
	s_cselect_b32 vcc_lo, -1, 0
	v_lshlrev_b64 v[5:6], 4, v[6:7]
	v_cndmask_b32_e32 v14, v11, v4, vcc_lo
	v_cndmask_b32_e32 v12, v12, v10, vcc_lo
	s_lshl_b64 s[10:11], s[2:3], 8
	v_add3_u32 v9, v9, v3, v16
	v_add_co_u32 v3, s6, v2, s13
	v_lshlrev_b32_e32 v2, 3, v2
	v_add_co_u32 v5, vcc_lo, v14, v5
	v_lshlrev_b64 v[10:11], 3, v[8:9]
	v_add_co_ci_u32_e64 v6, null, v12, v6, vcc_lo
	v_add_co_ci_u32_e64 v4, null, 0, 0, s6
	s_lshl_b64 s[6:7], s[2:3], 7
	v_add_co_u32 v2, vcc_lo, v10, v2
	v_lshlrev_b64 v[9:10], 4, v[8:9]
	v_add_co_ci_u32_e64 v11, null, 0, v11, vcc_lo
	v_add_co_u32 v7, vcc_lo, s4, v2
	v_add_co_ci_u32_e64 v8, null, s5, v11, vcc_lo
	v_add_co_u32 v2, vcc_lo, v9, v13
	v_lshlrev_b64 v[11:12], 3, v[0:1]
	v_add_co_ci_u32_e64 v10, null, 0, v10, vcc_lo
	v_add_co_u32 v9, vcc_lo, s20, v2
	s_lshl_b64 s[4:5], s[0:1], 8
	v_add_co_ci_u32_e64 v10, null, s21, v10, vcc_lo
	v_add_co_u32 v11, vcc_lo, s18, v11
	v_add_co_ci_u32_e64 v12, null, s19, v12, vcc_lo
	s_inst_prefetch 0x1
	.p2align	6
.LBB306_5:                              ; =>This Inner Loop Header: Depth=1
	global_load_dwordx2 v[17:18], v[11:12], off
	global_load_dwordx4 v[13:16], v[5:6], off
	v_add_co_u32 v0, vcc_lo, v0, 16
	v_add_co_ci_u32_e64 v1, null, 0, v1, vcc_lo
	v_add_co_u32 v5, vcc_lo, v5, s4
	v_add_co_ci_u32_e64 v6, null, s5, v6, vcc_lo
	;; [unrolled: 2-line block ×3, first 2 shown]
	v_cmp_le_i64_e32 vcc_lo, s[8:9], v[0:1]
	s_or_b32 s14, vcc_lo, s14
	s_waitcnt vmcnt(1)
	v_sub_co_u32 v2, s0, v17, s12
	v_subrev_co_ci_u32_e64 v17, null, 0, v18, s0
	s_waitcnt vmcnt(0)
	global_store_dwordx4 v[9:10], v[13:16], off
	v_mul_lo_u32 v15, v2, s3
	v_mad_u64_u32 v[13:14], null, v2, s2, v[3:4]
	v_mul_lo_u32 v16, v17, s2
	v_add_co_u32 v9, s0, v9, s10
	v_add_co_ci_u32_e64 v10, null, s11, v10, s0
	v_add3_u32 v14, v16, v14, v15
	global_store_dwordx2 v[7:8], v[13:14], off
	v_add_co_u32 v7, s0, v7, s6
	v_add_co_ci_u32_e64 v8, null, s7, v8, s0
	s_andn2_b32 exec_lo, exec_lo, s14
	s_cbranch_execnz .LBB306_5
.LBB306_6:
	s_inst_prefetch 0x2
	s_endpgm
	.section	.rodata,"a",@progbits
	.p2align	6, 0x0
	.amdhsa_kernel _ZN9rocsparseL33bsr2csr_block_per_row_8_32_kernelILj1024ELj8E21rocsparse_complex_numIdEllEEv20rocsparse_direction_T3_S4_21rocsparse_index_base_PKT1_PKT2_PKS4_S4_S5_PS6_PS9_PS4_
		.amdhsa_group_segment_fixed_size 0
		.amdhsa_private_segment_fixed_size 0
		.amdhsa_kernarg_size 96
		.amdhsa_user_sgpr_count 6
		.amdhsa_user_sgpr_private_segment_buffer 1
		.amdhsa_user_sgpr_dispatch_ptr 0
		.amdhsa_user_sgpr_queue_ptr 0
		.amdhsa_user_sgpr_kernarg_segment_ptr 1
		.amdhsa_user_sgpr_dispatch_id 0
		.amdhsa_user_sgpr_flat_scratch_init 0
		.amdhsa_user_sgpr_private_segment_size 0
		.amdhsa_wavefront_size32 1
		.amdhsa_uses_dynamic_stack 0
		.amdhsa_system_sgpr_private_segment_wavefront_offset 0
		.amdhsa_system_sgpr_workgroup_id_x 1
		.amdhsa_system_sgpr_workgroup_id_y 0
		.amdhsa_system_sgpr_workgroup_id_z 0
		.amdhsa_system_sgpr_workgroup_info 0
		.amdhsa_system_vgpr_workitem_id 0
		.amdhsa_next_free_vgpr 19
		.amdhsa_next_free_sgpr 23
		.amdhsa_reserve_vcc 1
		.amdhsa_reserve_flat_scratch 0
		.amdhsa_float_round_mode_32 0
		.amdhsa_float_round_mode_16_64 0
		.amdhsa_float_denorm_mode_32 3
		.amdhsa_float_denorm_mode_16_64 3
		.amdhsa_dx10_clamp 1
		.amdhsa_ieee_mode 1
		.amdhsa_fp16_overflow 0
		.amdhsa_workgroup_processor_mode 1
		.amdhsa_memory_ordered 1
		.amdhsa_forward_progress 1
		.amdhsa_shared_vgpr_count 0
		.amdhsa_exception_fp_ieee_invalid_op 0
		.amdhsa_exception_fp_denorm_src 0
		.amdhsa_exception_fp_ieee_div_zero 0
		.amdhsa_exception_fp_ieee_overflow 0
		.amdhsa_exception_fp_ieee_underflow 0
		.amdhsa_exception_fp_ieee_inexact 0
		.amdhsa_exception_int_div_zero 0
	.end_amdhsa_kernel
	.section	.text._ZN9rocsparseL33bsr2csr_block_per_row_8_32_kernelILj1024ELj8E21rocsparse_complex_numIdEllEEv20rocsparse_direction_T3_S4_21rocsparse_index_base_PKT1_PKT2_PKS4_S4_S5_PS6_PS9_PS4_,"axG",@progbits,_ZN9rocsparseL33bsr2csr_block_per_row_8_32_kernelILj1024ELj8E21rocsparse_complex_numIdEllEEv20rocsparse_direction_T3_S4_21rocsparse_index_base_PKT1_PKT2_PKS4_S4_S5_PS6_PS9_PS4_,comdat
.Lfunc_end306:
	.size	_ZN9rocsparseL33bsr2csr_block_per_row_8_32_kernelILj1024ELj8E21rocsparse_complex_numIdEllEEv20rocsparse_direction_T3_S4_21rocsparse_index_base_PKT1_PKT2_PKS4_S4_S5_PS6_PS9_PS4_, .Lfunc_end306-_ZN9rocsparseL33bsr2csr_block_per_row_8_32_kernelILj1024ELj8E21rocsparse_complex_numIdEllEEv20rocsparse_direction_T3_S4_21rocsparse_index_base_PKT1_PKT2_PKS4_S4_S5_PS6_PS9_PS4_
                                        ; -- End function
	.set _ZN9rocsparseL33bsr2csr_block_per_row_8_32_kernelILj1024ELj8E21rocsparse_complex_numIdEllEEv20rocsparse_direction_T3_S4_21rocsparse_index_base_PKT1_PKT2_PKS4_S4_S5_PS6_PS9_PS4_.num_vgpr, 19
	.set _ZN9rocsparseL33bsr2csr_block_per_row_8_32_kernelILj1024ELj8E21rocsparse_complex_numIdEllEEv20rocsparse_direction_T3_S4_21rocsparse_index_base_PKT1_PKT2_PKS4_S4_S5_PS6_PS9_PS4_.num_agpr, 0
	.set _ZN9rocsparseL33bsr2csr_block_per_row_8_32_kernelILj1024ELj8E21rocsparse_complex_numIdEllEEv20rocsparse_direction_T3_S4_21rocsparse_index_base_PKT1_PKT2_PKS4_S4_S5_PS6_PS9_PS4_.numbered_sgpr, 23
	.set _ZN9rocsparseL33bsr2csr_block_per_row_8_32_kernelILj1024ELj8E21rocsparse_complex_numIdEllEEv20rocsparse_direction_T3_S4_21rocsparse_index_base_PKT1_PKT2_PKS4_S4_S5_PS6_PS9_PS4_.num_named_barrier, 0
	.set _ZN9rocsparseL33bsr2csr_block_per_row_8_32_kernelILj1024ELj8E21rocsparse_complex_numIdEllEEv20rocsparse_direction_T3_S4_21rocsparse_index_base_PKT1_PKT2_PKS4_S4_S5_PS6_PS9_PS4_.private_seg_size, 0
	.set _ZN9rocsparseL33bsr2csr_block_per_row_8_32_kernelILj1024ELj8E21rocsparse_complex_numIdEllEEv20rocsparse_direction_T3_S4_21rocsparse_index_base_PKT1_PKT2_PKS4_S4_S5_PS6_PS9_PS4_.uses_vcc, 1
	.set _ZN9rocsparseL33bsr2csr_block_per_row_8_32_kernelILj1024ELj8E21rocsparse_complex_numIdEllEEv20rocsparse_direction_T3_S4_21rocsparse_index_base_PKT1_PKT2_PKS4_S4_S5_PS6_PS9_PS4_.uses_flat_scratch, 0
	.set _ZN9rocsparseL33bsr2csr_block_per_row_8_32_kernelILj1024ELj8E21rocsparse_complex_numIdEllEEv20rocsparse_direction_T3_S4_21rocsparse_index_base_PKT1_PKT2_PKS4_S4_S5_PS6_PS9_PS4_.has_dyn_sized_stack, 0
	.set _ZN9rocsparseL33bsr2csr_block_per_row_8_32_kernelILj1024ELj8E21rocsparse_complex_numIdEllEEv20rocsparse_direction_T3_S4_21rocsparse_index_base_PKT1_PKT2_PKS4_S4_S5_PS6_PS9_PS4_.has_recursion, 0
	.set _ZN9rocsparseL33bsr2csr_block_per_row_8_32_kernelILj1024ELj8E21rocsparse_complex_numIdEllEEv20rocsparse_direction_T3_S4_21rocsparse_index_base_PKT1_PKT2_PKS4_S4_S5_PS6_PS9_PS4_.has_indirect_call, 0
	.section	.AMDGPU.csdata,"",@progbits
; Kernel info:
; codeLenInByte = 1092
; TotalNumSgprs: 25
; NumVgprs: 19
; ScratchSize: 0
; MemoryBound: 0
; FloatMode: 240
; IeeeMode: 1
; LDSByteSize: 0 bytes/workgroup (compile time only)
; SGPRBlocks: 0
; VGPRBlocks: 2
; NumSGPRsForWavesPerEU: 25
; NumVGPRsForWavesPerEU: 19
; Occupancy: 16
; WaveLimiterHint : 0
; COMPUTE_PGM_RSRC2:SCRATCH_EN: 0
; COMPUTE_PGM_RSRC2:USER_SGPR: 6
; COMPUTE_PGM_RSRC2:TRAP_HANDLER: 0
; COMPUTE_PGM_RSRC2:TGID_X_EN: 1
; COMPUTE_PGM_RSRC2:TGID_Y_EN: 0
; COMPUTE_PGM_RSRC2:TGID_Z_EN: 0
; COMPUTE_PGM_RSRC2:TIDIG_COMP_CNT: 0
	.section	.text._ZN9rocsparseL33bsr2csr_block_per_row_8_32_kernelILj1024ELj16E21rocsparse_complex_numIdEllEEv20rocsparse_direction_T3_S4_21rocsparse_index_base_PKT1_PKT2_PKS4_S4_S5_PS6_PS9_PS4_,"axG",@progbits,_ZN9rocsparseL33bsr2csr_block_per_row_8_32_kernelILj1024ELj16E21rocsparse_complex_numIdEllEEv20rocsparse_direction_T3_S4_21rocsparse_index_base_PKT1_PKT2_PKS4_S4_S5_PS6_PS9_PS4_,comdat
	.globl	_ZN9rocsparseL33bsr2csr_block_per_row_8_32_kernelILj1024ELj16E21rocsparse_complex_numIdEllEEv20rocsparse_direction_T3_S4_21rocsparse_index_base_PKT1_PKT2_PKS4_S4_S5_PS6_PS9_PS4_ ; -- Begin function _ZN9rocsparseL33bsr2csr_block_per_row_8_32_kernelILj1024ELj16E21rocsparse_complex_numIdEllEEv20rocsparse_direction_T3_S4_21rocsparse_index_base_PKT1_PKT2_PKS4_S4_S5_PS6_PS9_PS4_
	.p2align	8
	.type	_ZN9rocsparseL33bsr2csr_block_per_row_8_32_kernelILj1024ELj16E21rocsparse_complex_numIdEllEEv20rocsparse_direction_T3_S4_21rocsparse_index_base_PKT1_PKT2_PKS4_S4_S5_PS6_PS9_PS4_,@function
_ZN9rocsparseL33bsr2csr_block_per_row_8_32_kernelILj1024ELj16E21rocsparse_complex_numIdEllEEv20rocsparse_direction_T3_S4_21rocsparse_index_base_PKT1_PKT2_PKS4_S4_S5_PS6_PS9_PS4_: ; @_ZN9rocsparseL33bsr2csr_block_per_row_8_32_kernelILj1024ELj16E21rocsparse_complex_numIdEllEEv20rocsparse_direction_T3_S4_21rocsparse_index_base_PKT1_PKT2_PKS4_S4_S5_PS6_PS9_PS4_
; %bb.0:
	s_clause 0x2
	s_load_dwordx2 s[0:1], s[4:5], 0x28
	s_load_dword s13, s[4:5], 0x40
	s_load_dwordx2 s[10:11], s[4:5], 0x50
	s_mov_b32 s7, 0
	v_or_b32_e32 v1, s6, v0
	s_lshl_b64 s[2:3], s[6:7], 3
	s_waitcnt lgkmcnt(0)
	s_add_u32 s8, s0, s2
	s_addc_u32 s9, s1, s3
	s_mov_b32 s0, exec_lo
	v_cmpx_eq_u32_e32 0, v1
	s_cbranch_execz .LBB307_2
; %bb.1:
	v_mov_b32_e32 v1, s13
	v_mov_b32_e32 v2, 0
	global_store_dwordx2 v2, v[1:2], s[10:11]
.LBB307_2:
	s_or_b32 exec_lo, exec_lo, s0
	s_load_dwordx2 s[2:3], s[4:5], 0x38
	v_mov_b32_e32 v3, 0
	v_bfe_u32 v4, v0, 4, 4
	v_and_b32_e32 v2, 15, v0
	v_mov_b32_e32 v5, v3
	s_waitcnt lgkmcnt(0)
	v_cmp_gt_i64_e32 vcc_lo, s[2:3], v[4:5]
	v_cmp_gt_i64_e64 s0, s[2:3], v[2:3]
	s_and_b32 s0, vcc_lo, s0
	s_and_saveexec_b32 s1, s0
	s_cbranch_execz .LBB307_6
; %bb.3:
	s_load_dwordx4 s[16:19], s[8:9], 0x0
	s_load_dword s12, s[4:5], 0x18
	s_mul_i32 s1, s2, s3
	s_mul_hi_u32 s0, s2, s2
	v_lshrrev_b32_e32 v5, 8, v0
	v_mov_b32_e32 v6, v3
	s_waitcnt lgkmcnt(0)
	s_sub_u32 s15, s16, s12
	s_subb_u32 s16, s17, 0
	s_sub_u32 s8, s18, s12
	s_subb_u32 s9, s19, 0
	s_add_i32 s7, s0, s1
	s_mul_i32 s0, s2, s2
	s_add_i32 s1, s7, s1
	s_mul_hi_u32 s7, s15, s0
	s_mul_i32 s14, s15, s1
	s_mul_i32 s17, s16, s0
	s_add_i32 s7, s7, s14
	s_mul_i32 s14, s15, s0
	s_add_i32 s19, s7, s17
	s_sub_u32 s17, s8, s15
	s_subb_u32 s7, s9, s16
	s_mul_i32 s18, s17, s3
	s_mul_hi_u32 s20, s17, s2
	s_mul_i32 s21, s7, s2
	s_add_i32 s18, s20, s18
	s_mul_i32 s20, s17, s2
	s_add_i32 s21, s18, s21
	s_add_u32 s18, s20, s13
	s_addc_u32 s22, s21, 0
	s_add_u32 s18, s18, s14
	s_addc_u32 s19, s22, s19
	s_mul_i32 s14, s3, s6
	v_mad_u64_u32 v[7:8], null, s20, v4, s[18:19]
	s_mul_hi_u32 s19, s2, s6
	s_mul_i32 s18, s2, s6
	s_add_i32 s19, s19, s14
	s_mov_b32 s14, 0
	s_lshl_b64 s[18:19], s[18:19], 3
	v_mov_b32_e32 v0, v8
	s_add_u32 s10, s10, s18
	s_addc_u32 s11, s11, s19
	v_mad_u64_u32 v[8:9], null, s21, v4, v[0:1]
	v_add_co_u32 v0, s6, s15, v5
	v_add_co_ci_u32_e64 v1, null, s16, 0, s6
	v_lshlrev_b32_e32 v9, 3, v4
	v_cmp_gt_i64_e32 vcc_lo, s[8:9], v[0:1]
	global_store_dwordx2 v9, v[7:8], s[10:11] offset:8
	s_and_b32 exec_lo, exec_lo, vcc_lo
	s_cbranch_execz .LBB307_6
; %bb.4:
	v_mad_u64_u32 v[7:8], null, s2, v2, 0
	v_mad_u64_u32 v[9:10], null, s2, v4, 0
	s_load_dwordx2 s[10:11], s[4:5], 0x20
	v_mad_u64_u32 v[5:6], null, s2, s15, v[5:6]
	s_mul_i32 s6, s3, s15
	v_mov_b32_e32 v3, v8
	s_mul_i32 s15, s2, s16
	v_mov_b32_e32 v8, v10
	s_clause 0x2
	s_load_dwordx2 s[18:19], s[4:5], 0x30
	s_load_dwordx2 s[20:21], s[4:5], 0x48
	s_load_dword s16, s[4:5], 0x0
	v_lshlrev_b32_e32 v13, 4, v2
	v_mad_u64_u32 v[10:11], null, s3, v2, v[3:4]
	v_mad_u64_u32 v[11:12], null, s3, v4, v[8:9]
	v_add3_u32 v6, s15, s6, v6
	v_lshlrev_b32_e32 v3, 4, v4
	v_mul_lo_u32 v14, s1, v0
	v_mul_lo_u32 v15, s0, v1
	v_mov_b32_e32 v8, v10
	v_mad_u64_u32 v[5:6], null, s17, v4, v[5:6]
	v_mov_b32_e32 v10, v11
	s_load_dwordx2 s[4:5], s[4:5], 0x58
	v_lshlrev_b64 v[7:8], 4, v[7:8]
	v_lshlrev_b64 v[9:10], 4, v[9:10]
	v_mul_lo_u32 v16, s3, v5
	s_waitcnt lgkmcnt(0)
	s_cmp_eq_u32 s16, 0
	v_add_co_u32 v7, vcc_lo, s10, v7
	v_add_co_ci_u32_e64 v8, null, s11, v8, vcc_lo
	v_add_co_u32 v9, vcc_lo, s10, v9
	v_add_co_ci_u32_e64 v10, null, s11, v10, vcc_lo
	v_add_co_u32 v11, vcc_lo, v7, v3
	v_mov_b32_e32 v3, v6
	v_mad_u64_u32 v[6:7], null, s0, v0, 0
	v_add_co_ci_u32_e64 v12, null, 0, v8, vcc_lo
	v_mad_u64_u32 v[3:4], null, s7, v4, v[3:4]
	v_add_co_u32 v4, vcc_lo, v9, v13
	v_mad_u64_u32 v[8:9], null, s2, v5, 0
	v_add3_u32 v7, v7, v15, v14
	v_add_co_ci_u32_e64 v10, null, 0, v10, vcc_lo
	v_mul_lo_u32 v3, s2, v3
	s_cselect_b32 vcc_lo, -1, 0
	v_lshlrev_b64 v[5:6], 4, v[6:7]
	v_cndmask_b32_e32 v14, v11, v4, vcc_lo
	v_cndmask_b32_e32 v12, v12, v10, vcc_lo
	s_lshl_b64 s[10:11], s[2:3], 6
	v_add3_u32 v9, v9, v3, v16
	v_add_co_u32 v3, s6, v2, s13
	v_lshlrev_b32_e32 v2, 3, v2
	v_add_co_u32 v5, vcc_lo, v14, v5
	v_lshlrev_b64 v[10:11], 3, v[8:9]
	v_add_co_ci_u32_e64 v6, null, v12, v6, vcc_lo
	v_add_co_ci_u32_e64 v4, null, 0, 0, s6
	s_lshl_b64 s[6:7], s[2:3], 5
	v_add_co_u32 v2, vcc_lo, v10, v2
	v_lshlrev_b64 v[9:10], 4, v[8:9]
	v_add_co_ci_u32_e64 v11, null, 0, v11, vcc_lo
	v_add_co_u32 v7, vcc_lo, s4, v2
	v_add_co_ci_u32_e64 v8, null, s5, v11, vcc_lo
	v_add_co_u32 v2, vcc_lo, v9, v13
	v_lshlrev_b64 v[11:12], 3, v[0:1]
	v_add_co_ci_u32_e64 v10, null, 0, v10, vcc_lo
	v_add_co_u32 v9, vcc_lo, s20, v2
	s_lshl_b64 s[4:5], s[0:1], 6
	v_add_co_ci_u32_e64 v10, null, s21, v10, vcc_lo
	v_add_co_u32 v11, vcc_lo, s18, v11
	v_add_co_ci_u32_e64 v12, null, s19, v12, vcc_lo
	s_inst_prefetch 0x1
	.p2align	6
.LBB307_5:                              ; =>This Inner Loop Header: Depth=1
	global_load_dwordx2 v[17:18], v[11:12], off
	global_load_dwordx4 v[13:16], v[5:6], off
	v_add_co_u32 v0, vcc_lo, v0, 4
	v_add_co_ci_u32_e64 v1, null, 0, v1, vcc_lo
	v_add_co_u32 v5, vcc_lo, v5, s4
	v_add_co_ci_u32_e64 v6, null, s5, v6, vcc_lo
	;; [unrolled: 2-line block ×3, first 2 shown]
	v_cmp_le_i64_e32 vcc_lo, s[8:9], v[0:1]
	s_or_b32 s14, vcc_lo, s14
	s_waitcnt vmcnt(1)
	v_sub_co_u32 v2, s0, v17, s12
	v_subrev_co_ci_u32_e64 v17, null, 0, v18, s0
	s_waitcnt vmcnt(0)
	global_store_dwordx4 v[9:10], v[13:16], off
	v_mul_lo_u32 v15, v2, s3
	v_mad_u64_u32 v[13:14], null, v2, s2, v[3:4]
	v_mul_lo_u32 v16, v17, s2
	v_add_co_u32 v9, s0, v9, s10
	v_add_co_ci_u32_e64 v10, null, s11, v10, s0
	v_add3_u32 v14, v16, v14, v15
	global_store_dwordx2 v[7:8], v[13:14], off
	v_add_co_u32 v7, s0, v7, s6
	v_add_co_ci_u32_e64 v8, null, s7, v8, s0
	s_andn2_b32 exec_lo, exec_lo, s14
	s_cbranch_execnz .LBB307_5
.LBB307_6:
	s_inst_prefetch 0x2
	s_endpgm
	.section	.rodata,"a",@progbits
	.p2align	6, 0x0
	.amdhsa_kernel _ZN9rocsparseL33bsr2csr_block_per_row_8_32_kernelILj1024ELj16E21rocsparse_complex_numIdEllEEv20rocsparse_direction_T3_S4_21rocsparse_index_base_PKT1_PKT2_PKS4_S4_S5_PS6_PS9_PS4_
		.amdhsa_group_segment_fixed_size 0
		.amdhsa_private_segment_fixed_size 0
		.amdhsa_kernarg_size 96
		.amdhsa_user_sgpr_count 6
		.amdhsa_user_sgpr_private_segment_buffer 1
		.amdhsa_user_sgpr_dispatch_ptr 0
		.amdhsa_user_sgpr_queue_ptr 0
		.amdhsa_user_sgpr_kernarg_segment_ptr 1
		.amdhsa_user_sgpr_dispatch_id 0
		.amdhsa_user_sgpr_flat_scratch_init 0
		.amdhsa_user_sgpr_private_segment_size 0
		.amdhsa_wavefront_size32 1
		.amdhsa_uses_dynamic_stack 0
		.amdhsa_system_sgpr_private_segment_wavefront_offset 0
		.amdhsa_system_sgpr_workgroup_id_x 1
		.amdhsa_system_sgpr_workgroup_id_y 0
		.amdhsa_system_sgpr_workgroup_id_z 0
		.amdhsa_system_sgpr_workgroup_info 0
		.amdhsa_system_vgpr_workitem_id 0
		.amdhsa_next_free_vgpr 19
		.amdhsa_next_free_sgpr 23
		.amdhsa_reserve_vcc 1
		.amdhsa_reserve_flat_scratch 0
		.amdhsa_float_round_mode_32 0
		.amdhsa_float_round_mode_16_64 0
		.amdhsa_float_denorm_mode_32 3
		.amdhsa_float_denorm_mode_16_64 3
		.amdhsa_dx10_clamp 1
		.amdhsa_ieee_mode 1
		.amdhsa_fp16_overflow 0
		.amdhsa_workgroup_processor_mode 1
		.amdhsa_memory_ordered 1
		.amdhsa_forward_progress 1
		.amdhsa_shared_vgpr_count 0
		.amdhsa_exception_fp_ieee_invalid_op 0
		.amdhsa_exception_fp_denorm_src 0
		.amdhsa_exception_fp_ieee_div_zero 0
		.amdhsa_exception_fp_ieee_overflow 0
		.amdhsa_exception_fp_ieee_underflow 0
		.amdhsa_exception_fp_ieee_inexact 0
		.amdhsa_exception_int_div_zero 0
	.end_amdhsa_kernel
	.section	.text._ZN9rocsparseL33bsr2csr_block_per_row_8_32_kernelILj1024ELj16E21rocsparse_complex_numIdEllEEv20rocsparse_direction_T3_S4_21rocsparse_index_base_PKT1_PKT2_PKS4_S4_S5_PS6_PS9_PS4_,"axG",@progbits,_ZN9rocsparseL33bsr2csr_block_per_row_8_32_kernelILj1024ELj16E21rocsparse_complex_numIdEllEEv20rocsparse_direction_T3_S4_21rocsparse_index_base_PKT1_PKT2_PKS4_S4_S5_PS6_PS9_PS4_,comdat
.Lfunc_end307:
	.size	_ZN9rocsparseL33bsr2csr_block_per_row_8_32_kernelILj1024ELj16E21rocsparse_complex_numIdEllEEv20rocsparse_direction_T3_S4_21rocsparse_index_base_PKT1_PKT2_PKS4_S4_S5_PS6_PS9_PS4_, .Lfunc_end307-_ZN9rocsparseL33bsr2csr_block_per_row_8_32_kernelILj1024ELj16E21rocsparse_complex_numIdEllEEv20rocsparse_direction_T3_S4_21rocsparse_index_base_PKT1_PKT2_PKS4_S4_S5_PS6_PS9_PS4_
                                        ; -- End function
	.set _ZN9rocsparseL33bsr2csr_block_per_row_8_32_kernelILj1024ELj16E21rocsparse_complex_numIdEllEEv20rocsparse_direction_T3_S4_21rocsparse_index_base_PKT1_PKT2_PKS4_S4_S5_PS6_PS9_PS4_.num_vgpr, 19
	.set _ZN9rocsparseL33bsr2csr_block_per_row_8_32_kernelILj1024ELj16E21rocsparse_complex_numIdEllEEv20rocsparse_direction_T3_S4_21rocsparse_index_base_PKT1_PKT2_PKS4_S4_S5_PS6_PS9_PS4_.num_agpr, 0
	.set _ZN9rocsparseL33bsr2csr_block_per_row_8_32_kernelILj1024ELj16E21rocsparse_complex_numIdEllEEv20rocsparse_direction_T3_S4_21rocsparse_index_base_PKT1_PKT2_PKS4_S4_S5_PS6_PS9_PS4_.numbered_sgpr, 23
	.set _ZN9rocsparseL33bsr2csr_block_per_row_8_32_kernelILj1024ELj16E21rocsparse_complex_numIdEllEEv20rocsparse_direction_T3_S4_21rocsparse_index_base_PKT1_PKT2_PKS4_S4_S5_PS6_PS9_PS4_.num_named_barrier, 0
	.set _ZN9rocsparseL33bsr2csr_block_per_row_8_32_kernelILj1024ELj16E21rocsparse_complex_numIdEllEEv20rocsparse_direction_T3_S4_21rocsparse_index_base_PKT1_PKT2_PKS4_S4_S5_PS6_PS9_PS4_.private_seg_size, 0
	.set _ZN9rocsparseL33bsr2csr_block_per_row_8_32_kernelILj1024ELj16E21rocsparse_complex_numIdEllEEv20rocsparse_direction_T3_S4_21rocsparse_index_base_PKT1_PKT2_PKS4_S4_S5_PS6_PS9_PS4_.uses_vcc, 1
	.set _ZN9rocsparseL33bsr2csr_block_per_row_8_32_kernelILj1024ELj16E21rocsparse_complex_numIdEllEEv20rocsparse_direction_T3_S4_21rocsparse_index_base_PKT1_PKT2_PKS4_S4_S5_PS6_PS9_PS4_.uses_flat_scratch, 0
	.set _ZN9rocsparseL33bsr2csr_block_per_row_8_32_kernelILj1024ELj16E21rocsparse_complex_numIdEllEEv20rocsparse_direction_T3_S4_21rocsparse_index_base_PKT1_PKT2_PKS4_S4_S5_PS6_PS9_PS4_.has_dyn_sized_stack, 0
	.set _ZN9rocsparseL33bsr2csr_block_per_row_8_32_kernelILj1024ELj16E21rocsparse_complex_numIdEllEEv20rocsparse_direction_T3_S4_21rocsparse_index_base_PKT1_PKT2_PKS4_S4_S5_PS6_PS9_PS4_.has_recursion, 0
	.set _ZN9rocsparseL33bsr2csr_block_per_row_8_32_kernelILj1024ELj16E21rocsparse_complex_numIdEllEEv20rocsparse_direction_T3_S4_21rocsparse_index_base_PKT1_PKT2_PKS4_S4_S5_PS6_PS9_PS4_.has_indirect_call, 0
	.section	.AMDGPU.csdata,"",@progbits
; Kernel info:
; codeLenInByte = 1088
; TotalNumSgprs: 25
; NumVgprs: 19
; ScratchSize: 0
; MemoryBound: 0
; FloatMode: 240
; IeeeMode: 1
; LDSByteSize: 0 bytes/workgroup (compile time only)
; SGPRBlocks: 0
; VGPRBlocks: 2
; NumSGPRsForWavesPerEU: 25
; NumVGPRsForWavesPerEU: 19
; Occupancy: 16
; WaveLimiterHint : 0
; COMPUTE_PGM_RSRC2:SCRATCH_EN: 0
; COMPUTE_PGM_RSRC2:USER_SGPR: 6
; COMPUTE_PGM_RSRC2:TRAP_HANDLER: 0
; COMPUTE_PGM_RSRC2:TGID_X_EN: 1
; COMPUTE_PGM_RSRC2:TGID_Y_EN: 0
; COMPUTE_PGM_RSRC2:TGID_Z_EN: 0
; COMPUTE_PGM_RSRC2:TIDIG_COMP_CNT: 0
	.section	.text._ZN9rocsparseL33bsr2csr_block_per_row_8_32_kernelILj1024ELj32E21rocsparse_complex_numIdEllEEv20rocsparse_direction_T3_S4_21rocsparse_index_base_PKT1_PKT2_PKS4_S4_S5_PS6_PS9_PS4_,"axG",@progbits,_ZN9rocsparseL33bsr2csr_block_per_row_8_32_kernelILj1024ELj32E21rocsparse_complex_numIdEllEEv20rocsparse_direction_T3_S4_21rocsparse_index_base_PKT1_PKT2_PKS4_S4_S5_PS6_PS9_PS4_,comdat
	.globl	_ZN9rocsparseL33bsr2csr_block_per_row_8_32_kernelILj1024ELj32E21rocsparse_complex_numIdEllEEv20rocsparse_direction_T3_S4_21rocsparse_index_base_PKT1_PKT2_PKS4_S4_S5_PS6_PS9_PS4_ ; -- Begin function _ZN9rocsparseL33bsr2csr_block_per_row_8_32_kernelILj1024ELj32E21rocsparse_complex_numIdEllEEv20rocsparse_direction_T3_S4_21rocsparse_index_base_PKT1_PKT2_PKS4_S4_S5_PS6_PS9_PS4_
	.p2align	8
	.type	_ZN9rocsparseL33bsr2csr_block_per_row_8_32_kernelILj1024ELj32E21rocsparse_complex_numIdEllEEv20rocsparse_direction_T3_S4_21rocsparse_index_base_PKT1_PKT2_PKS4_S4_S5_PS6_PS9_PS4_,@function
_ZN9rocsparseL33bsr2csr_block_per_row_8_32_kernelILj1024ELj32E21rocsparse_complex_numIdEllEEv20rocsparse_direction_T3_S4_21rocsparse_index_base_PKT1_PKT2_PKS4_S4_S5_PS6_PS9_PS4_: ; @_ZN9rocsparseL33bsr2csr_block_per_row_8_32_kernelILj1024ELj32E21rocsparse_complex_numIdEllEEv20rocsparse_direction_T3_S4_21rocsparse_index_base_PKT1_PKT2_PKS4_S4_S5_PS6_PS9_PS4_
; %bb.0:
	s_clause 0x2
	s_load_dwordx2 s[0:1], s[4:5], 0x28
	s_load_dword s22, s[4:5], 0x40
	s_load_dwordx2 s[20:21], s[4:5], 0x50
	s_mov_b32 s7, 0
	v_or_b32_e32 v1, s6, v0
	s_lshl_b64 s[2:3], s[6:7], 3
	s_waitcnt lgkmcnt(0)
	s_add_u32 s2, s0, s2
	s_addc_u32 s3, s1, s3
	s_mov_b32 s0, exec_lo
	v_cmpx_eq_u32_e32 0, v1
	s_cbranch_execz .LBB308_2
; %bb.1:
	v_mov_b32_e32 v1, s22
	v_mov_b32_e32 v2, 0
	global_store_dwordx2 v2, v[1:2], s[20:21]
.LBB308_2:
	s_or_b32 exec_lo, exec_lo, s0
	s_load_dwordx2 s[8:9], s[4:5], 0x38
	v_mov_b32_e32 v1, 0
	v_lshrrev_b32_e32 v2, 5, v0
	v_and_b32_e32 v0, 31, v0
	v_mov_b32_e32 v3, v1
	s_waitcnt lgkmcnt(0)
	v_cmp_gt_i64_e32 vcc_lo, s[8:9], v[2:3]
	v_cmp_gt_i64_e64 s0, s[8:9], v[0:1]
	s_and_b32 s0, vcc_lo, s0
	s_and_saveexec_b32 s1, s0
	s_cbranch_execz .LBB308_6
; %bb.3:
	s_load_dwordx4 s[0:3], s[2:3], 0x0
	s_load_dword s10, s[4:5], 0x18
	s_mul_i32 s7, s8, s9
	s_mul_hi_u32 s11, s8, s8
	s_mul_i32 s16, s8, s8
	s_waitcnt lgkmcnt(0)
	s_sub_u32 s12, s0, s10
	s_subb_u32 s13, s1, 0
	s_sub_u32 s14, s2, s10
	s_subb_u32 s15, s3, 0
	s_add_i32 s11, s11, s7
	s_mul_i32 s19, s13, s16
	s_add_i32 s17, s11, s7
	s_mul_hi_u32 s7, s12, s16
	s_mul_i32 s11, s12, s17
	s_mul_i32 s18, s12, s16
	s_add_i32 s7, s7, s11
	s_add_i32 s19, s7, s19
	s_sub_u32 s23, s14, s12
	s_subb_u32 s7, s15, s13
	s_mul_i32 s11, s23, s9
	s_mul_hi_u32 s24, s23, s8
	s_mul_i32 s25, s7, s8
	s_add_i32 s11, s24, s11
	s_mul_i32 s26, s23, s8
	s_add_i32 s11, s11, s25
	s_add_u32 s24, s26, s22
	s_addc_u32 s25, s11, 0
	s_add_u32 s24, s24, s18
	s_addc_u32 s25, s25, s19
	v_mad_u64_u32 v[3:4], null, s26, v2, s[24:25]
	s_mul_hi_u32 s25, s8, s6
	s_mul_i32 s24, s8, s6
	v_mov_b32_e32 v1, v4
	v_mad_u64_u32 v[4:5], null, s11, v2, v[1:2]
	s_mul_i32 s11, s9, s6
	v_cmp_ge_i64_e64 s6, s[0:1], s[2:3]
	s_add_i32 s25, s25, s11
	v_lshlrev_b32_e32 v1, 3, v2
	s_lshl_b64 s[2:3], s[24:25], 3
	s_mov_b32 s11, 0
	s_add_u32 s2, s20, s2
	s_addc_u32 s3, s21, s3
	s_and_b32 vcc_lo, exec_lo, s6
	global_store_dwordx2 v1, v[3:4], s[2:3] offset:8
	s_cbranch_vccnz .LBB308_6
; %bb.4:
	v_mad_u64_u32 v[3:4], null, s8, v0, 0
	v_mad_u64_u32 v[5:6], null, s8, v2, 0
	s_clause 0x3
	s_load_dwordx2 s[20:21], s[4:5], 0x30
	s_load_dwordx2 s[24:25], s[4:5], 0x48
	s_load_dword s6, s[4:5], 0x0
	s_load_dwordx2 s[2:3], s[4:5], 0x20
	v_lshlrev_b32_e32 v9, 4, v0
	s_mul_i32 s26, s8, s13
	v_mov_b32_e32 v1, v4
	v_mov_b32_e32 v4, v6
	v_mad_u64_u32 v[6:7], null, s9, v0, v[1:2]
	v_mad_u64_u32 v[7:8], null, s9, v2, v[4:5]
	v_lshlrev_b32_e32 v1, 4, v2
	v_mov_b32_e32 v4, v6
	v_mov_b32_e32 v6, v7
	s_waitcnt lgkmcnt(0)
	s_cmp_eq_u32 s6, 0
	v_lshlrev_b64 v[3:4], 4, v[3:4]
	v_lshlrev_b64 v[5:6], 4, v[5:6]
	v_add_co_u32 v3, vcc_lo, s2, v3
	v_add_co_ci_u32_e64 v4, null, s3, v4, vcc_lo
	v_add_co_u32 v5, vcc_lo, s2, v5
	v_add_co_ci_u32_e64 v6, null, s3, v6, vcc_lo
	;; [unrolled: 2-line block ×3, first 2 shown]
	v_add_co_u32 v10, vcc_lo, v5, v9
	s_mul_hi_u32 s2, s8, s12
	v_add_co_ci_u32_e64 v11, null, 0, v6, vcc_lo
	s_cselect_b32 vcc_lo, -1, 0
	s_add_i32 s2, s2, s26
	s_mul_i32 s3, s9, s12
	s_lshl_b64 s[18:19], s[18:19], 4
	s_add_i32 s3, s2, s3
	s_mul_i32 s2, s8, s12
	s_lshl_b64 s[0:1], s[0:1], 3
	v_mad_u64_u32 v[3:4], null, v2, s23, s[2:3]
	v_mov_b32_e32 v1, v4
	v_mul_lo_u32 v4, s9, v3
	v_mad_u64_u32 v[5:6], null, s8, v3, 0
	v_mad_u64_u32 v[1:2], null, v2, s7, v[1:2]
	s_load_dwordx2 s[6:7], s[4:5], 0x58
	s_lshl_b64 s[4:5], s[8:9], 3
	v_mul_lo_u32 v3, s8, v1
	v_add_co_u32 v1, s2, v0, s22
	v_lshlrev_b32_e32 v0, 3, v0
	v_add_co_ci_u32_e64 v2, null, 0, 0, s2
	s_lshl_b64 s[2:3], s[16:17], 4
	s_lshl_b64 s[16:17], s[10:11], 3
	v_add3_u32 v6, v6, v3, v4
	v_cndmask_b32_e32 v3, v7, v10, vcc_lo
	v_cndmask_b32_e32 v4, v8, v11, vcc_lo
	v_lshlrev_b64 v[7:8], 3, v[5:6]
	v_lshlrev_b64 v[5:6], 4, v[5:6]
	v_add_co_u32 v3, vcc_lo, v3, s18
	v_add_co_ci_u32_e64 v4, null, s19, v4, vcc_lo
	v_add_co_u32 v0, vcc_lo, v7, v0
	v_add_co_ci_u32_e64 v7, null, 0, v8, vcc_lo
	v_add_co_u32 v8, vcc_lo, v5, v9
	v_add_co_ci_u32_e64 v9, null, 0, v6, vcc_lo
	s_waitcnt lgkmcnt(0)
	v_add_co_u32 v5, vcc_lo, s6, v0
	v_add_co_ci_u32_e64 v6, null, s7, v7, vcc_lo
	v_add_co_u32 v7, vcc_lo, s24, v8
	s_lshl_b64 s[6:7], s[8:9], 4
	v_add_co_ci_u32_e64 v8, null, s25, v9, vcc_lo
	s_sub_u32 s0, s0, s16
	s_subb_u32 s1, s1, s17
	s_add_u32 s16, s20, s0
	s_addc_u32 s17, s21, s1
	s_inst_prefetch 0x1
	.p2align	6
.LBB308_5:                              ; =>This Inner Loop Header: Depth=1
	global_load_dwordx4 v[9:12], v[3:4], off
	s_load_dwordx2 s[0:1], s[16:17], 0x0
	v_add_co_u32 v3, vcc_lo, v3, s2
	v_add_co_ci_u32_e64 v4, null, s3, v4, vcc_lo
	s_waitcnt lgkmcnt(0)
	s_sub_u32 s0, s0, s10
	s_subb_u32 s1, s1, 0
	v_mad_u64_u32 v[13:14], null, s0, s8, v[1:2]
	s_mul_i32 s0, s0, s9
	s_mul_i32 s1, s1, s8
	s_add_u32 s12, s12, 1
	s_addc_u32 s13, s13, 0
	s_add_u32 s16, s16, 8
	v_cmp_lt_i64_e64 s11, s[12:13], s[14:15]
	v_add3_u32 v14, s0, s1, v14
	s_addc_u32 s17, s17, 0
	s_and_b32 vcc_lo, exec_lo, s11
	global_store_dwordx2 v[5:6], v[13:14], off
	v_add_co_u32 v5, s0, v5, s4
	v_add_co_ci_u32_e64 v6, null, s5, v6, s0
	s_waitcnt vmcnt(0)
	global_store_dwordx4 v[7:8], v[9:12], off
	v_add_co_u32 v7, s0, v7, s6
	v_add_co_ci_u32_e64 v8, null, s7, v8, s0
	s_cbranch_vccnz .LBB308_5
.LBB308_6:
	s_inst_prefetch 0x2
	s_endpgm
	.section	.rodata,"a",@progbits
	.p2align	6, 0x0
	.amdhsa_kernel _ZN9rocsparseL33bsr2csr_block_per_row_8_32_kernelILj1024ELj32E21rocsparse_complex_numIdEllEEv20rocsparse_direction_T3_S4_21rocsparse_index_base_PKT1_PKT2_PKS4_S4_S5_PS6_PS9_PS4_
		.amdhsa_group_segment_fixed_size 0
		.amdhsa_private_segment_fixed_size 0
		.amdhsa_kernarg_size 96
		.amdhsa_user_sgpr_count 6
		.amdhsa_user_sgpr_private_segment_buffer 1
		.amdhsa_user_sgpr_dispatch_ptr 0
		.amdhsa_user_sgpr_queue_ptr 0
		.amdhsa_user_sgpr_kernarg_segment_ptr 1
		.amdhsa_user_sgpr_dispatch_id 0
		.amdhsa_user_sgpr_flat_scratch_init 0
		.amdhsa_user_sgpr_private_segment_size 0
		.amdhsa_wavefront_size32 1
		.amdhsa_uses_dynamic_stack 0
		.amdhsa_system_sgpr_private_segment_wavefront_offset 0
		.amdhsa_system_sgpr_workgroup_id_x 1
		.amdhsa_system_sgpr_workgroup_id_y 0
		.amdhsa_system_sgpr_workgroup_id_z 0
		.amdhsa_system_sgpr_workgroup_info 0
		.amdhsa_system_vgpr_workitem_id 0
		.amdhsa_next_free_vgpr 15
		.amdhsa_next_free_sgpr 27
		.amdhsa_reserve_vcc 1
		.amdhsa_reserve_flat_scratch 0
		.amdhsa_float_round_mode_32 0
		.amdhsa_float_round_mode_16_64 0
		.amdhsa_float_denorm_mode_32 3
		.amdhsa_float_denorm_mode_16_64 3
		.amdhsa_dx10_clamp 1
		.amdhsa_ieee_mode 1
		.amdhsa_fp16_overflow 0
		.amdhsa_workgroup_processor_mode 1
		.amdhsa_memory_ordered 1
		.amdhsa_forward_progress 1
		.amdhsa_shared_vgpr_count 0
		.amdhsa_exception_fp_ieee_invalid_op 0
		.amdhsa_exception_fp_denorm_src 0
		.amdhsa_exception_fp_ieee_div_zero 0
		.amdhsa_exception_fp_ieee_overflow 0
		.amdhsa_exception_fp_ieee_underflow 0
		.amdhsa_exception_fp_ieee_inexact 0
		.amdhsa_exception_int_div_zero 0
	.end_amdhsa_kernel
	.section	.text._ZN9rocsparseL33bsr2csr_block_per_row_8_32_kernelILj1024ELj32E21rocsparse_complex_numIdEllEEv20rocsparse_direction_T3_S4_21rocsparse_index_base_PKT1_PKT2_PKS4_S4_S5_PS6_PS9_PS4_,"axG",@progbits,_ZN9rocsparseL33bsr2csr_block_per_row_8_32_kernelILj1024ELj32E21rocsparse_complex_numIdEllEEv20rocsparse_direction_T3_S4_21rocsparse_index_base_PKT1_PKT2_PKS4_S4_S5_PS6_PS9_PS4_,comdat
.Lfunc_end308:
	.size	_ZN9rocsparseL33bsr2csr_block_per_row_8_32_kernelILj1024ELj32E21rocsparse_complex_numIdEllEEv20rocsparse_direction_T3_S4_21rocsparse_index_base_PKT1_PKT2_PKS4_S4_S5_PS6_PS9_PS4_, .Lfunc_end308-_ZN9rocsparseL33bsr2csr_block_per_row_8_32_kernelILj1024ELj32E21rocsparse_complex_numIdEllEEv20rocsparse_direction_T3_S4_21rocsparse_index_base_PKT1_PKT2_PKS4_S4_S5_PS6_PS9_PS4_
                                        ; -- End function
	.set _ZN9rocsparseL33bsr2csr_block_per_row_8_32_kernelILj1024ELj32E21rocsparse_complex_numIdEllEEv20rocsparse_direction_T3_S4_21rocsparse_index_base_PKT1_PKT2_PKS4_S4_S5_PS6_PS9_PS4_.num_vgpr, 15
	.set _ZN9rocsparseL33bsr2csr_block_per_row_8_32_kernelILj1024ELj32E21rocsparse_complex_numIdEllEEv20rocsparse_direction_T3_S4_21rocsparse_index_base_PKT1_PKT2_PKS4_S4_S5_PS6_PS9_PS4_.num_agpr, 0
	.set _ZN9rocsparseL33bsr2csr_block_per_row_8_32_kernelILj1024ELj32E21rocsparse_complex_numIdEllEEv20rocsparse_direction_T3_S4_21rocsparse_index_base_PKT1_PKT2_PKS4_S4_S5_PS6_PS9_PS4_.numbered_sgpr, 27
	.set _ZN9rocsparseL33bsr2csr_block_per_row_8_32_kernelILj1024ELj32E21rocsparse_complex_numIdEllEEv20rocsparse_direction_T3_S4_21rocsparse_index_base_PKT1_PKT2_PKS4_S4_S5_PS6_PS9_PS4_.num_named_barrier, 0
	.set _ZN9rocsparseL33bsr2csr_block_per_row_8_32_kernelILj1024ELj32E21rocsparse_complex_numIdEllEEv20rocsparse_direction_T3_S4_21rocsparse_index_base_PKT1_PKT2_PKS4_S4_S5_PS6_PS9_PS4_.private_seg_size, 0
	.set _ZN9rocsparseL33bsr2csr_block_per_row_8_32_kernelILj1024ELj32E21rocsparse_complex_numIdEllEEv20rocsparse_direction_T3_S4_21rocsparse_index_base_PKT1_PKT2_PKS4_S4_S5_PS6_PS9_PS4_.uses_vcc, 1
	.set _ZN9rocsparseL33bsr2csr_block_per_row_8_32_kernelILj1024ELj32E21rocsparse_complex_numIdEllEEv20rocsparse_direction_T3_S4_21rocsparse_index_base_PKT1_PKT2_PKS4_S4_S5_PS6_PS9_PS4_.uses_flat_scratch, 0
	.set _ZN9rocsparseL33bsr2csr_block_per_row_8_32_kernelILj1024ELj32E21rocsparse_complex_numIdEllEEv20rocsparse_direction_T3_S4_21rocsparse_index_base_PKT1_PKT2_PKS4_S4_S5_PS6_PS9_PS4_.has_dyn_sized_stack, 0
	.set _ZN9rocsparseL33bsr2csr_block_per_row_8_32_kernelILj1024ELj32E21rocsparse_complex_numIdEllEEv20rocsparse_direction_T3_S4_21rocsparse_index_base_PKT1_PKT2_PKS4_S4_S5_PS6_PS9_PS4_.has_recursion, 0
	.set _ZN9rocsparseL33bsr2csr_block_per_row_8_32_kernelILj1024ELj32E21rocsparse_complex_numIdEllEEv20rocsparse_direction_T3_S4_21rocsparse_index_base_PKT1_PKT2_PKS4_S4_S5_PS6_PS9_PS4_.has_indirect_call, 0
	.section	.AMDGPU.csdata,"",@progbits
; Kernel info:
; codeLenInByte = 992
; TotalNumSgprs: 29
; NumVgprs: 15
; ScratchSize: 0
; MemoryBound: 0
; FloatMode: 240
; IeeeMode: 1
; LDSByteSize: 0 bytes/workgroup (compile time only)
; SGPRBlocks: 0
; VGPRBlocks: 1
; NumSGPRsForWavesPerEU: 29
; NumVGPRsForWavesPerEU: 15
; Occupancy: 16
; WaveLimiterHint : 0
; COMPUTE_PGM_RSRC2:SCRATCH_EN: 0
; COMPUTE_PGM_RSRC2:USER_SGPR: 6
; COMPUTE_PGM_RSRC2:TRAP_HANDLER: 0
; COMPUTE_PGM_RSRC2:TGID_X_EN: 1
; COMPUTE_PGM_RSRC2:TGID_Y_EN: 0
; COMPUTE_PGM_RSRC2:TGID_Z_EN: 0
; COMPUTE_PGM_RSRC2:TIDIG_COMP_CNT: 0
	.section	.text._ZN9rocsparseL35bsr2csr_block_per_row_33_256_kernelILj1024ELj64ELj32E21rocsparse_complex_numIdEllEEv20rocsparse_direction_T4_S4_21rocsparse_index_base_PKT2_PKT3_PKS4_S4_S5_PS6_PS9_PS4_,"axG",@progbits,_ZN9rocsparseL35bsr2csr_block_per_row_33_256_kernelILj1024ELj64ELj32E21rocsparse_complex_numIdEllEEv20rocsparse_direction_T4_S4_21rocsparse_index_base_PKT2_PKT3_PKS4_S4_S5_PS6_PS9_PS4_,comdat
	.globl	_ZN9rocsparseL35bsr2csr_block_per_row_33_256_kernelILj1024ELj64ELj32E21rocsparse_complex_numIdEllEEv20rocsparse_direction_T4_S4_21rocsparse_index_base_PKT2_PKT3_PKS4_S4_S5_PS6_PS9_PS4_ ; -- Begin function _ZN9rocsparseL35bsr2csr_block_per_row_33_256_kernelILj1024ELj64ELj32E21rocsparse_complex_numIdEllEEv20rocsparse_direction_T4_S4_21rocsparse_index_base_PKT2_PKT3_PKS4_S4_S5_PS6_PS9_PS4_
	.p2align	8
	.type	_ZN9rocsparseL35bsr2csr_block_per_row_33_256_kernelILj1024ELj64ELj32E21rocsparse_complex_numIdEllEEv20rocsparse_direction_T4_S4_21rocsparse_index_base_PKT2_PKT3_PKS4_S4_S5_PS6_PS9_PS4_,@function
_ZN9rocsparseL35bsr2csr_block_per_row_33_256_kernelILj1024ELj64ELj32E21rocsparse_complex_numIdEllEEv20rocsparse_direction_T4_S4_21rocsparse_index_base_PKT2_PKT3_PKS4_S4_S5_PS6_PS9_PS4_: ; @_ZN9rocsparseL35bsr2csr_block_per_row_33_256_kernelILj1024ELj64ELj32E21rocsparse_complex_numIdEllEEv20rocsparse_direction_T4_S4_21rocsparse_index_base_PKT2_PKT3_PKS4_S4_S5_PS6_PS9_PS4_
; %bb.0:
	s_load_dwordx2 s[0:1], s[4:5], 0x28
	s_mov_b32 s13, 0
	s_clause 0x1
	s_load_dword s14, s[4:5], 0x40
	s_load_dwordx2 s[2:3], s[4:5], 0x50
	s_mov_b32 s7, s13
	v_or_b32_e32 v1, s6, v0
	s_lshl_b64 s[8:9], s[6:7], 3
	s_waitcnt lgkmcnt(0)
	s_add_u32 s0, s0, s8
	s_addc_u32 s1, s1, s9
	s_load_dwordx4 s[8:11], s[0:1], 0x0
	s_mov_b32 s0, exec_lo
	v_cmpx_eq_u32_e32 0, v1
	s_cbranch_execz .LBB309_2
; %bb.1:
	s_mov_b32 s15, s13
	v_mov_b32_e32 v1, s14
	v_mov_b32_e32 v3, 0
	;; [unrolled: 1-line block ×3, first 2 shown]
	global_store_dwordx2 v3, v[1:2], s[2:3]
.LBB309_2:
	s_or_b32 exec_lo, exec_lo, s0
	s_clause 0x1
	s_load_dword s12, s[4:5], 0x18
	s_load_dwordx2 s[16:17], s[4:5], 0x38
	v_mov_b32_e32 v6, 0
	v_lshrrev_b32_e32 v5, 5, v0
	v_lshlrev_b32_e32 v3, 3, v5
	s_waitcnt lgkmcnt(0)
	s_sub_u32 s18, s8, s12
	s_subb_u32 s19, s9, 0
	s_mul_hi_u32 s0, s16, s18
	s_mul_i32 s20, s16, s19
	s_mul_i32 s1, s17, s6
	s_mul_hi_u32 s23, s16, s6
	s_mul_i32 s22, s16, s6
	s_sub_u32 s6, s10, s12
	s_mul_i32 s15, s17, s18
	s_mul_i32 s24, s16, s18
	s_subb_u32 s7, s11, 0
	s_add_i32 s0, s0, s20
	s_mul_i32 s21, s24, s17
	s_mul_hi_u32 s20, s24, s16
	s_add_i32 s25, s0, s15
	s_add_i32 s0, s20, s21
	s_mul_i32 s15, s25, s16
	s_mul_i32 s20, s24, s16
	s_add_i32 s21, s0, s15
	s_sub_u32 s0, s6, s18
	s_subb_u32 s30, s7, s19
	s_mul_i32 s15, s0, s17
	s_mul_hi_u32 s26, s0, s16
	s_mul_i32 s27, s30, s16
	s_add_i32 s15, s26, s15
	s_mul_i32 s26, s0, s16
	s_add_i32 s15, s15, s27
	s_add_u32 s20, s20, s14
	s_addc_u32 s21, s21, 0
	s_add_u32 s20, s20, s26
	s_addc_u32 s21, s21, s15
	s_add_i32 s23, s23, s1
	v_cmp_gt_i64_e64 s1, s[16:17], v[5:6]
	s_lshl_b64 s[22:23], s[22:23], 3
	s_add_u32 s22, s2, s22
	s_addc_u32 s23, s3, s23
	s_and_saveexec_b32 s2, s1
	s_cbranch_execz .LBB309_4
; %bb.3:
	v_mad_u64_u32 v[1:2], null, v5, s26, s[20:21]
	v_mad_u64_u32 v[7:8], null, v5, s15, v[2:3]
	v_mov_b32_e32 v2, v7
	global_store_dwordx2 v3, v[1:2], s[22:23] offset:8
.LBB309_4:
	s_or_b32 exec_lo, exec_lo, s2
	v_or_b32_e32 v1, 32, v5
	v_mov_b32_e32 v2, v6
	v_cmp_gt_i64_e64 s2, s[16:17], v[1:2]
	s_and_saveexec_b32 s3, s2
	s_cbranch_execz .LBB309_6
; %bb.5:
	v_mad_u64_u32 v[6:7], null, v1, s26, s[20:21]
	v_mov_b32_e32 v2, v7
	v_mad_u64_u32 v[1:2], null, v1, s15, v[2:3]
	v_mov_b32_e32 v7, v1
	global_store_dwordx2 v3, v[6:7], s[22:23] offset:264
.LBB309_6:
	s_or_b32 exec_lo, exec_lo, s3
	v_cmp_lt_i64_e64 s3, s[8:9], s[10:11]
	s_and_b32 vcc_lo, exec_lo, s3
	s_cbranch_vccz .LBB309_17
; %bb.7:
	s_clause 0x4
	s_load_dwordx2 s[28:29], s[4:5], 0x30
	s_load_dwordx2 s[22:23], s[4:5], 0x48
	s_load_dword s3, s[4:5], 0x0
	s_load_dwordx2 s[20:21], s[4:5], 0x20
	s_load_dwordx2 s[26:27], s[4:5], 0x58
	v_lshlrev_b32_e32 v9, 4, v5
	v_mad_u64_u32 v[11:12], null, v5, s0, s[24:25]
	v_and_b32_e32 v0, 31, v0
	v_mov_b32_e32 v1, 0
	s_mul_i32 s5, s16, s17
	s_mul_hi_u32 s31, s16, s16
	s_mul_i32 s4, s16, s16
	v_or_b32_e32 v2, 32, v0
	v_mov_b32_e32 v3, v1
	v_lshlrev_b32_e32 v13, 4, v0
	v_mov_b32_e32 v14, v1
	v_cmp_gt_i64_e32 vcc_lo, s[16:17], v[0:1]
	v_mov_b32_e32 v10, v1
	s_waitcnt lgkmcnt(0)
	s_cmp_eq_u32 s3, 0
	s_cselect_b32 s0, -1, 0
	s_lshl_b64 s[34:35], s[24:25], 4
	s_add_i32 s25, s31, s5
	v_add_co_u32 v6, s3, s34, v9
	v_add_co_ci_u32_e64 v7, null, s35, 0, s3
	s_add_i32 s5, s25, s5
	v_add_co_u32 v4, s3, 0x200, v6
	v_add_co_ci_u32_e64 v8, null, 0, v7, s3
	v_cmp_gt_i64_e64 s3, s[16:17], v[2:3]
	s_and_b32 s15, s1, vcc_lo
	s_and_b32 s24, s2, vcc_lo
	v_mul_lo_u32 v1, s16, v8
	v_mul_lo_u32 v8, s17, v4
	v_mad_u64_u32 v[3:4], null, s16, v4, v[13:14]
	s_and_b32 s1, s1, s3
	s_and_b32 s25, s2, s3
	s_lshl_b64 s[2:3], s[4:5], 4
	v_add_co_u32 v21, s4, s34, v13
	v_add_co_ci_u32_e64 v18, null, s35, 0, s4
	v_add3_u32 v4, v8, v4, v1
	v_mov_b32_e32 v1, v12
	v_mul_lo_u32 v17, s16, v7
	v_add_co_u32 v7, vcc_lo, 0x200, v21
	s_lshl_b64 s[4:5], s[8:9], 3
	v_mad_u64_u32 v[15:16], null, v5, s30, v[1:2]
	s_lshl_b64 s[30:31], s[12:13], 3
	v_add_co_ci_u32_e64 v8, null, 0, v18, vcc_lo
	v_mul_lo_u32 v16, s16, v18
	v_mul_lo_u32 v12, s17, v11
	v_mad_u64_u32 v[18:19], null, s16, v11, 0
	v_mul_lo_u32 v22, s16, v15
	s_sub_u32 s4, s4, s30
	s_subb_u32 s5, s5, s31
	s_add_u32 s4, s28, s4
	s_addc_u32 s5, s29, s5
	s_lshl_b64 s[10:11], s[10:11], 5
	s_lshl_b64 s[8:9], s[8:9], 5
	v_add_co_u32 v11, vcc_lo, v11, s10
	v_add3_u32 v19, v19, v22, v12
	v_add_co_ci_u32_e64 v12, null, s11, v15, vcc_lo
	v_mul_lo_u32 v20, s17, v6
	v_mad_u64_u32 v[5:6], null, s16, v6, v[13:14]
	v_sub_co_u32 v15, vcc_lo, v11, s8
	v_subrev_co_ci_u32_e64 v22, null, s9, v12, vcc_lo
	v_mul_lo_u32 v1, s16, v8
	v_mul_lo_u32 v14, s17, v7
	v_mad_u64_u32 v[7:8], null, s16, v7, v[9:10]
	v_mul_lo_u32 v23, s17, v21
	v_mad_u64_u32 v[9:10], null, s16, v21, v[9:10]
	v_add3_u32 v6, v20, v6, v17
	v_mul_lo_u32 v17, s17, v15
	v_mul_lo_u32 v22, s16, v22
	v_mad_u64_u32 v[20:21], null, s16, v15, 0
	v_lshlrev_b64 v[11:12], 3, v[18:19]
	v_add3_u32 v8, v14, v8, v1
	v_lshlrev_b32_e32 v14, 3, v0
	v_add3_u32 v10, v23, v10, v16
	s_lshl_b64 s[10:11], s[16:17], 4
	v_add3_u32 v21, v21, v22, v17
	v_lshlrev_b64 v[22:23], 4, v[18:19]
	v_add_co_u32 v1, vcc_lo, 0x100, v11
	v_add_co_u32 v16, s8, s26, v14
	v_add_co_ci_u32_e64 v15, null, 0, v12, vcc_lo
	v_add_co_ci_u32_e64 v17, null, s27, 0, s8
	v_lshlrev_b64 v[11:12], 4, v[20:21]
	v_add_co_u32 v18, s8, s22, v13
	v_lshlrev_b64 v[13:14], 3, v[20:21]
	v_add_co_u32 v20, vcc_lo, 0x200, v22
	v_add_co_ci_u32_e64 v19, null, s23, 0, s8
	v_add_co_ci_u32_e64 v21, null, 0, v23, vcc_lo
	s_lshl_b64 s[8:9], s[16:17], 3
	s_branch .LBB309_9
.LBB309_8:                              ;   in Loop: Header=BB309_9 Depth=1
	s_or_b32 exec_lo, exec_lo, s23
	s_add_u32 s18, s18, 1
	s_addc_u32 s19, s19, 0
	v_add_co_u32 v16, vcc_lo, v16, s8
	v_cmp_ge_i64_e64 s13, s[18:19], s[6:7]
	v_add_co_ci_u32_e64 v17, null, s9, v17, vcc_lo
	v_add_co_u32 v18, vcc_lo, v18, s10
	s_add_u32 s20, s20, s2
	v_add_co_ci_u32_e64 v19, null, s11, v19, vcc_lo
	s_addc_u32 s21, s21, s3
	s_add_u32 s4, s4, 8
	s_addc_u32 s5, s5, 0
	s_and_b32 vcc_lo, exec_lo, s13
	s_cbranch_vccnz .LBB309_17
.LBB309_9:                              ; =>This Inner Loop Header: Depth=1
	s_load_dwordx2 s[22:23], s[4:5], 0x0
	s_waitcnt lgkmcnt(0)
	s_sub_u32 s13, s22, s12
	s_subb_u32 s23, s23, 0
	s_mul_i32 s22, s13, s17
	s_mul_hi_u32 s26, s13, s16
	s_mul_i32 s23, s23, s16
	s_add_i32 s22, s26, s22
	s_mul_i32 s13, s13, s16
	s_add_i32 s22, s22, s23
	s_add_u32 s13, s13, s14
	s_addc_u32 s22, s22, 0
	s_and_saveexec_b32 s23, s15
	s_cbranch_execnz .LBB309_13
; %bb.10:                               ;   in Loop: Header=BB309_9 Depth=1
	s_or_b32 exec_lo, exec_lo, s23
	s_and_saveexec_b32 s23, s1
	s_cbranch_execnz .LBB309_14
.LBB309_11:                             ;   in Loop: Header=BB309_9 Depth=1
	s_or_b32 exec_lo, exec_lo, s23
	s_and_saveexec_b32 s23, s24
	s_cbranch_execnz .LBB309_15
.LBB309_12:                             ;   in Loop: Header=BB309_9 Depth=1
	s_or_b32 exec_lo, exec_lo, s23
	s_and_saveexec_b32 s23, s25
	s_cbranch_execz .LBB309_8
	s_branch .LBB309_16
.LBB309_13:                             ;   in Loop: Header=BB309_9 Depth=1
	v_add_co_u32 v22, vcc_lo, s20, v5
	v_add_co_ci_u32_e64 v23, null, s21, v6, vcc_lo
	v_add_co_u32 v24, vcc_lo, s20, v9
	v_add_co_ci_u32_e64 v25, null, s21, v10, vcc_lo
	v_add_co_u32 v28, vcc_lo, v16, v1
	v_cndmask_b32_e64 v22, v24, v22, s0
	v_cndmask_b32_e64 v23, v25, v23, s0
	v_add_co_u32 v26, s26, s13, v0
	v_add_co_ci_u32_e64 v29, null, v17, v15, vcc_lo
	global_load_dwordx4 v[22:25], v[22:23], off
	v_add_co_u32 v30, vcc_lo, v18, v20
	v_add_co_ci_u32_e64 v27, null, s22, 0, s26
	v_add_co_ci_u32_e64 v31, null, v19, v21, vcc_lo
	global_store_dwordx2 v[28:29], v[26:27], off offset:-256
	s_waitcnt vmcnt(0)
	global_store_dwordx4 v[30:31], v[22:25], off offset:-512
	s_or_b32 exec_lo, exec_lo, s23
	s_and_saveexec_b32 s23, s1
	s_cbranch_execz .LBB309_11
.LBB309_14:                             ;   in Loop: Header=BB309_9 Depth=1
	v_add_co_u32 v22, vcc_lo, s20, v5
	v_add_co_ci_u32_e64 v23, null, s21, v6, vcc_lo
	v_add_co_u32 v26, s26, s13, v2
	v_add_co_u32 v22, vcc_lo, 0x200, v22
	v_add_co_ci_u32_e64 v23, null, 0, v23, vcc_lo
	v_add_co_u32 v24, vcc_lo, s20, v7
	v_add_co_ci_u32_e64 v25, null, s21, v8, vcc_lo
	v_add_co_u32 v28, vcc_lo, v16, v1
	v_cndmask_b32_e64 v22, v24, v22, s0
	v_cndmask_b32_e64 v23, v25, v23, s0
	v_add_co_ci_u32_e64 v29, null, v17, v15, vcc_lo
	v_add_co_u32 v30, vcc_lo, v18, v20
	global_load_dwordx4 v[22:25], v[22:23], off
	v_add_co_ci_u32_e64 v27, null, s22, 0, s26
	v_add_co_ci_u32_e64 v31, null, v19, v21, vcc_lo
	global_store_dwordx2 v[28:29], v[26:27], off
	s_waitcnt vmcnt(0)
	global_store_dwordx4 v[30:31], v[22:25], off
	s_or_b32 exec_lo, exec_lo, s23
	s_and_saveexec_b32 s23, s24
	s_cbranch_execz .LBB309_12
.LBB309_15:                             ;   in Loop: Header=BB309_9 Depth=1
	v_add_co_u32 v22, vcc_lo, s20, v9
	v_add_co_ci_u32_e64 v23, null, s21, v10, vcc_lo
	v_add_co_u32 v24, vcc_lo, s20, v3
	v_add_co_ci_u32_e64 v25, null, s21, v4, vcc_lo
	;; [unrolled: 2-line block ×3, first 2 shown]
	v_add_co_u32 v28, vcc_lo, v16, v13
	v_cndmask_b32_e64 v22, v22, v24, s0
	v_cndmask_b32_e64 v23, v23, v25, s0
	v_add_co_u32 v26, s26, s13, v0
	v_add_co_ci_u32_e64 v29, null, v17, v14, vcc_lo
	global_load_dwordx4 v[22:25], v[22:23], off
	v_add_co_u32 v30, vcc_lo, v18, v11
	v_add_co_ci_u32_e64 v27, null, s22, 0, s26
	v_add_co_ci_u32_e64 v31, null, v19, v12, vcc_lo
	global_store_dwordx2 v[28:29], v[26:27], off
	s_waitcnt vmcnt(0)
	global_store_dwordx4 v[30:31], v[22:25], off
	s_or_b32 exec_lo, exec_lo, s23
	s_and_saveexec_b32 s23, s25
	s_cbranch_execz .LBB309_8
.LBB309_16:                             ;   in Loop: Header=BB309_9 Depth=1
	v_add_co_u32 v22, vcc_lo, s20, v3
	v_add_co_ci_u32_e64 v23, null, s21, v4, vcc_lo
	v_add_co_u32 v24, vcc_lo, s20, v7
	v_add_co_ci_u32_e64 v25, null, s21, v8, vcc_lo
	;; [unrolled: 2-line block ×4, first 2 shown]
	v_add_co_u32 v28, vcc_lo, v16, v13
	v_cndmask_b32_e64 v22, v24, v22, s0
	v_cndmask_b32_e64 v23, v25, v23, s0
	v_add_co_u32 v26, s13, s13, v2
	v_add_co_ci_u32_e64 v29, null, v17, v14, vcc_lo
	global_load_dwordx4 v[22:25], v[22:23], off
	v_add_co_u32 v30, vcc_lo, v18, v11
	v_add_co_ci_u32_e64 v27, null, s22, 0, s13
	v_add_co_ci_u32_e64 v31, null, v19, v12, vcc_lo
	global_store_dwordx2 v[28:29], v[26:27], off offset:256
	s_waitcnt vmcnt(0)
	global_store_dwordx4 v[30:31], v[22:25], off offset:512
	s_branch .LBB309_8
.LBB309_17:
	s_endpgm
	.section	.rodata,"a",@progbits
	.p2align	6, 0x0
	.amdhsa_kernel _ZN9rocsparseL35bsr2csr_block_per_row_33_256_kernelILj1024ELj64ELj32E21rocsparse_complex_numIdEllEEv20rocsparse_direction_T4_S4_21rocsparse_index_base_PKT2_PKT3_PKS4_S4_S5_PS6_PS9_PS4_
		.amdhsa_group_segment_fixed_size 0
		.amdhsa_private_segment_fixed_size 0
		.amdhsa_kernarg_size 96
		.amdhsa_user_sgpr_count 6
		.amdhsa_user_sgpr_private_segment_buffer 1
		.amdhsa_user_sgpr_dispatch_ptr 0
		.amdhsa_user_sgpr_queue_ptr 0
		.amdhsa_user_sgpr_kernarg_segment_ptr 1
		.amdhsa_user_sgpr_dispatch_id 0
		.amdhsa_user_sgpr_flat_scratch_init 0
		.amdhsa_user_sgpr_private_segment_size 0
		.amdhsa_wavefront_size32 1
		.amdhsa_uses_dynamic_stack 0
		.amdhsa_system_sgpr_private_segment_wavefront_offset 0
		.amdhsa_system_sgpr_workgroup_id_x 1
		.amdhsa_system_sgpr_workgroup_id_y 0
		.amdhsa_system_sgpr_workgroup_id_z 0
		.amdhsa_system_sgpr_workgroup_info 0
		.amdhsa_system_vgpr_workitem_id 0
		.amdhsa_next_free_vgpr 32
		.amdhsa_next_free_sgpr 36
		.amdhsa_reserve_vcc 1
		.amdhsa_reserve_flat_scratch 0
		.amdhsa_float_round_mode_32 0
		.amdhsa_float_round_mode_16_64 0
		.amdhsa_float_denorm_mode_32 3
		.amdhsa_float_denorm_mode_16_64 3
		.amdhsa_dx10_clamp 1
		.amdhsa_ieee_mode 1
		.amdhsa_fp16_overflow 0
		.amdhsa_workgroup_processor_mode 1
		.amdhsa_memory_ordered 1
		.amdhsa_forward_progress 1
		.amdhsa_shared_vgpr_count 0
		.amdhsa_exception_fp_ieee_invalid_op 0
		.amdhsa_exception_fp_denorm_src 0
		.amdhsa_exception_fp_ieee_div_zero 0
		.amdhsa_exception_fp_ieee_overflow 0
		.amdhsa_exception_fp_ieee_underflow 0
		.amdhsa_exception_fp_ieee_inexact 0
		.amdhsa_exception_int_div_zero 0
	.end_amdhsa_kernel
	.section	.text._ZN9rocsparseL35bsr2csr_block_per_row_33_256_kernelILj1024ELj64ELj32E21rocsparse_complex_numIdEllEEv20rocsparse_direction_T4_S4_21rocsparse_index_base_PKT2_PKT3_PKS4_S4_S5_PS6_PS9_PS4_,"axG",@progbits,_ZN9rocsparseL35bsr2csr_block_per_row_33_256_kernelILj1024ELj64ELj32E21rocsparse_complex_numIdEllEEv20rocsparse_direction_T4_S4_21rocsparse_index_base_PKT2_PKT3_PKS4_S4_S5_PS6_PS9_PS4_,comdat
.Lfunc_end309:
	.size	_ZN9rocsparseL35bsr2csr_block_per_row_33_256_kernelILj1024ELj64ELj32E21rocsparse_complex_numIdEllEEv20rocsparse_direction_T4_S4_21rocsparse_index_base_PKT2_PKT3_PKS4_S4_S5_PS6_PS9_PS4_, .Lfunc_end309-_ZN9rocsparseL35bsr2csr_block_per_row_33_256_kernelILj1024ELj64ELj32E21rocsparse_complex_numIdEllEEv20rocsparse_direction_T4_S4_21rocsparse_index_base_PKT2_PKT3_PKS4_S4_S5_PS6_PS9_PS4_
                                        ; -- End function
	.set _ZN9rocsparseL35bsr2csr_block_per_row_33_256_kernelILj1024ELj64ELj32E21rocsparse_complex_numIdEllEEv20rocsparse_direction_T4_S4_21rocsparse_index_base_PKT2_PKT3_PKS4_S4_S5_PS6_PS9_PS4_.num_vgpr, 32
	.set _ZN9rocsparseL35bsr2csr_block_per_row_33_256_kernelILj1024ELj64ELj32E21rocsparse_complex_numIdEllEEv20rocsparse_direction_T4_S4_21rocsparse_index_base_PKT2_PKT3_PKS4_S4_S5_PS6_PS9_PS4_.num_agpr, 0
	.set _ZN9rocsparseL35bsr2csr_block_per_row_33_256_kernelILj1024ELj64ELj32E21rocsparse_complex_numIdEllEEv20rocsparse_direction_T4_S4_21rocsparse_index_base_PKT2_PKT3_PKS4_S4_S5_PS6_PS9_PS4_.numbered_sgpr, 36
	.set _ZN9rocsparseL35bsr2csr_block_per_row_33_256_kernelILj1024ELj64ELj32E21rocsparse_complex_numIdEllEEv20rocsparse_direction_T4_S4_21rocsparse_index_base_PKT2_PKT3_PKS4_S4_S5_PS6_PS9_PS4_.num_named_barrier, 0
	.set _ZN9rocsparseL35bsr2csr_block_per_row_33_256_kernelILj1024ELj64ELj32E21rocsparse_complex_numIdEllEEv20rocsparse_direction_T4_S4_21rocsparse_index_base_PKT2_PKT3_PKS4_S4_S5_PS6_PS9_PS4_.private_seg_size, 0
	.set _ZN9rocsparseL35bsr2csr_block_per_row_33_256_kernelILj1024ELj64ELj32E21rocsparse_complex_numIdEllEEv20rocsparse_direction_T4_S4_21rocsparse_index_base_PKT2_PKT3_PKS4_S4_S5_PS6_PS9_PS4_.uses_vcc, 1
	.set _ZN9rocsparseL35bsr2csr_block_per_row_33_256_kernelILj1024ELj64ELj32E21rocsparse_complex_numIdEllEEv20rocsparse_direction_T4_S4_21rocsparse_index_base_PKT2_PKT3_PKS4_S4_S5_PS6_PS9_PS4_.uses_flat_scratch, 0
	.set _ZN9rocsparseL35bsr2csr_block_per_row_33_256_kernelILj1024ELj64ELj32E21rocsparse_complex_numIdEllEEv20rocsparse_direction_T4_S4_21rocsparse_index_base_PKT2_PKT3_PKS4_S4_S5_PS6_PS9_PS4_.has_dyn_sized_stack, 0
	.set _ZN9rocsparseL35bsr2csr_block_per_row_33_256_kernelILj1024ELj64ELj32E21rocsparse_complex_numIdEllEEv20rocsparse_direction_T4_S4_21rocsparse_index_base_PKT2_PKT3_PKS4_S4_S5_PS6_PS9_PS4_.has_recursion, 0
	.set _ZN9rocsparseL35bsr2csr_block_per_row_33_256_kernelILj1024ELj64ELj32E21rocsparse_complex_numIdEllEEv20rocsparse_direction_T4_S4_21rocsparse_index_base_PKT2_PKT3_PKS4_S4_S5_PS6_PS9_PS4_.has_indirect_call, 0
	.section	.AMDGPU.csdata,"",@progbits
; Kernel info:
; codeLenInByte = 1812
; TotalNumSgprs: 38
; NumVgprs: 32
; ScratchSize: 0
; MemoryBound: 0
; FloatMode: 240
; IeeeMode: 1
; LDSByteSize: 0 bytes/workgroup (compile time only)
; SGPRBlocks: 0
; VGPRBlocks: 3
; NumSGPRsForWavesPerEU: 38
; NumVGPRsForWavesPerEU: 32
; Occupancy: 16
; WaveLimiterHint : 1
; COMPUTE_PGM_RSRC2:SCRATCH_EN: 0
; COMPUTE_PGM_RSRC2:USER_SGPR: 6
; COMPUTE_PGM_RSRC2:TRAP_HANDLER: 0
; COMPUTE_PGM_RSRC2:TGID_X_EN: 1
; COMPUTE_PGM_RSRC2:TGID_Y_EN: 0
; COMPUTE_PGM_RSRC2:TGID_Z_EN: 0
; COMPUTE_PGM_RSRC2:TIDIG_COMP_CNT: 0
	.section	.text._ZN9rocsparseL35bsr2csr_block_per_row_33_256_kernelILj1024ELj128ELj32E21rocsparse_complex_numIdEllEEv20rocsparse_direction_T4_S4_21rocsparse_index_base_PKT2_PKT3_PKS4_S4_S5_PS6_PS9_PS4_,"axG",@progbits,_ZN9rocsparseL35bsr2csr_block_per_row_33_256_kernelILj1024ELj128ELj32E21rocsparse_complex_numIdEllEEv20rocsparse_direction_T4_S4_21rocsparse_index_base_PKT2_PKT3_PKS4_S4_S5_PS6_PS9_PS4_,comdat
	.globl	_ZN9rocsparseL35bsr2csr_block_per_row_33_256_kernelILj1024ELj128ELj32E21rocsparse_complex_numIdEllEEv20rocsparse_direction_T4_S4_21rocsparse_index_base_PKT2_PKT3_PKS4_S4_S5_PS6_PS9_PS4_ ; -- Begin function _ZN9rocsparseL35bsr2csr_block_per_row_33_256_kernelILj1024ELj128ELj32E21rocsparse_complex_numIdEllEEv20rocsparse_direction_T4_S4_21rocsparse_index_base_PKT2_PKT3_PKS4_S4_S5_PS6_PS9_PS4_
	.p2align	8
	.type	_ZN9rocsparseL35bsr2csr_block_per_row_33_256_kernelILj1024ELj128ELj32E21rocsparse_complex_numIdEllEEv20rocsparse_direction_T4_S4_21rocsparse_index_base_PKT2_PKT3_PKS4_S4_S5_PS6_PS9_PS4_,@function
_ZN9rocsparseL35bsr2csr_block_per_row_33_256_kernelILj1024ELj128ELj32E21rocsparse_complex_numIdEllEEv20rocsparse_direction_T4_S4_21rocsparse_index_base_PKT2_PKT3_PKS4_S4_S5_PS6_PS9_PS4_: ; @_ZN9rocsparseL35bsr2csr_block_per_row_33_256_kernelILj1024ELj128ELj32E21rocsparse_complex_numIdEllEEv20rocsparse_direction_T4_S4_21rocsparse_index_base_PKT2_PKT3_PKS4_S4_S5_PS6_PS9_PS4_
; %bb.0:
	s_load_dwordx2 s[0:1], s[4:5], 0x28
	s_mov_b32 s11, 0
	s_clause 0x1
	s_load_dword s16, s[4:5], 0x40
	s_load_dwordx2 s[2:3], s[4:5], 0x50
	s_mov_b32 s7, s11
	v_or_b32_e32 v1, s6, v0
	s_lshl_b64 s[8:9], s[6:7], 3
	s_waitcnt lgkmcnt(0)
	s_add_u32 s0, s0, s8
	s_addc_u32 s1, s1, s9
	s_load_dwordx4 s[12:15], s[0:1], 0x0
	s_mov_b32 s0, exec_lo
	v_cmpx_eq_u32_e32 0, v1
	s_cbranch_execz .LBB310_2
; %bb.1:
	s_mov_b32 s17, s11
	v_mov_b32_e32 v1, s16
	v_mov_b32_e32 v3, 0
	;; [unrolled: 1-line block ×3, first 2 shown]
	global_store_dwordx2 v3, v[1:2], s[2:3]
.LBB310_2:
	s_or_b32 exec_lo, exec_lo, s0
	s_clause 0x1
	s_load_dword s10, s[4:5], 0x18
	s_load_dwordx2 s[18:19], s[4:5], 0x38
	v_mov_b32_e32 v22, 0
	v_lshrrev_b32_e32 v21, 5, v0
	v_lshlrev_b32_e32 v3, 3, v21
	s_waitcnt lgkmcnt(0)
	s_sub_u32 s20, s12, s10
	s_subb_u32 s21, s13, 0
	s_mul_hi_u32 s0, s18, s20
	s_mul_i32 s7, s18, s21
	s_sub_u32 s22, s14, s10
	s_mul_i32 s1, s19, s6
	s_mul_hi_u32 s17, s18, s6
	s_mul_i32 s24, s18, s6
	s_mul_i32 s6, s19, s20
	;; [unrolled: 1-line block ×3, first 2 shown]
	s_subb_u32 s23, s15, 0
	s_add_i32 s0, s0, s7
	s_mul_i32 s8, s28, s19
	s_mul_hi_u32 s7, s28, s18
	s_add_i32 s29, s0, s6
	s_add_i32 s0, s7, s8
	s_mul_i32 s6, s29, s18
	s_mul_i32 s8, s28, s18
	s_add_i32 s6, s0, s6
	s_sub_u32 s50, s22, s20
	s_subb_u32 s49, s23, s21
	s_mul_i32 s0, s50, s19
	s_mul_hi_u32 s7, s50, s18
	s_mul_i32 s9, s49, s18
	s_add_i32 s0, s7, s0
	s_mul_i32 s7, s50, s18
	s_add_i32 s0, s0, s9
	s_add_u32 s8, s8, s16
	s_addc_u32 s6, s6, 0
	s_add_u32 s8, s8, s7
	s_addc_u32 s9, s6, s0
	s_add_i32 s25, s17, s1
	v_cmp_gt_i64_e64 s1, s[18:19], v[21:22]
	s_lshl_b64 s[24:25], s[24:25], 3
	s_add_u32 s24, s2, s24
	s_addc_u32 s25, s3, s25
	s_and_saveexec_b32 s2, s1
	s_cbranch_execz .LBB310_4
; %bb.3:
	v_mad_u64_u32 v[1:2], null, v21, s7, s[8:9]
	v_mad_u64_u32 v[4:5], null, v21, s0, v[2:3]
	v_mov_b32_e32 v2, v4
	global_store_dwordx2 v3, v[1:2], s[24:25] offset:8
.LBB310_4:
	s_or_b32 exec_lo, exec_lo, s2
	v_or_b32_e32 v1, 32, v21
	v_mov_b32_e32 v2, v22
	v_cmp_gt_i64_e64 s2, s[18:19], v[1:2]
	s_and_saveexec_b32 s3, s2
	s_cbranch_execz .LBB310_6
; %bb.5:
	v_mad_u64_u32 v[4:5], null, v1, s7, s[8:9]
	v_mov_b32_e32 v2, v5
	v_mad_u64_u32 v[1:2], null, v1, s0, v[2:3]
	v_mov_b32_e32 v5, v1
	global_store_dwordx2 v3, v[4:5], s[24:25] offset:264
.LBB310_6:
	s_or_b32 exec_lo, exec_lo, s3
	v_or_b32_e32 v1, 64, v21
	v_mov_b32_e32 v2, v22
	v_cmp_gt_i64_e64 s3, s[18:19], v[1:2]
	s_and_saveexec_b32 s6, s3
	s_cbranch_execz .LBB310_8
; %bb.7:
	v_mad_u64_u32 v[4:5], null, v1, s7, s[8:9]
	v_mov_b32_e32 v2, v5
	v_mad_u64_u32 v[1:2], null, v1, s0, v[2:3]
	v_mov_b32_e32 v5, v1
	global_store_dwordx2 v3, v[4:5], s[24:25] offset:520
.LBB310_8:
	;; [unrolled: 13-line block ×3, first 2 shown]
	s_or_b32 exec_lo, exec_lo, s17
	v_cmp_lt_i64_e64 s0, s[12:13], s[14:15]
	s_and_b32 vcc_lo, exec_lo, s0
	s_cbranch_vccz .LBB310_45
; %bb.11:
	s_clause 0x2
	s_load_dwordx2 s[34:35], s[4:5], 0x30
	s_load_dwordx2 s[26:27], s[4:5], 0x48
	s_load_dword s0, s[4:5], 0x0
	v_and_b32_e32 v0, 31, v0
	v_mov_b32_e32 v1, 0
	v_lshlrev_b32_e32 v23, 4, v21
	s_clause 0x1
	s_load_dwordx2 s[24:25], s[4:5], 0x20
	s_load_dwordx2 s[30:31], s[4:5], 0x58
	v_or_b32_e32 v2, 32, v0
	v_mov_b32_e32 v3, v1
	v_or_b32_e32 v4, 64, v0
	v_mov_b32_e32 v5, v1
	;; [unrolled: 2-line block ×3, first 2 shown]
	v_cmp_gt_i64_e32 vcc_lo, s[18:19], v[0:1]
	v_cmp_gt_i64_e64 s7, s[18:19], v[2:3]
	v_cmp_gt_i64_e64 s8, s[18:19], v[4:5]
	v_mov_b32_e32 v8, v1
	v_cmp_gt_i64_e64 s9, s[18:19], v[6:7]
	v_lshlrev_b32_e32 v7, 4, v0
	v_mov_b32_e32 v24, v1
	s_mul_hi_u32 s5, s18, s18
	s_waitcnt lgkmcnt(0)
	s_cmp_eq_u32 s0, 0
	s_cselect_b32 s0, -1, 0
	s_and_b32 s37, s2, vcc_lo
	s_and_b32 s38, s2, s7
	s_and_b32 s39, s2, s8
	;; [unrolled: 1-line block ×3, first 2 shown]
	s_and_b32 s41, s3, vcc_lo
	s_and_b32 s42, s3, s7
	s_and_b32 s43, s3, s8
	;; [unrolled: 1-line block ×3, first 2 shown]
	s_lshl_b64 s[2:3], s[28:29], 4
	s_and_b32 s17, s1, vcc_lo
	v_add_co_u32 v3, s4, s2, v23
	v_add_co_ci_u32_e64 v5, null, s3, 0, s4
	s_and_b32 s45, s6, vcc_lo
	v_add_co_u32 v9, vcc_lo, 0x600, v3
	v_add_co_ci_u32_e64 v10, null, 0, v5, vcc_lo
	v_add_co_u32 v11, vcc_lo, 0x400, v3
	v_add_co_ci_u32_e64 v12, null, 0, v5, vcc_lo
	;; [unrolled: 2-line block ×3, first 2 shown]
	v_mul_lo_u32 v5, s18, v5
	v_mul_lo_u32 v26, s19, v13
	v_mul_lo_u32 v27, s19, v3
	v_mul_lo_u32 v25, s18, v14
	v_mad_u64_u32 v[13:14], null, s18, v13, v[7:8]
	v_mad_u64_u32 v[15:16], null, s18, v3, v[7:8]
	v_add_co_u32 v28, s2, s2, v7
	v_mul_lo_u32 v1, s18, v10
	v_mul_lo_u32 v19, s19, v9
	v_mad_u64_u32 v[9:10], null, s18, v9, v[7:8]
	v_add_co_ci_u32_e64 v29, null, s3, 0, s2
	v_mul_lo_u32 v20, s18, v12
	v_mul_lo_u32 v22, s19, v11
	v_mad_u64_u32 v[11:12], null, s18, v11, v[7:8]
	v_add3_u32 v14, v26, v14, v25
	v_add3_u32 v16, v27, v16, v5
	v_mad_u64_u32 v[26:27], null, v21, s50, s[28:29]
	v_mul_lo_u32 v3, s18, v29
	v_mul_lo_u32 v8, s19, v28
	v_mad_u64_u32 v[17:18], null, s18, v28, v[23:24]
	v_add3_u32 v10, v19, v10, v1
	v_add_co_u32 v1, vcc_lo, 0x200, v28
	v_add3_u32 v12, v22, v12, v20
	s_mul_i32 s4, s18, s19
	s_mul_i32 s2, s18, s18
	v_mul_lo_u32 v25, s19, v1
	v_mad_u64_u32 v[19:20], null, s18, v1, v[23:24]
	v_mov_b32_e32 v1, v27
	v_add3_u32 v18, v8, v18, v3
	v_add_co_ci_u32_e64 v3, null, 0, v29, vcc_lo
	v_add_co_u32 v5, vcc_lo, 0x400, v28
	v_add_co_ci_u32_e64 v8, null, 0, v29, vcc_lo
	v_add_co_u32 v27, vcc_lo, 0x600, v28
	v_add_co_ci_u32_e64 v30, null, 0, v29, vcc_lo
	v_mad_u64_u32 v[28:29], null, v21, s49, v[1:2]
	v_mul_lo_u32 v31, s19, v5
	v_mad_u64_u32 v[21:22], null, s18, v5, v[23:24]
	v_mul_lo_u32 v1, s18, v30
	v_mul_lo_u32 v5, s19, v27
	v_mad_u64_u32 v[23:24], null, s18, v27, v[23:24]
	v_mul_lo_u32 v27, s19, v26
	v_mul_lo_u32 v32, s18, v28
	v_mad_u64_u32 v[29:30], null, s18, v26, 0
	s_add_i32 s5, s5, s4
	v_mul_lo_u32 v3, s18, v3
	s_add_i32 s3, s5, s4
	s_and_b32 s33, s1, s7
	s_and_b32 s46, s6, s7
	;; [unrolled: 1-line block ×3, first 2 shown]
	v_add3_u32 v30, v30, v32, v27
	v_mov_b32_e32 v27, v28
	s_and_b32 s48, s6, s9
	v_mul_lo_u32 v8, s18, v8
	s_lshl_b64 s[4:5], s[12:13], 3
	s_lshl_b64 s[6:7], s[10:11], 3
	s_and_b32 s36, s1, s8
	s_and_b32 s1, s1, s9
	s_lshl_b64 s[2:3], s[2:3], 4
	s_sub_u32 s4, s4, s6
	s_subb_u32 s5, s5, s7
	v_mad_u64_u32 v[33:34], null, 0x60, s14, v[26:27]
	s_add_u32 s4, s34, s4
	s_addc_u32 s5, s35, s5
	s_lshl_b64 s[6:7], s[14:15], 5
	v_add3_u32 v20, v25, v20, v3
	v_add_co_u32 v3, vcc_lo, v26, s6
	v_add3_u32 v22, v31, v22, v8
	v_lshlrev_b64 v[31:32], 3, v[29:30]
	v_add3_u32 v24, v5, v24, v1
	v_add_co_ci_u32_e64 v5, null, s7, v28, vcc_lo
	s_lshl_b64 s[6:7], s[12:13], 5
	v_mov_b32_e32 v8, v34
	v_sub_co_u32 v25, vcc_lo, v3, s6
	v_subrev_co_ci_u32_e64 v27, null, s7, v5, vcc_lo
	v_add_co_u32 v3, vcc_lo, s30, v31
	v_add_co_ci_u32_e64 v5, null, s31, v32, vcc_lo
	v_mad_u64_u32 v[31:32], null, 0x60, s15, v[8:9]
	v_lshlrev_b64 v[29:30], 4, v[29:30]
	s_mul_i32 s6, s13, 0x60
	s_mul_hi_u32 s7, s12, 0x60
	v_mul_lo_u32 v36, s19, v25
	v_mul_lo_u32 v27, s18, v27
	v_mad_u64_u32 v[34:35], null, s18, v25, 0
	s_add_i32 s7, s7, s6
	s_mul_i32 s6, s12, 0x60
	v_lshlrev_b32_e32 v1, 3, v0
	v_sub_co_u32 v32, vcc_lo, v33, s6
	v_subrev_co_ci_u32_e64 v31, null, s7, v31, vcc_lo
	v_add_co_u32 v8, vcc_lo, s26, v29
	s_lshl_b64 s[6:7], s[14:15], 6
	v_add_co_ci_u32_e64 v25, null, s27, v30, vcc_lo
	v_add_co_u32 v26, vcc_lo, v26, s6
	v_add3_u32 v35, v35, v27, v36
	v_add_co_ci_u32_e64 v27, null, s7, v28, vcc_lo
	s_lshl_b64 s[6:7], s[12:13], 6
	v_mul_lo_u32 v33, s19, v32
	v_mul_lo_u32 v36, s18, v31
	v_mad_u64_u32 v[30:31], null, s18, v32, 0
	v_sub_co_u32 v32, vcc_lo, v26, s6
	v_subrev_co_ci_u32_e64 v37, null, s7, v27, vcc_lo
	v_lshlrev_b64 v[26:27], 4, v[34:35]
	v_lshlrev_b64 v[28:29], 3, v[34:35]
	v_add3_u32 v31, v31, v36, v33
	v_mul_lo_u32 v38, s19, v32
	v_mul_lo_u32 v39, s18, v37
	v_mad_u64_u32 v[34:35], null, s18, v32, 0
	v_lshlrev_b64 v[32:33], 3, v[30:31]
	v_add_co_u32 v26, vcc_lo, s26, v26
	v_lshlrev_b64 v[36:37], 4, v[30:31]
	v_add_co_ci_u32_e64 v27, null, s27, v27, vcc_lo
	v_add3_u32 v35, v35, v39, v38
	v_add_co_u32 v28, vcc_lo, s30, v28
	v_add_co_ci_u32_e64 v29, null, s31, v29, vcc_lo
	v_add_co_u32 v30, vcc_lo, s30, v32
	v_add_co_ci_u32_e64 v31, null, s31, v33, vcc_lo
	v_lshlrev_b64 v[38:39], 4, v[34:35]
	v_add_co_u32 v32, vcc_lo, s26, v36
	v_add_co_ci_u32_e64 v33, null, s27, v37, vcc_lo
	v_lshlrev_b64 v[36:37], 3, v[34:35]
	v_add_co_u32 v34, vcc_lo, s26, v38
	v_add_co_ci_u32_e64 v35, null, s27, v39, vcc_lo
	s_lshl_b64 s[6:7], s[18:19], 3
	v_add_co_u32 v36, vcc_lo, s30, v36
	v_add_co_ci_u32_e64 v37, null, s31, v37, vcc_lo
	s_lshl_b64 s[8:9], s[18:19], 4
	s_branch .LBB310_13
.LBB310_12:                             ;   in Loop: Header=BB310_13 Depth=1
	s_or_b32 exec_lo, exec_lo, s13
	v_add_co_u32 v3, vcc_lo, v3, s6
	v_add_co_ci_u32_e64 v5, null, s7, v5, vcc_lo
	v_add_co_u32 v8, vcc_lo, v8, s8
	v_add_co_ci_u32_e64 v25, null, s9, v25, vcc_lo
	;; [unrolled: 2-line block ×4, first 2 shown]
	v_add_co_u32 v30, vcc_lo, v30, s6
	s_add_u32 s20, s20, 1
	v_add_co_ci_u32_e64 v31, null, s7, v31, vcc_lo
	v_add_co_u32 v32, vcc_lo, v32, s8
	s_addc_u32 s21, s21, 0
	v_add_co_ci_u32_e64 v33, null, s9, v33, vcc_lo
	v_add_co_u32 v34, vcc_lo, v34, s8
	v_cmp_ge_i64_e64 s11, s[20:21], s[22:23]
	v_add_co_ci_u32_e64 v35, null, s9, v35, vcc_lo
	v_add_co_u32 v36, vcc_lo, v36, s6
	s_add_u32 s24, s24, s2
	v_add_co_ci_u32_e64 v37, null, s7, v37, vcc_lo
	s_addc_u32 s25, s25, s3
	s_add_u32 s4, s4, 8
	s_addc_u32 s5, s5, 0
	s_and_b32 vcc_lo, exec_lo, s11
	s_cbranch_vccnz .LBB310_45
.LBB310_13:                             ; =>This Inner Loop Header: Depth=1
	s_load_dwordx2 s[12:13], s[4:5], 0x0
	s_waitcnt lgkmcnt(0)
	s_sub_u32 s11, s12, s10
	s_subb_u32 s13, s13, 0
	s_mul_i32 s12, s11, s19
	s_mul_hi_u32 s14, s11, s18
	s_mul_i32 s13, s13, s18
	s_add_i32 s12, s14, s12
	s_mul_i32 s11, s11, s18
	s_add_i32 s12, s12, s13
	s_add_u32 s11, s11, s16
	s_addc_u32 s12, s12, 0
	s_and_saveexec_b32 s13, s17
	s_cbranch_execnz .LBB310_29
; %bb.14:                               ;   in Loop: Header=BB310_13 Depth=1
	s_or_b32 exec_lo, exec_lo, s13
	s_and_saveexec_b32 s13, s33
	s_cbranch_execnz .LBB310_30
.LBB310_15:                             ;   in Loop: Header=BB310_13 Depth=1
	s_or_b32 exec_lo, exec_lo, s13
	s_and_saveexec_b32 s13, s36
	s_cbranch_execnz .LBB310_31
.LBB310_16:                             ;   in Loop: Header=BB310_13 Depth=1
	s_or_b32 exec_lo, exec_lo, s13
	s_and_saveexec_b32 s13, s1
	s_cbranch_execnz .LBB310_32
.LBB310_17:                             ;   in Loop: Header=BB310_13 Depth=1
	s_or_b32 exec_lo, exec_lo, s13
	s_and_saveexec_b32 s13, s37
	s_cbranch_execnz .LBB310_33
.LBB310_18:                             ;   in Loop: Header=BB310_13 Depth=1
	s_or_b32 exec_lo, exec_lo, s13
	s_and_saveexec_b32 s13, s38
	s_cbranch_execnz .LBB310_34
.LBB310_19:                             ;   in Loop: Header=BB310_13 Depth=1
	s_or_b32 exec_lo, exec_lo, s13
	s_and_saveexec_b32 s13, s39
	s_cbranch_execnz .LBB310_35
.LBB310_20:                             ;   in Loop: Header=BB310_13 Depth=1
	s_or_b32 exec_lo, exec_lo, s13
	s_and_saveexec_b32 s13, s40
	s_cbranch_execnz .LBB310_36
.LBB310_21:                             ;   in Loop: Header=BB310_13 Depth=1
	s_or_b32 exec_lo, exec_lo, s13
	s_and_saveexec_b32 s13, s41
	s_cbranch_execnz .LBB310_37
.LBB310_22:                             ;   in Loop: Header=BB310_13 Depth=1
	s_or_b32 exec_lo, exec_lo, s13
	s_and_saveexec_b32 s13, s42
	s_cbranch_execnz .LBB310_38
.LBB310_23:                             ;   in Loop: Header=BB310_13 Depth=1
	s_or_b32 exec_lo, exec_lo, s13
	s_and_saveexec_b32 s13, s43
	s_cbranch_execnz .LBB310_39
.LBB310_24:                             ;   in Loop: Header=BB310_13 Depth=1
	s_or_b32 exec_lo, exec_lo, s13
	s_and_saveexec_b32 s13, s44
	s_cbranch_execnz .LBB310_40
.LBB310_25:                             ;   in Loop: Header=BB310_13 Depth=1
	s_or_b32 exec_lo, exec_lo, s13
	s_and_saveexec_b32 s13, s45
	s_cbranch_execnz .LBB310_41
.LBB310_26:                             ;   in Loop: Header=BB310_13 Depth=1
	s_or_b32 exec_lo, exec_lo, s13
	s_and_saveexec_b32 s13, s46
	s_cbranch_execnz .LBB310_42
.LBB310_27:                             ;   in Loop: Header=BB310_13 Depth=1
	s_or_b32 exec_lo, exec_lo, s13
	s_and_saveexec_b32 s13, s47
	s_cbranch_execnz .LBB310_43
.LBB310_28:                             ;   in Loop: Header=BB310_13 Depth=1
	s_or_b32 exec_lo, exec_lo, s13
	s_and_saveexec_b32 s13, s48
	s_cbranch_execz .LBB310_12
	s_branch .LBB310_44
.LBB310_29:                             ;   in Loop: Header=BB310_13 Depth=1
	v_add_co_u32 v38, vcc_lo, s24, v15
	v_add_co_ci_u32_e64 v39, null, s25, v16, vcc_lo
	v_add_co_u32 v40, vcc_lo, s24, v17
	v_add_co_ci_u32_e64 v41, null, s25, v18, vcc_lo
	v_add_co_u32 v44, vcc_lo, v3, v1
	v_cndmask_b32_e64 v38, v40, v38, s0
	v_cndmask_b32_e64 v39, v41, v39, s0
	v_add_co_u32 v42, s14, s11, v0
	v_add_co_ci_u32_e64 v45, null, 0, v5, vcc_lo
	global_load_dwordx4 v[38:41], v[38:39], off
	v_add_co_u32 v46, vcc_lo, v8, v7
	v_add_co_ci_u32_e64 v43, null, s12, 0, s14
	v_add_co_ci_u32_e64 v47, null, 0, v25, vcc_lo
	global_store_dwordx2 v[44:45], v[42:43], off
	s_waitcnt vmcnt(0)
	global_store_dwordx4 v[46:47], v[38:41], off
	s_or_b32 exec_lo, exec_lo, s13
	s_and_saveexec_b32 s13, s33
	s_cbranch_execz .LBB310_15
.LBB310_30:                             ;   in Loop: Header=BB310_13 Depth=1
	v_add_co_u32 v38, vcc_lo, s24, v15
	v_add_co_ci_u32_e64 v39, null, s25, v16, vcc_lo
	v_add_co_u32 v42, s14, s11, v2
	v_add_co_u32 v38, vcc_lo, 0x200, v38
	v_add_co_ci_u32_e64 v39, null, 0, v39, vcc_lo
	v_add_co_u32 v40, vcc_lo, s24, v19
	v_add_co_ci_u32_e64 v41, null, s25, v20, vcc_lo
	v_add_co_u32 v44, vcc_lo, v3, v1
	v_cndmask_b32_e64 v38, v40, v38, s0
	v_cndmask_b32_e64 v39, v41, v39, s0
	v_add_co_ci_u32_e64 v45, null, 0, v5, vcc_lo
	v_add_co_u32 v46, vcc_lo, v8, v7
	global_load_dwordx4 v[38:41], v[38:39], off
	v_add_co_ci_u32_e64 v43, null, s12, 0, s14
	v_add_co_ci_u32_e64 v47, null, 0, v25, vcc_lo
	global_store_dwordx2 v[44:45], v[42:43], off offset:256
	s_waitcnt vmcnt(0)
	global_store_dwordx4 v[46:47], v[38:41], off offset:512
	s_or_b32 exec_lo, exec_lo, s13
	s_and_saveexec_b32 s13, s36
	s_cbranch_execz .LBB310_16
.LBB310_31:                             ;   in Loop: Header=BB310_13 Depth=1
	v_add_co_u32 v38, vcc_lo, s24, v15
	v_add_co_ci_u32_e64 v39, null, s25, v16, vcc_lo
	v_add_co_u32 v42, s14, s11, v4
	v_add_co_u32 v38, vcc_lo, 0x400, v38
	v_add_co_ci_u32_e64 v39, null, 0, v39, vcc_lo
	v_add_co_u32 v40, vcc_lo, s24, v21
	v_add_co_ci_u32_e64 v41, null, s25, v22, vcc_lo
	v_add_co_u32 v44, vcc_lo, v3, v1
	v_cndmask_b32_e64 v38, v40, v38, s0
	v_cndmask_b32_e64 v39, v41, v39, s0
	v_add_co_ci_u32_e64 v45, null, 0, v5, vcc_lo
	v_add_co_u32 v46, vcc_lo, v8, v7
	global_load_dwordx4 v[38:41], v[38:39], off
	v_add_co_ci_u32_e64 v43, null, s12, 0, s14
	v_add_co_ci_u32_e64 v47, null, 0, v25, vcc_lo
	global_store_dwordx2 v[44:45], v[42:43], off offset:512
	s_waitcnt vmcnt(0)
	global_store_dwordx4 v[46:47], v[38:41], off offset:1024
	s_or_b32 exec_lo, exec_lo, s13
	s_and_saveexec_b32 s13, s1
	s_cbranch_execz .LBB310_17
.LBB310_32:                             ;   in Loop: Header=BB310_13 Depth=1
	v_add_co_u32 v38, vcc_lo, s24, v15
	v_add_co_ci_u32_e64 v39, null, s25, v16, vcc_lo
	v_add_co_u32 v42, s14, s11, v6
	v_add_co_u32 v38, vcc_lo, 0x600, v38
	v_add_co_ci_u32_e64 v39, null, 0, v39, vcc_lo
	v_add_co_u32 v40, vcc_lo, s24, v23
	v_add_co_ci_u32_e64 v41, null, s25, v24, vcc_lo
	v_add_co_u32 v44, vcc_lo, v3, v1
	v_cndmask_b32_e64 v38, v40, v38, s0
	v_cndmask_b32_e64 v39, v41, v39, s0
	v_add_co_ci_u32_e64 v45, null, 0, v5, vcc_lo
	v_add_co_u32 v46, vcc_lo, v8, v7
	global_load_dwordx4 v[38:41], v[38:39], off
	v_add_co_ci_u32_e64 v43, null, s12, 0, s14
	v_add_co_ci_u32_e64 v47, null, 0, v25, vcc_lo
	global_store_dwordx2 v[44:45], v[42:43], off offset:768
	s_waitcnt vmcnt(0)
	global_store_dwordx4 v[46:47], v[38:41], off offset:1536
	s_or_b32 exec_lo, exec_lo, s13
	s_and_saveexec_b32 s13, s37
	s_cbranch_execz .LBB310_18
.LBB310_33:                             ;   in Loop: Header=BB310_13 Depth=1
	v_add_co_u32 v38, vcc_lo, s24, v17
	v_add_co_ci_u32_e64 v39, null, s25, v18, vcc_lo
	v_add_co_u32 v40, vcc_lo, s24, v13
	v_add_co_ci_u32_e64 v41, null, s25, v14, vcc_lo
	;; [unrolled: 2-line block ×3, first 2 shown]
	v_add_co_u32 v44, vcc_lo, v28, v1
	v_cndmask_b32_e64 v38, v38, v40, s0
	v_cndmask_b32_e64 v39, v39, v41, s0
	v_add_co_u32 v42, s14, s11, v0
	v_add_co_ci_u32_e64 v45, null, 0, v29, vcc_lo
	global_load_dwordx4 v[38:41], v[38:39], off
	v_add_co_u32 v46, vcc_lo, v26, v7
	v_add_co_ci_u32_e64 v43, null, s12, 0, s14
	v_add_co_ci_u32_e64 v47, null, 0, v27, vcc_lo
	global_store_dwordx2 v[44:45], v[42:43], off
	s_waitcnt vmcnt(0)
	global_store_dwordx4 v[46:47], v[38:41], off
	s_or_b32 exec_lo, exec_lo, s13
	s_and_saveexec_b32 s13, s38
	s_cbranch_execz .LBB310_19
.LBB310_34:                             ;   in Loop: Header=BB310_13 Depth=1
	v_add_co_u32 v38, vcc_lo, s24, v13
	v_add_co_ci_u32_e64 v39, null, s25, v14, vcc_lo
	v_add_co_u32 v40, vcc_lo, s24, v19
	v_add_co_ci_u32_e64 v41, null, s25, v20, vcc_lo
	;; [unrolled: 2-line block ×4, first 2 shown]
	v_add_co_u32 v44, vcc_lo, v28, v1
	v_cndmask_b32_e64 v38, v40, v38, s0
	v_cndmask_b32_e64 v39, v41, v39, s0
	v_add_co_u32 v42, s14, s11, v2
	v_add_co_ci_u32_e64 v45, null, 0, v29, vcc_lo
	global_load_dwordx4 v[38:41], v[38:39], off
	v_add_co_u32 v46, vcc_lo, v26, v7
	v_add_co_ci_u32_e64 v43, null, s12, 0, s14
	v_add_co_ci_u32_e64 v47, null, 0, v27, vcc_lo
	global_store_dwordx2 v[44:45], v[42:43], off offset:256
	s_waitcnt vmcnt(0)
	global_store_dwordx4 v[46:47], v[38:41], off offset:512
	s_or_b32 exec_lo, exec_lo, s13
	s_and_saveexec_b32 s13, s39
	s_cbranch_execz .LBB310_20
.LBB310_35:                             ;   in Loop: Header=BB310_13 Depth=1
	v_add_co_u32 v38, vcc_lo, s24, v13
	v_add_co_ci_u32_e64 v39, null, s25, v14, vcc_lo
	v_add_co_u32 v40, vcc_lo, s24, v21
	v_add_co_ci_u32_e64 v41, null, s25, v22, vcc_lo
	;; [unrolled: 2-line block ×4, first 2 shown]
	v_add_co_u32 v44, vcc_lo, v28, v1
	v_cndmask_b32_e64 v38, v40, v38, s0
	v_cndmask_b32_e64 v39, v41, v39, s0
	v_add_co_u32 v42, s14, s11, v4
	v_add_co_ci_u32_e64 v45, null, 0, v29, vcc_lo
	global_load_dwordx4 v[38:41], v[38:39], off
	v_add_co_u32 v46, vcc_lo, v26, v7
	v_add_co_ci_u32_e64 v43, null, s12, 0, s14
	v_add_co_ci_u32_e64 v47, null, 0, v27, vcc_lo
	global_store_dwordx2 v[44:45], v[42:43], off offset:512
	s_waitcnt vmcnt(0)
	global_store_dwordx4 v[46:47], v[38:41], off offset:1024
	s_or_b32 exec_lo, exec_lo, s13
	s_and_saveexec_b32 s13, s40
	s_cbranch_execz .LBB310_21
.LBB310_36:                             ;   in Loop: Header=BB310_13 Depth=1
	v_add_co_u32 v38, vcc_lo, s24, v13
	v_add_co_ci_u32_e64 v39, null, s25, v14, vcc_lo
	v_add_co_u32 v40, vcc_lo, s24, v23
	v_add_co_ci_u32_e64 v41, null, s25, v24, vcc_lo
	;; [unrolled: 2-line block ×4, first 2 shown]
	v_add_co_u32 v44, vcc_lo, v28, v1
	v_cndmask_b32_e64 v38, v40, v38, s0
	v_cndmask_b32_e64 v39, v41, v39, s0
	v_add_co_u32 v42, s14, s11, v6
	v_add_co_ci_u32_e64 v45, null, 0, v29, vcc_lo
	global_load_dwordx4 v[38:41], v[38:39], off
	v_add_co_u32 v46, vcc_lo, v26, v7
	v_add_co_ci_u32_e64 v43, null, s12, 0, s14
	v_add_co_ci_u32_e64 v47, null, 0, v27, vcc_lo
	global_store_dwordx2 v[44:45], v[42:43], off offset:768
	s_waitcnt vmcnt(0)
	global_store_dwordx4 v[46:47], v[38:41], off offset:1536
	s_or_b32 exec_lo, exec_lo, s13
	s_and_saveexec_b32 s13, s41
	s_cbranch_execz .LBB310_22
.LBB310_37:                             ;   in Loop: Header=BB310_13 Depth=1
	v_add_co_u32 v38, vcc_lo, s24, v17
	v_add_co_ci_u32_e64 v39, null, s25, v18, vcc_lo
	v_add_co_u32 v40, vcc_lo, s24, v11
	v_add_co_ci_u32_e64 v41, null, s25, v12, vcc_lo
	;; [unrolled: 2-line block ×3, first 2 shown]
	v_add_co_u32 v44, vcc_lo, v36, v1
	v_cndmask_b32_e64 v38, v38, v40, s0
	v_cndmask_b32_e64 v39, v39, v41, s0
	v_add_co_u32 v42, s14, s11, v0
	v_add_co_ci_u32_e64 v45, null, 0, v37, vcc_lo
	global_load_dwordx4 v[38:41], v[38:39], off
	v_add_co_u32 v46, vcc_lo, v34, v7
	v_add_co_ci_u32_e64 v43, null, s12, 0, s14
	v_add_co_ci_u32_e64 v47, null, 0, v35, vcc_lo
	global_store_dwordx2 v[44:45], v[42:43], off
	s_waitcnt vmcnt(0)
	global_store_dwordx4 v[46:47], v[38:41], off
	s_or_b32 exec_lo, exec_lo, s13
	s_and_saveexec_b32 s13, s42
	s_cbranch_execz .LBB310_23
.LBB310_38:                             ;   in Loop: Header=BB310_13 Depth=1
	v_add_co_u32 v38, vcc_lo, s24, v11
	v_add_co_ci_u32_e64 v39, null, s25, v12, vcc_lo
	v_add_co_u32 v40, vcc_lo, s24, v19
	v_add_co_ci_u32_e64 v41, null, s25, v20, vcc_lo
	v_add_co_u32 v38, vcc_lo, 0x200, v38
	v_add_co_ci_u32_e64 v39, null, 0, v39, vcc_lo
	v_add_co_u32 v40, vcc_lo, 0x400, v40
	v_add_co_ci_u32_e64 v41, null, 0, v41, vcc_lo
	v_add_co_u32 v44, vcc_lo, v36, v1
	v_cndmask_b32_e64 v38, v40, v38, s0
	v_cndmask_b32_e64 v39, v41, v39, s0
	v_add_co_u32 v42, s14, s11, v2
	v_add_co_ci_u32_e64 v45, null, 0, v37, vcc_lo
	global_load_dwordx4 v[38:41], v[38:39], off
	v_add_co_u32 v46, vcc_lo, v34, v7
	v_add_co_ci_u32_e64 v43, null, s12, 0, s14
	v_add_co_ci_u32_e64 v47, null, 0, v35, vcc_lo
	global_store_dwordx2 v[44:45], v[42:43], off offset:256
	s_waitcnt vmcnt(0)
	global_store_dwordx4 v[46:47], v[38:41], off offset:512
	s_or_b32 exec_lo, exec_lo, s13
	s_and_saveexec_b32 s13, s43
	s_cbranch_execz .LBB310_24
.LBB310_39:                             ;   in Loop: Header=BB310_13 Depth=1
	v_add_co_u32 v38, vcc_lo, s24, v11
	v_add_co_ci_u32_e64 v39, null, s25, v12, vcc_lo
	v_add_co_u32 v40, vcc_lo, s24, v21
	v_add_co_ci_u32_e64 v41, null, s25, v22, vcc_lo
	;; [unrolled: 2-line block ×4, first 2 shown]
	v_add_co_u32 v44, vcc_lo, v36, v1
	v_cndmask_b32_e64 v38, v40, v38, s0
	v_cndmask_b32_e64 v39, v41, v39, s0
	v_add_co_u32 v42, s14, s11, v4
	v_add_co_ci_u32_e64 v45, null, 0, v37, vcc_lo
	global_load_dwordx4 v[38:41], v[38:39], off
	v_add_co_u32 v46, vcc_lo, v34, v7
	v_add_co_ci_u32_e64 v43, null, s12, 0, s14
	v_add_co_ci_u32_e64 v47, null, 0, v35, vcc_lo
	global_store_dwordx2 v[44:45], v[42:43], off offset:512
	s_waitcnt vmcnt(0)
	global_store_dwordx4 v[46:47], v[38:41], off offset:1024
	s_or_b32 exec_lo, exec_lo, s13
	s_and_saveexec_b32 s13, s44
	s_cbranch_execz .LBB310_25
.LBB310_40:                             ;   in Loop: Header=BB310_13 Depth=1
	v_add_co_u32 v38, vcc_lo, s24, v11
	v_add_co_ci_u32_e64 v39, null, s25, v12, vcc_lo
	v_add_co_u32 v40, vcc_lo, s24, v23
	v_add_co_ci_u32_e64 v41, null, s25, v24, vcc_lo
	;; [unrolled: 2-line block ×4, first 2 shown]
	v_add_co_u32 v44, vcc_lo, v36, v1
	v_cndmask_b32_e64 v38, v40, v38, s0
	v_cndmask_b32_e64 v39, v41, v39, s0
	v_add_co_u32 v42, s14, s11, v6
	v_add_co_ci_u32_e64 v45, null, 0, v37, vcc_lo
	global_load_dwordx4 v[38:41], v[38:39], off
	v_add_co_u32 v46, vcc_lo, v34, v7
	v_add_co_ci_u32_e64 v43, null, s12, 0, s14
	v_add_co_ci_u32_e64 v47, null, 0, v35, vcc_lo
	global_store_dwordx2 v[44:45], v[42:43], off offset:768
	s_waitcnt vmcnt(0)
	global_store_dwordx4 v[46:47], v[38:41], off offset:1536
	s_or_b32 exec_lo, exec_lo, s13
	s_and_saveexec_b32 s13, s45
	s_cbranch_execz .LBB310_26
.LBB310_41:                             ;   in Loop: Header=BB310_13 Depth=1
	v_add_co_u32 v38, vcc_lo, s24, v17
	v_add_co_ci_u32_e64 v39, null, s25, v18, vcc_lo
	v_add_co_u32 v40, vcc_lo, s24, v9
	v_add_co_ci_u32_e64 v41, null, s25, v10, vcc_lo
	;; [unrolled: 2-line block ×3, first 2 shown]
	v_add_co_u32 v44, vcc_lo, v30, v1
	v_cndmask_b32_e64 v38, v38, v40, s0
	v_cndmask_b32_e64 v39, v39, v41, s0
	v_add_co_u32 v42, s14, s11, v0
	v_add_co_ci_u32_e64 v45, null, 0, v31, vcc_lo
	global_load_dwordx4 v[38:41], v[38:39], off
	v_add_co_u32 v46, vcc_lo, v32, v7
	v_add_co_ci_u32_e64 v43, null, s12, 0, s14
	v_add_co_ci_u32_e64 v47, null, 0, v33, vcc_lo
	global_store_dwordx2 v[44:45], v[42:43], off
	s_waitcnt vmcnt(0)
	global_store_dwordx4 v[46:47], v[38:41], off
	s_or_b32 exec_lo, exec_lo, s13
	s_and_saveexec_b32 s13, s46
	s_cbranch_execz .LBB310_27
.LBB310_42:                             ;   in Loop: Header=BB310_13 Depth=1
	v_add_co_u32 v38, vcc_lo, s24, v9
	v_add_co_ci_u32_e64 v39, null, s25, v10, vcc_lo
	v_add_co_u32 v40, vcc_lo, s24, v19
	v_add_co_ci_u32_e64 v41, null, s25, v20, vcc_lo
	;; [unrolled: 2-line block ×4, first 2 shown]
	v_add_co_u32 v44, vcc_lo, v30, v1
	v_cndmask_b32_e64 v38, v40, v38, s0
	v_cndmask_b32_e64 v39, v41, v39, s0
	v_add_co_u32 v42, s14, s11, v2
	v_add_co_ci_u32_e64 v45, null, 0, v31, vcc_lo
	global_load_dwordx4 v[38:41], v[38:39], off
	v_add_co_u32 v46, vcc_lo, v32, v7
	v_add_co_ci_u32_e64 v43, null, s12, 0, s14
	v_add_co_ci_u32_e64 v47, null, 0, v33, vcc_lo
	global_store_dwordx2 v[44:45], v[42:43], off offset:256
	s_waitcnt vmcnt(0)
	global_store_dwordx4 v[46:47], v[38:41], off offset:512
	s_or_b32 exec_lo, exec_lo, s13
	s_and_saveexec_b32 s13, s47
	s_cbranch_execz .LBB310_28
.LBB310_43:                             ;   in Loop: Header=BB310_13 Depth=1
	v_add_co_u32 v38, vcc_lo, s24, v9
	v_add_co_ci_u32_e64 v39, null, s25, v10, vcc_lo
	v_add_co_u32 v40, vcc_lo, s24, v21
	v_add_co_ci_u32_e64 v41, null, s25, v22, vcc_lo
	;; [unrolled: 2-line block ×4, first 2 shown]
	v_add_co_u32 v44, vcc_lo, v30, v1
	v_cndmask_b32_e64 v38, v40, v38, s0
	v_cndmask_b32_e64 v39, v41, v39, s0
	v_add_co_u32 v42, s14, s11, v4
	v_add_co_ci_u32_e64 v45, null, 0, v31, vcc_lo
	global_load_dwordx4 v[38:41], v[38:39], off
	v_add_co_u32 v46, vcc_lo, v32, v7
	v_add_co_ci_u32_e64 v43, null, s12, 0, s14
	v_add_co_ci_u32_e64 v47, null, 0, v33, vcc_lo
	global_store_dwordx2 v[44:45], v[42:43], off offset:512
	s_waitcnt vmcnt(0)
	global_store_dwordx4 v[46:47], v[38:41], off offset:1024
	s_or_b32 exec_lo, exec_lo, s13
	s_and_saveexec_b32 s13, s48
	s_cbranch_execz .LBB310_12
.LBB310_44:                             ;   in Loop: Header=BB310_13 Depth=1
	v_add_co_u32 v38, vcc_lo, s24, v9
	v_add_co_ci_u32_e64 v39, null, s25, v10, vcc_lo
	v_add_co_u32 v40, vcc_lo, s24, v23
	v_add_co_ci_u32_e64 v41, null, s25, v24, vcc_lo
	;; [unrolled: 2-line block ×4, first 2 shown]
	v_add_co_u32 v44, vcc_lo, v30, v1
	v_cndmask_b32_e64 v38, v40, v38, s0
	v_cndmask_b32_e64 v39, v41, v39, s0
	v_add_co_u32 v42, s11, s11, v6
	v_add_co_ci_u32_e64 v45, null, 0, v31, vcc_lo
	global_load_dwordx4 v[38:41], v[38:39], off
	v_add_co_u32 v46, vcc_lo, v32, v7
	v_add_co_ci_u32_e64 v43, null, s12, 0, s11
	v_add_co_ci_u32_e64 v47, null, 0, v33, vcc_lo
	global_store_dwordx2 v[44:45], v[42:43], off offset:768
	s_waitcnt vmcnt(0)
	global_store_dwordx4 v[46:47], v[38:41], off offset:1536
	s_branch .LBB310_12
.LBB310_45:
	s_endpgm
	.section	.rodata,"a",@progbits
	.p2align	6, 0x0
	.amdhsa_kernel _ZN9rocsparseL35bsr2csr_block_per_row_33_256_kernelILj1024ELj128ELj32E21rocsparse_complex_numIdEllEEv20rocsparse_direction_T4_S4_21rocsparse_index_base_PKT2_PKT3_PKS4_S4_S5_PS6_PS9_PS4_
		.amdhsa_group_segment_fixed_size 0
		.amdhsa_private_segment_fixed_size 0
		.amdhsa_kernarg_size 96
		.amdhsa_user_sgpr_count 6
		.amdhsa_user_sgpr_private_segment_buffer 1
		.amdhsa_user_sgpr_dispatch_ptr 0
		.amdhsa_user_sgpr_queue_ptr 0
		.amdhsa_user_sgpr_kernarg_segment_ptr 1
		.amdhsa_user_sgpr_dispatch_id 0
		.amdhsa_user_sgpr_flat_scratch_init 0
		.amdhsa_user_sgpr_private_segment_size 0
		.amdhsa_wavefront_size32 1
		.amdhsa_uses_dynamic_stack 0
		.amdhsa_system_sgpr_private_segment_wavefront_offset 0
		.amdhsa_system_sgpr_workgroup_id_x 1
		.amdhsa_system_sgpr_workgroup_id_y 0
		.amdhsa_system_sgpr_workgroup_id_z 0
		.amdhsa_system_sgpr_workgroup_info 0
		.amdhsa_system_vgpr_workitem_id 0
		.amdhsa_next_free_vgpr 48
		.amdhsa_next_free_sgpr 51
		.amdhsa_reserve_vcc 1
		.amdhsa_reserve_flat_scratch 0
		.amdhsa_float_round_mode_32 0
		.amdhsa_float_round_mode_16_64 0
		.amdhsa_float_denorm_mode_32 3
		.amdhsa_float_denorm_mode_16_64 3
		.amdhsa_dx10_clamp 1
		.amdhsa_ieee_mode 1
		.amdhsa_fp16_overflow 0
		.amdhsa_workgroup_processor_mode 1
		.amdhsa_memory_ordered 1
		.amdhsa_forward_progress 1
		.amdhsa_shared_vgpr_count 0
		.amdhsa_exception_fp_ieee_invalid_op 0
		.amdhsa_exception_fp_denorm_src 0
		.amdhsa_exception_fp_ieee_div_zero 0
		.amdhsa_exception_fp_ieee_overflow 0
		.amdhsa_exception_fp_ieee_underflow 0
		.amdhsa_exception_fp_ieee_inexact 0
		.amdhsa_exception_int_div_zero 0
	.end_amdhsa_kernel
	.section	.text._ZN9rocsparseL35bsr2csr_block_per_row_33_256_kernelILj1024ELj128ELj32E21rocsparse_complex_numIdEllEEv20rocsparse_direction_T4_S4_21rocsparse_index_base_PKT2_PKT3_PKS4_S4_S5_PS6_PS9_PS4_,"axG",@progbits,_ZN9rocsparseL35bsr2csr_block_per_row_33_256_kernelILj1024ELj128ELj32E21rocsparse_complex_numIdEllEEv20rocsparse_direction_T4_S4_21rocsparse_index_base_PKT2_PKT3_PKS4_S4_S5_PS6_PS9_PS4_,comdat
.Lfunc_end310:
	.size	_ZN9rocsparseL35bsr2csr_block_per_row_33_256_kernelILj1024ELj128ELj32E21rocsparse_complex_numIdEllEEv20rocsparse_direction_T4_S4_21rocsparse_index_base_PKT2_PKT3_PKS4_S4_S5_PS6_PS9_PS4_, .Lfunc_end310-_ZN9rocsparseL35bsr2csr_block_per_row_33_256_kernelILj1024ELj128ELj32E21rocsparse_complex_numIdEllEEv20rocsparse_direction_T4_S4_21rocsparse_index_base_PKT2_PKT3_PKS4_S4_S5_PS6_PS9_PS4_
                                        ; -- End function
	.set _ZN9rocsparseL35bsr2csr_block_per_row_33_256_kernelILj1024ELj128ELj32E21rocsparse_complex_numIdEllEEv20rocsparse_direction_T4_S4_21rocsparse_index_base_PKT2_PKT3_PKS4_S4_S5_PS6_PS9_PS4_.num_vgpr, 48
	.set _ZN9rocsparseL35bsr2csr_block_per_row_33_256_kernelILj1024ELj128ELj32E21rocsparse_complex_numIdEllEEv20rocsparse_direction_T4_S4_21rocsparse_index_base_PKT2_PKT3_PKS4_S4_S5_PS6_PS9_PS4_.num_agpr, 0
	.set _ZN9rocsparseL35bsr2csr_block_per_row_33_256_kernelILj1024ELj128ELj32E21rocsparse_complex_numIdEllEEv20rocsparse_direction_T4_S4_21rocsparse_index_base_PKT2_PKT3_PKS4_S4_S5_PS6_PS9_PS4_.numbered_sgpr, 51
	.set _ZN9rocsparseL35bsr2csr_block_per_row_33_256_kernelILj1024ELj128ELj32E21rocsparse_complex_numIdEllEEv20rocsparse_direction_T4_S4_21rocsparse_index_base_PKT2_PKT3_PKS4_S4_S5_PS6_PS9_PS4_.num_named_barrier, 0
	.set _ZN9rocsparseL35bsr2csr_block_per_row_33_256_kernelILj1024ELj128ELj32E21rocsparse_complex_numIdEllEEv20rocsparse_direction_T4_S4_21rocsparse_index_base_PKT2_PKT3_PKS4_S4_S5_PS6_PS9_PS4_.private_seg_size, 0
	.set _ZN9rocsparseL35bsr2csr_block_per_row_33_256_kernelILj1024ELj128ELj32E21rocsparse_complex_numIdEllEEv20rocsparse_direction_T4_S4_21rocsparse_index_base_PKT2_PKT3_PKS4_S4_S5_PS6_PS9_PS4_.uses_vcc, 1
	.set _ZN9rocsparseL35bsr2csr_block_per_row_33_256_kernelILj1024ELj128ELj32E21rocsparse_complex_numIdEllEEv20rocsparse_direction_T4_S4_21rocsparse_index_base_PKT2_PKT3_PKS4_S4_S5_PS6_PS9_PS4_.uses_flat_scratch, 0
	.set _ZN9rocsparseL35bsr2csr_block_per_row_33_256_kernelILj1024ELj128ELj32E21rocsparse_complex_numIdEllEEv20rocsparse_direction_T4_S4_21rocsparse_index_base_PKT2_PKT3_PKS4_S4_S5_PS6_PS9_PS4_.has_dyn_sized_stack, 0
	.set _ZN9rocsparseL35bsr2csr_block_per_row_33_256_kernelILj1024ELj128ELj32E21rocsparse_complex_numIdEllEEv20rocsparse_direction_T4_S4_21rocsparse_index_base_PKT2_PKT3_PKS4_S4_S5_PS6_PS9_PS4_.has_recursion, 0
	.set _ZN9rocsparseL35bsr2csr_block_per_row_33_256_kernelILj1024ELj128ELj32E21rocsparse_complex_numIdEllEEv20rocsparse_direction_T4_S4_21rocsparse_index_base_PKT2_PKT3_PKS4_S4_S5_PS6_PS9_PS4_.has_indirect_call, 0
	.section	.AMDGPU.csdata,"",@progbits
; Kernel info:
; codeLenInByte = 4772
; TotalNumSgprs: 53
; NumVgprs: 48
; ScratchSize: 0
; MemoryBound: 0
; FloatMode: 240
; IeeeMode: 1
; LDSByteSize: 0 bytes/workgroup (compile time only)
; SGPRBlocks: 0
; VGPRBlocks: 5
; NumSGPRsForWavesPerEU: 53
; NumVGPRsForWavesPerEU: 48
; Occupancy: 16
; WaveLimiterHint : 0
; COMPUTE_PGM_RSRC2:SCRATCH_EN: 0
; COMPUTE_PGM_RSRC2:USER_SGPR: 6
; COMPUTE_PGM_RSRC2:TRAP_HANDLER: 0
; COMPUTE_PGM_RSRC2:TGID_X_EN: 1
; COMPUTE_PGM_RSRC2:TGID_Y_EN: 0
; COMPUTE_PGM_RSRC2:TGID_Z_EN: 0
; COMPUTE_PGM_RSRC2:TIDIG_COMP_CNT: 0
	.section	.text._ZN9rocsparseL35bsr2csr_block_per_row_33_256_kernelILj1024ELj256ELj32E21rocsparse_complex_numIdEllEEv20rocsparse_direction_T4_S4_21rocsparse_index_base_PKT2_PKT3_PKS4_S4_S5_PS6_PS9_PS4_,"axG",@progbits,_ZN9rocsparseL35bsr2csr_block_per_row_33_256_kernelILj1024ELj256ELj32E21rocsparse_complex_numIdEllEEv20rocsparse_direction_T4_S4_21rocsparse_index_base_PKT2_PKT3_PKS4_S4_S5_PS6_PS9_PS4_,comdat
	.globl	_ZN9rocsparseL35bsr2csr_block_per_row_33_256_kernelILj1024ELj256ELj32E21rocsparse_complex_numIdEllEEv20rocsparse_direction_T4_S4_21rocsparse_index_base_PKT2_PKT3_PKS4_S4_S5_PS6_PS9_PS4_ ; -- Begin function _ZN9rocsparseL35bsr2csr_block_per_row_33_256_kernelILj1024ELj256ELj32E21rocsparse_complex_numIdEllEEv20rocsparse_direction_T4_S4_21rocsparse_index_base_PKT2_PKT3_PKS4_S4_S5_PS6_PS9_PS4_
	.p2align	8
	.type	_ZN9rocsparseL35bsr2csr_block_per_row_33_256_kernelILj1024ELj256ELj32E21rocsparse_complex_numIdEllEEv20rocsparse_direction_T4_S4_21rocsparse_index_base_PKT2_PKT3_PKS4_S4_S5_PS6_PS9_PS4_,@function
_ZN9rocsparseL35bsr2csr_block_per_row_33_256_kernelILj1024ELj256ELj32E21rocsparse_complex_numIdEllEEv20rocsparse_direction_T4_S4_21rocsparse_index_base_PKT2_PKT3_PKS4_S4_S5_PS6_PS9_PS4_: ; @_ZN9rocsparseL35bsr2csr_block_per_row_33_256_kernelILj1024ELj256ELj32E21rocsparse_complex_numIdEllEEv20rocsparse_direction_T4_S4_21rocsparse_index_base_PKT2_PKT3_PKS4_S4_S5_PS6_PS9_PS4_
; %bb.0:
	s_load_dwordx2 s[0:1], s[4:5], 0x28
	s_mov_b32 s19, 0
	s_clause 0x1
	s_load_dword s18, s[4:5], 0x40
	s_load_dwordx2 s[2:3], s[4:5], 0x50
	s_mov_b32 s7, s19
	v_or_b32_e32 v1, s6, v0
	s_lshl_b64 s[8:9], s[6:7], 3
	s_waitcnt lgkmcnt(0)
	s_add_u32 s0, s0, s8
	s_addc_u32 s1, s1, s9
	s_load_dwordx4 s[12:15], s[0:1], 0x0
	s_mov_b32 s0, exec_lo
	v_cmpx_eq_u32_e32 0, v1
	s_cbranch_execz .LBB311_2
; %bb.1:
	v_mov_b32_e32 v1, s18
	v_mov_b32_e32 v3, 0
	;; [unrolled: 1-line block ×3, first 2 shown]
	global_store_dwordx2 v3, v[1:2], s[2:3]
.LBB311_2:
	s_or_b32 exec_lo, exec_lo, s0
	s_clause 0x1
	s_load_dword s19, s[4:5], 0x18
	s_load_dwordx2 s[20:21], s[4:5], 0x38
	v_mov_b32_e32 v2, 0
	v_lshrrev_b32_e32 v1, 5, v0
	v_lshlrev_b32_e32 v8, 3, v1
	s_waitcnt lgkmcnt(0)
	s_sub_u32 s22, s12, s19
	s_subb_u32 s23, s13, 0
	s_mul_hi_u32 s0, s20, s22
	s_mul_i32 s10, s20, s23
	s_sub_u32 s24, s14, s19
	s_mul_i32 s8, s21, s22
	s_mul_i32 s9, s20, s22
	s_subb_u32 s25, s15, 0
	s_add_i32 s0, s0, s10
	s_mul_i32 s11, s9, s21
	s_mul_hi_u32 s10, s9, s20
	s_add_i32 s0, s0, s8
	s_add_i32 s8, s10, s11
	s_mul_i32 s0, s0, s20
	s_mul_i32 s9, s9, s20
	s_add_i32 s8, s8, s0
	s_sub_u32 s40, s24, s22
	s_subb_u32 s41, s25, s23
	s_mul_i32 s0, s40, s21
	s_mul_hi_u32 s10, s40, s20
	s_mul_i32 s16, s41, s20
	s_add_i32 s0, s10, s0
	s_mul_i32 s11, s40, s20
	s_add_i32 s0, s0, s16
	s_add_u32 s9, s9, s18
	s_mul_i32 s1, s21, s6
	s_mul_hi_u32 s7, s20, s6
	s_addc_u32 s8, s8, 0
	s_add_u32 s16, s9, s11
	s_mul_i32 s6, s20, s6
	s_addc_u32 s17, s8, s0
	s_add_i32 s7, s7, s1
	v_cmp_gt_i64_e64 s1, s[20:21], v[1:2]
	s_lshl_b64 s[6:7], s[6:7], 3
	s_add_u32 s26, s2, s6
	s_addc_u32 s27, s3, s7
	s_and_saveexec_b32 s2, s1
	s_cbranch_execz .LBB311_4
; %bb.3:
	v_mad_u64_u32 v[3:4], null, v1, s11, s[16:17]
	v_mad_u64_u32 v[4:5], null, v1, s0, v[4:5]
	global_store_dwordx2 v8, v[3:4], s[26:27] offset:8
.LBB311_4:
	s_or_b32 exec_lo, exec_lo, s2
	v_or_b32_e32 v3, 32, v1
	v_mov_b32_e32 v4, v2
	v_cmp_gt_i64_e64 s2, s[20:21], v[3:4]
	s_and_saveexec_b32 s3, s2
	s_cbranch_execz .LBB311_6
; %bb.5:
	v_mad_u64_u32 v[4:5], null, v3, s11, s[16:17]
	v_mad_u64_u32 v[5:6], null, v3, s0, v[5:6]
	global_store_dwordx2 v8, v[4:5], s[26:27] offset:264
.LBB311_6:
	s_or_b32 exec_lo, exec_lo, s3
	v_or_b32_e32 v3, 64, v1
	v_mov_b32_e32 v4, v2
	v_cmp_gt_i64_e64 s3, s[20:21], v[3:4]
	;; [unrolled: 11-line block ×6, first 2 shown]
	s_and_saveexec_b32 s9, s10
	s_cbranch_execz .LBB311_16
; %bb.15:
	v_mad_u64_u32 v[6:7], null, v5, s11, s[16:17]
	v_mad_u64_u32 v[9:10], null, v5, s0, v[7:8]
	v_mov_b32_e32 v7, v9
	global_store_dwordx2 v8, v[6:7], s[26:27] offset:1544
.LBB311_16:
	s_or_b32 exec_lo, exec_lo, s9
	v_or_b32_e32 v6, 0xe0, v1
	v_mov_b32_e32 v7, v2
	v_cmp_gt_i64_e64 s9, s[20:21], v[6:7]
	s_and_saveexec_b32 s28, s9
	s_cbranch_execz .LBB311_18
; %bb.17:
	v_mad_u64_u32 v[9:10], null, v6, s11, s[16:17]
	v_mov_b32_e32 v2, v10
	v_mad_u64_u32 v[10:11], null, v6, s0, v[2:3]
	global_store_dwordx2 v8, v[9:10], s[26:27] offset:1800
.LBB311_18:
	s_or_b32 exec_lo, exec_lo, s28
	v_cmp_lt_i64_e64 s0, s[12:13], s[14:15]
	s_and_b32 vcc_lo, exec_lo, s0
	s_cbranch_vccz .LBB311_149
; %bb.19:
	s_clause 0x2
	s_load_dwordx2 s[26:27], s[4:5], 0x30
	s_load_dwordx2 s[28:29], s[4:5], 0x48
	s_load_dword s0, s[4:5], 0x0
	v_and_b32_e32 v7, 31, v0
	s_mul_i32 s11, s20, s21
	s_mul_hi_u32 s12, s20, s20
	s_mul_i32 s33, s20, s20
	s_add_i32 s12, s12, s11
	v_mad_u64_u32 v[20:21], null, v7, s20, 0
	s_add_i32 s17, s12, s11
	s_clause 0x1
	s_load_dwordx2 s[30:31], s[4:5], 0x20
	s_load_dwordx2 s[34:35], s[4:5], 0x58
	s_mul_i32 s4, s22, s17
	s_mul_hi_u32 s5, s22, s33
	v_mov_b32_e32 v8, 0
	v_mov_b32_e32 v0, v21
	s_add_i32 s4, s5, s4
	s_mul_i32 s5, s23, s33
	v_or_b32_e32 v9, 32, v7
	s_add_i32 s37, s4, s5
	v_mad_u64_u32 v[12:13], null, v7, s21, v[0:1]
	s_waitcnt lgkmcnt(0)
	s_cmp_eq_u32 s0, 0
	v_mov_b32_e32 v10, v8
	s_cselect_b32 s0, -1, 0
	s_lshl_b64 s[38:39], s[20:21], 5
	v_mov_b32_e32 v11, v8
	v_add_co_u32 v22, s5, v20, s38
	v_cmp_gt_i64_e64 s4, s[20:21], v[9:10]
	v_or_b32_e32 v10, 64, v7
	v_add_co_ci_u32_e64 v23, null, s39, v12, s5
	v_add_co_u32 v24, s11, v22, s38
	v_mov_b32_e32 v21, v12
	v_cmp_gt_i64_e64 s5, s[20:21], v[10:11]
	v_or_b32_e32 v11, 0x60, v7
	v_mov_b32_e32 v12, v8
	v_add_co_ci_u32_e64 v25, null, s39, v23, s11
	v_add_co_u32 v26, s12, v24, s38
	v_mad_u64_u32 v[16:17], null, v1, s40, 0
	v_mad_u64_u32 v[30:31], null, v1, s20, 0
	v_cmp_gt_i64_e64 s11, s[20:21], v[11:12]
	v_or_b32_e32 v12, 0x80, v7
	v_mov_b32_e32 v13, v8
	v_add_co_ci_u32_e64 v27, null, s39, v25, s12
	v_add_co_u32 v28, s13, v26, s38
	v_cmp_gt_i64_e64 s12, s[20:21], v[12:13]
	v_or_b32_e32 v13, 0xa0, v7
	v_mov_b32_e32 v14, v8
	v_add_co_ci_u32_e64 v29, null, s39, v27, s13
	v_mov_b32_e32 v0, v17
	v_mov_b32_e32 v2, v31
	v_add_co_u32 v32, s14, v28, s38
	v_cmp_gt_i64_e64 s13, s[20:21], v[13:14]
	v_or_b32_e32 v14, 0xc0, v7
	v_mov_b32_e32 v15, v8
	v_add_co_ci_u32_e64 v33, null, s39, v29, s14
	v_or_b32_e32 v17, 0xe0, v7
	v_mov_b32_e32 v18, v8
	v_mad_u64_u32 v[34:35], null, v1, s41, v[0:1]
	v_mad_u64_u32 v[35:36], null, v1, s21, v[2:3]
	v_add_co_u32 v36, s15, v32, s38
	v_cmp_gt_i64_e32 vcc_lo, s[20:21], v[7:8]
	v_cmp_gt_i64_e64 s14, s[20:21], v[14:15]
	v_add_co_ci_u32_e64 v37, null, s39, v33, s15
	v_cmp_gt_i64_e64 s15, s[20:21], v[17:18]
	v_add_co_u32 v38, s16, v36, s38
	s_lshl_b64 s[92:93], s[40:41], 5
	v_add_co_ci_u32_e64 v39, null, s39, v37, s16
	s_and_b32 s16, s1, vcc_lo
	s_and_b32 s42, s1, s4
	s_and_b32 s43, s1, s5
	;; [unrolled: 1-line block ×7, first 2 shown]
	v_add_co_u32 v2, s1, v16, s92
	v_add_co_ci_u32_e64 v8, null, s93, v34, s1
	v_mov_b32_e32 v31, v35
	v_add_co_u32 v15, s1, v2, s92
	v_add_co_ci_u32_e64 v54, null, s93, v8, s1
	v_mov_b32_e32 v0, v34
	v_add_co_u32 v55, s1, v15, s92
	v_add_co_ci_u32_e64 v56, null, s93, v54, s1
	v_lshlrev_b64 v[18:19], 4, v[30:31]
	v_add_co_u32 v57, s1, v55, s92
	v_add_co_ci_u32_e64 v58, null, s93, v56, s1
	v_lshlrev_b64 v[20:21], 4, v[20:21]
	;; [unrolled: 3-line block ×4, first 2 shown]
	v_add_co_u32 v63, s1, v61, s92
	v_lshlrev_b64 v[26:27], 4, v[26:27]
	v_lshlrev_b64 v[28:29], 4, v[28:29]
	;; [unrolled: 1-line block ×5, first 2 shown]
	v_add_co_ci_u32_e64 v64, null, s93, v62, s1
	s_mul_i32 s36, s22, s33
	s_and_b32 s40, s2, vcc_lo
	s_and_b32 s41, s2, s4
	s_and_b32 s49, s2, s5
	s_and_b32 s50, s2, s11
	s_and_b32 s51, s2, s12
	s_and_b32 s52, s2, s13
	s_and_b32 s53, s2, s14
	s_and_b32 s54, s2, s15
	s_and_b32 s55, s3, vcc_lo
	s_and_b32 s56, s3, s4
	s_and_b32 s57, s3, s5
	s_and_b32 s58, s3, s11
	s_and_b32 s59, s3, s12
	s_and_b32 s60, s3, s13
	s_and_b32 s61, s3, s14
	s_and_b32 s62, s3, s15
	;; [unrolled: 8-line block ×7, first 2 shown]
	s_mov_b64 s[2:3], s[22:23]
	s_branch .LBB311_21
.LBB311_20:                             ;   in Loop: Header=BB311_21 Depth=1
	s_or_b32 exec_lo, exec_lo, s4
	s_add_u32 s2, s2, 1
	s_addc_u32 s3, s3, 0
	v_cmp_ge_i64_e64 s4, s[2:3], s[24:25]
	s_and_b32 vcc_lo, exec_lo, s4
	s_cbranch_vccnz .LBB311_149
.LBB311_21:                             ; =>This Inner Loop Header: Depth=1
	s_lshl_b64 s[4:5], s[2:3], 3
	s_mul_i32 s95, s2, s17
	s_add_u32 s4, s26, s4
	s_addc_u32 s5, s27, s5
	s_mul_hi_u32 s96, s2, s33
	s_load_dwordx2 s[4:5], s[4:5], 0x0
	s_mul_i32 s97, s3, s33
	s_mul_i32 s94, s2, s33
	v_lshlrev_b32_e32 v38, 4, v1
	v_lshlrev_b32_e32 v65, 4, v7
	s_waitcnt lgkmcnt(0)
	s_sub_u32 s4, s4, s19
	s_subb_u32 s5, s5, 0
	s_sub_u32 s15, s2, s22
	s_mul_i32 s98, s4, s21
	s_mul_hi_u32 s99, s4, s20
	s_subb_u32 s93, s3, s23
	v_add_co_u32 v36, vcc_lo, v16, s15
	s_mul_i32 s5, s5, s20
	s_add_i32 s98, s99, s98
	s_mul_i32 s4, s4, s20
	v_add_co_ci_u32_e64 v37, null, s93, v0, vcc_lo
	s_add_i32 s98, s98, s5
	s_add_u32 s4, s4, s18
	s_addc_u32 s5, s98, 0
	s_add_i32 s95, s96, s95
	v_mul_lo_u32 v39, v36, s21
	v_mad_u64_u32 v[52:53], null, v36, s20, s[36:37]
	s_add_i32 s95, s95, s97
	v_mul_lo_u32 v40, v37, s20
	s_lshl_b64 s[94:95], s[94:95], 4
	v_add_co_u32 v36, s96, s4, v7
	s_add_u32 s94, s30, s94
	v_add_co_ci_u32_e64 v37, null, s5, 0, s96
	s_addc_u32 s95, s31, s95
	v_add_co_u32 v70, s96, s94, v38
	v_add_co_u32 v72, vcc_lo, s94, v18
	v_add_co_ci_u32_e64 v71, null, s95, 0, s96
	v_add3_u32 v53, v40, v53, v39
	v_add_co_ci_u32_e64 v73, null, s95, v19, vcc_lo
	s_and_saveexec_b32 s96, s16
	s_cbranch_execz .LBB311_23
; %bb.22:                               ;   in Loop: Header=BB311_21 Depth=1
	v_add_co_u32 v38, vcc_lo, v72, v65
	v_add_co_ci_u32_e64 v39, null, 0, v73, vcc_lo
	v_add_co_u32 v40, vcc_lo, v70, v20
	v_add_co_ci_u32_e64 v41, null, v71, v21, vcc_lo
	v_add_co_u32 v42, vcc_lo, v52, v7
	v_cndmask_b32_e64 v38, v40, v38, s0
	v_cndmask_b32_e64 v39, v41, v39, s0
	v_add_co_ci_u32_e64 v43, null, 0, v53, vcc_lo
	global_load_dwordx4 v[38:41], v[38:39], off
	v_lshlrev_b64 v[44:45], 3, v[42:43]
	v_lshlrev_b64 v[42:43], 4, v[42:43]
	v_add_co_u32 v44, vcc_lo, s34, v44
	v_add_co_ci_u32_e64 v45, null, s35, v45, vcc_lo
	v_add_co_u32 v42, vcc_lo, s28, v42
	v_add_co_ci_u32_e64 v43, null, s29, v43, vcc_lo
	global_store_dwordx2 v[44:45], v[36:37], off
	s_waitcnt vmcnt(0)
	global_store_dwordx4 v[42:43], v[38:41], off
.LBB311_23:                             ;   in Loop: Header=BB311_21 Depth=1
	s_or_b32 exec_lo, exec_lo, s96
	v_add_co_u32 v38, s96, s4, v9
	v_add_co_ci_u32_e64 v39, null, s5, 0, s96
	s_and_saveexec_b32 s96, s42
	s_cbranch_execz .LBB311_25
; %bb.24:                               ;   in Loop: Header=BB311_21 Depth=1
	v_add_co_u32 v40, vcc_lo, v72, v65
	v_add_co_ci_u32_e64 v41, null, 0, v73, vcc_lo
	v_add_co_u32 v40, vcc_lo, 0x200, v40
	v_add_co_ci_u32_e64 v41, null, 0, v41, vcc_lo
	v_add_co_u32 v42, vcc_lo, v70, v22
	v_add_co_ci_u32_e64 v43, null, v71, v23, vcc_lo
	v_add_co_u32 v44, vcc_lo, v52, v7
	v_cndmask_b32_e64 v40, v42, v40, s0
	v_cndmask_b32_e64 v41, v43, v41, s0
	v_add_co_ci_u32_e64 v45, null, 0, v53, vcc_lo
	global_load_dwordx4 v[40:43], v[40:41], off
	v_lshlrev_b64 v[46:47], 3, v[44:45]
	v_lshlrev_b64 v[44:45], 4, v[44:45]
	v_add_co_u32 v46, vcc_lo, s34, v46
	v_add_co_ci_u32_e64 v47, null, s35, v47, vcc_lo
	v_add_co_u32 v44, vcc_lo, s28, v44
	v_add_co_ci_u32_e64 v45, null, s29, v45, vcc_lo
	global_store_dwordx2 v[46:47], v[38:39], off offset:256
	s_waitcnt vmcnt(0)
	global_store_dwordx4 v[44:45], v[40:43], off offset:512
.LBB311_25:                             ;   in Loop: Header=BB311_21 Depth=1
	s_or_b32 exec_lo, exec_lo, s96
	v_add_co_u32 v40, s96, s4, v10
	v_add_co_ci_u32_e64 v41, null, s5, 0, s96
	s_and_saveexec_b32 s96, s43
	s_cbranch_execz .LBB311_27
; %bb.26:                               ;   in Loop: Header=BB311_21 Depth=1
	v_add_co_u32 v42, vcc_lo, v72, v65
	v_add_co_ci_u32_e64 v43, null, 0, v73, vcc_lo
	v_add_co_u32 v42, vcc_lo, 0x400, v42
	v_add_co_ci_u32_e64 v43, null, 0, v43, vcc_lo
	v_add_co_u32 v44, vcc_lo, v70, v24
	v_add_co_ci_u32_e64 v45, null, v71, v25, vcc_lo
	v_add_co_u32 v46, vcc_lo, v52, v7
	v_cndmask_b32_e64 v42, v44, v42, s0
	v_cndmask_b32_e64 v43, v45, v43, s0
	v_add_co_ci_u32_e64 v47, null, 0, v53, vcc_lo
	global_load_dwordx4 v[42:45], v[42:43], off
	v_lshlrev_b64 v[48:49], 3, v[46:47]
	v_lshlrev_b64 v[46:47], 4, v[46:47]
	v_add_co_u32 v48, vcc_lo, s34, v48
	v_add_co_ci_u32_e64 v49, null, s35, v49, vcc_lo
	v_add_co_u32 v46, vcc_lo, s28, v46
	v_add_co_ci_u32_e64 v47, null, s29, v47, vcc_lo
	global_store_dwordx2 v[48:49], v[40:41], off offset:512
	s_waitcnt vmcnt(0)
	global_store_dwordx4 v[46:47], v[42:45], off offset:1024
.LBB311_27:                             ;   in Loop: Header=BB311_21 Depth=1
	;; [unrolled: 27-line block ×3, first 2 shown]
	s_or_b32 exec_lo, exec_lo, s96
	v_add_co_u32 v44, s96, s4, v12
	v_add_co_ci_u32_e64 v45, null, s5, 0, s96
	v_lshlrev_b32_e32 v66, 4, v12
	s_and_saveexec_b32 s96, s45
	s_cbranch_execz .LBB311_31
; %bb.30:                               ;   in Loop: Header=BB311_21 Depth=1
	v_add_co_u32 v46, vcc_lo, v72, v66
	v_add_co_ci_u32_e64 v47, null, 0, v73, vcc_lo
	v_add_co_u32 v48, vcc_lo, v70, v28
	v_add_co_ci_u32_e64 v49, null, v71, v29, vcc_lo
	v_add_co_u32 v50, vcc_lo, v52, v7
	v_cndmask_b32_e64 v46, v48, v46, s0
	v_cndmask_b32_e64 v47, v49, v47, s0
	v_add_co_ci_u32_e64 v51, null, 0, v53, vcc_lo
	v_add_co_u32 v67, vcc_lo, v52, v12
	global_load_dwordx4 v[46:49], v[46:47], off
	v_add_co_ci_u32_e64 v68, null, 0, v53, vcc_lo
	v_lshlrev_b64 v[50:51], 3, v[50:51]
	v_lshlrev_b64 v[67:68], 4, v[67:68]
	v_add_co_u32 v50, vcc_lo, s34, v50
	v_add_co_ci_u32_e64 v51, null, s35, v51, vcc_lo
	v_add_co_u32 v67, vcc_lo, s28, v67
	v_add_co_ci_u32_e64 v68, null, s29, v68, vcc_lo
	global_store_dwordx2 v[50:51], v[44:45], off offset:1024
	s_waitcnt vmcnt(0)
	global_store_dwordx4 v[67:68], v[46:49], off
.LBB311_31:                             ;   in Loop: Header=BB311_21 Depth=1
	s_or_b32 exec_lo, exec_lo, s96
	v_add_co_u32 v46, s96, s4, v13
	v_add_co_ci_u32_e64 v47, null, s5, 0, s96
	v_lshlrev_b32_e32 v67, 4, v13
	s_and_saveexec_b32 s96, s46
	s_cbranch_execz .LBB311_33
; %bb.32:                               ;   in Loop: Header=BB311_21 Depth=1
	v_add_co_u32 v48, vcc_lo, v72, v67
	v_add_co_ci_u32_e64 v49, null, 0, v73, vcc_lo
	v_add_co_u32 v50, vcc_lo, v70, v30
	v_add_co_ci_u32_e64 v51, null, v71, v31, vcc_lo
	v_add_co_u32 v68, vcc_lo, v52, v7
	v_cndmask_b32_e64 v48, v50, v48, s0
	v_cndmask_b32_e64 v49, v51, v49, s0
	v_add_co_ci_u32_e64 v69, null, 0, v53, vcc_lo
	v_add_co_u32 v74, vcc_lo, v52, v13
	global_load_dwordx4 v[48:51], v[48:49], off
	v_add_co_ci_u32_e64 v75, null, 0, v53, vcc_lo
	v_lshlrev_b64 v[68:69], 3, v[68:69]
	v_lshlrev_b64 v[74:75], 4, v[74:75]
	v_add_co_u32 v68, vcc_lo, s34, v68
	v_add_co_ci_u32_e64 v69, null, s35, v69, vcc_lo
	v_add_co_u32 v74, vcc_lo, s28, v74
	v_add_co_ci_u32_e64 v75, null, s29, v75, vcc_lo
	global_store_dwordx2 v[68:69], v[46:47], off offset:1280
	s_waitcnt vmcnt(0)
	global_store_dwordx4 v[74:75], v[48:51], off
.LBB311_33:                             ;   in Loop: Header=BB311_21 Depth=1
	s_or_b32 exec_lo, exec_lo, s96
	v_add_co_u32 v48, s96, s4, v14
	v_add_co_ci_u32_e64 v49, null, s5, 0, s96
	v_lshlrev_b32_e32 v68, 4, v14
	s_and_saveexec_b32 s96, s47
	s_cbranch_execz .LBB311_35
; %bb.34:                               ;   in Loop: Header=BB311_21 Depth=1
	v_add_co_u32 v50, vcc_lo, v72, v68
	v_add_co_ci_u32_e64 v51, null, 0, v73, vcc_lo
	v_add_co_u32 v69, vcc_lo, v70, v32
	v_add_co_ci_u32_e64 v74, null, v71, v33, vcc_lo
	v_cndmask_b32_e64 v50, v69, v50, s0
	v_cndmask_b32_e64 v51, v74, v51, s0
	global_load_dwordx4 v[74:77], v[50:51], off
	v_add_co_u32 v50, vcc_lo, v52, v7
	v_add_co_ci_u32_e64 v51, null, 0, v53, vcc_lo
	v_add_co_u32 v78, vcc_lo, v52, v14
	v_add_co_ci_u32_e64 v79, null, 0, v53, vcc_lo
	v_lshlrev_b64 v[50:51], 3, v[50:51]
	v_lshlrev_b64 v[78:79], 4, v[78:79]
	v_add_co_u32 v50, vcc_lo, s34, v50
	v_add_co_ci_u32_e64 v51, null, s35, v51, vcc_lo
	v_add_co_u32 v78, vcc_lo, s28, v78
	v_add_co_ci_u32_e64 v79, null, s29, v79, vcc_lo
	global_store_dwordx2 v[50:51], v[48:49], off offset:1536
	s_waitcnt vmcnt(0)
	global_store_dwordx4 v[78:79], v[74:77], off
.LBB311_35:                             ;   in Loop: Header=BB311_21 Depth=1
	s_or_b32 exec_lo, exec_lo, s96
	v_add_co_u32 v50, s4, s4, v17
	v_add_co_ci_u32_e64 v51, null, s5, 0, s4
	v_lshlrev_b32_e32 v69, 4, v17
	s_and_saveexec_b32 s4, s48
	s_cbranch_execz .LBB311_37
; %bb.36:                               ;   in Loop: Header=BB311_21 Depth=1
	v_add_co_u32 v74, vcc_lo, v72, v69
	v_add_co_ci_u32_e64 v75, null, 0, v73, vcc_lo
	v_add_co_u32 v76, vcc_lo, v70, v34
	v_add_co_ci_u32_e64 v77, null, v71, v35, vcc_lo
	v_add_co_u32 v78, vcc_lo, v52, v7
	v_cndmask_b32_e64 v74, v76, v74, s0
	v_cndmask_b32_e64 v75, v77, v75, s0
	v_add_co_ci_u32_e64 v79, null, 0, v53, vcc_lo
	v_add_co_u32 v52, vcc_lo, v52, v17
	global_load_dwordx4 v[74:77], v[74:75], off
	v_add_co_ci_u32_e64 v53, null, 0, v53, vcc_lo
	v_lshlrev_b64 v[78:79], 3, v[78:79]
	v_lshlrev_b64 v[52:53], 4, v[52:53]
	v_add_co_u32 v78, vcc_lo, s34, v78
	v_add_co_ci_u32_e64 v79, null, s35, v79, vcc_lo
	v_add_co_u32 v52, vcc_lo, s28, v52
	v_add_co_ci_u32_e64 v53, null, s29, v53, vcc_lo
	global_store_dwordx2 v[78:79], v[50:51], off offset:1792
	s_waitcnt vmcnt(0)
	global_store_dwordx4 v[52:53], v[74:77], off
.LBB311_37:                             ;   in Loop: Header=BB311_21 Depth=1
	s_or_b32 exec_lo, exec_lo, s4
	v_add_co_u32 v52, vcc_lo, v2, s15
	v_add_co_ci_u32_e64 v53, null, s93, v8, vcc_lo
	s_lshl_b64 s[4:5], s[38:39], 4
	v_mul_lo_u32 v74, v52, s21
	v_add_co_u32 v72, vcc_lo, v72, s4
	v_mul_lo_u32 v75, v53, s20
	v_mad_u64_u32 v[52:53], null, v52, s20, s[36:37]
	v_add_co_ci_u32_e64 v73, null, s5, v73, vcc_lo
	v_add3_u32 v53, v75, v53, v74
	s_and_saveexec_b32 s96, s40
	s_cbranch_execnz .LBB311_99
; %bb.38:                               ;   in Loop: Header=BB311_21 Depth=1
	s_or_b32 exec_lo, exec_lo, s96
	s_and_saveexec_b32 s96, s41
	s_cbranch_execnz .LBB311_100
.LBB311_39:                             ;   in Loop: Header=BB311_21 Depth=1
	s_or_b32 exec_lo, exec_lo, s96
	s_and_saveexec_b32 s96, s49
	s_cbranch_execnz .LBB311_101
.LBB311_40:                             ;   in Loop: Header=BB311_21 Depth=1
	s_or_b32 exec_lo, exec_lo, s96
	s_and_saveexec_b32 s96, s50
	s_cbranch_execnz .LBB311_102
.LBB311_41:                             ;   in Loop: Header=BB311_21 Depth=1
	s_or_b32 exec_lo, exec_lo, s96
	s_and_saveexec_b32 s96, s51
	s_cbranch_execnz .LBB311_103
.LBB311_42:                             ;   in Loop: Header=BB311_21 Depth=1
	s_or_b32 exec_lo, exec_lo, s96
	s_and_saveexec_b32 s96, s52
	s_cbranch_execnz .LBB311_104
.LBB311_43:                             ;   in Loop: Header=BB311_21 Depth=1
	s_or_b32 exec_lo, exec_lo, s96
	s_and_saveexec_b32 s96, s53
	s_cbranch_execnz .LBB311_105
.LBB311_44:                             ;   in Loop: Header=BB311_21 Depth=1
	s_or_b32 exec_lo, exec_lo, s96
	s_and_saveexec_b32 s96, s54
	s_cbranch_execz .LBB311_46
.LBB311_45:                             ;   in Loop: Header=BB311_21 Depth=1
	v_add_co_u32 v74, vcc_lo, v70, v34
	v_add_co_ci_u32_e64 v75, null, v71, v35, vcc_lo
	v_add_co_u32 v76, vcc_lo, v72, v69
	v_add_co_ci_u32_e64 v77, null, 0, v73, vcc_lo
	v_add_co_u32 v74, vcc_lo, 0x200, v74
	v_add_co_ci_u32_e64 v75, null, 0, v75, vcc_lo
	v_add_co_u32 v78, vcc_lo, v52, v7
	v_cndmask_b32_e64 v74, v74, v76, s0
	v_cndmask_b32_e64 v75, v75, v77, s0
	v_add_co_ci_u32_e64 v79, null, 0, v53, vcc_lo
	v_add_co_u32 v52, vcc_lo, v52, v17
	global_load_dwordx4 v[74:77], v[74:75], off
	v_add_co_ci_u32_e64 v53, null, 0, v53, vcc_lo
	v_lshlrev_b64 v[78:79], 3, v[78:79]
	v_lshlrev_b64 v[52:53], 4, v[52:53]
	v_add_co_u32 v78, vcc_lo, s34, v78
	v_add_co_ci_u32_e64 v79, null, s35, v79, vcc_lo
	v_add_co_u32 v52, vcc_lo, s28, v52
	v_add_co_ci_u32_e64 v53, null, s29, v53, vcc_lo
	global_store_dwordx2 v[78:79], v[50:51], off offset:1792
	s_waitcnt vmcnt(0)
	global_store_dwordx4 v[52:53], v[74:77], off
.LBB311_46:                             ;   in Loop: Header=BB311_21 Depth=1
	s_or_b32 exec_lo, exec_lo, s96
	v_add_co_u32 v52, vcc_lo, v15, s15
	v_add_co_ci_u32_e64 v53, null, s93, v54, vcc_lo
	v_add_co_u32 v72, vcc_lo, v72, s4
	v_mul_lo_u32 v74, v52, s21
	v_mul_lo_u32 v75, v53, s20
	v_mad_u64_u32 v[52:53], null, v52, s20, s[36:37]
	v_add_co_ci_u32_e64 v73, null, s5, v73, vcc_lo
	v_add3_u32 v53, v75, v53, v74
	s_and_saveexec_b32 s96, s55
	s_cbranch_execnz .LBB311_106
; %bb.47:                               ;   in Loop: Header=BB311_21 Depth=1
	s_or_b32 exec_lo, exec_lo, s96
	s_and_saveexec_b32 s96, s56
	s_cbranch_execnz .LBB311_107
.LBB311_48:                             ;   in Loop: Header=BB311_21 Depth=1
	s_or_b32 exec_lo, exec_lo, s96
	s_and_saveexec_b32 s96, s57
	s_cbranch_execnz .LBB311_108
.LBB311_49:                             ;   in Loop: Header=BB311_21 Depth=1
	s_or_b32 exec_lo, exec_lo, s96
	s_and_saveexec_b32 s96, s58
	s_cbranch_execnz .LBB311_109
.LBB311_50:                             ;   in Loop: Header=BB311_21 Depth=1
	s_or_b32 exec_lo, exec_lo, s96
	s_and_saveexec_b32 s96, s59
	s_cbranch_execnz .LBB311_110
.LBB311_51:                             ;   in Loop: Header=BB311_21 Depth=1
	s_or_b32 exec_lo, exec_lo, s96
	s_and_saveexec_b32 s96, s60
	s_cbranch_execnz .LBB311_111
.LBB311_52:                             ;   in Loop: Header=BB311_21 Depth=1
	s_or_b32 exec_lo, exec_lo, s96
	s_and_saveexec_b32 s96, s61
	s_cbranch_execnz .LBB311_112
.LBB311_53:                             ;   in Loop: Header=BB311_21 Depth=1
	s_or_b32 exec_lo, exec_lo, s96
	s_and_saveexec_b32 s96, s62
	s_cbranch_execz .LBB311_55
.LBB311_54:                             ;   in Loop: Header=BB311_21 Depth=1
	v_add_co_u32 v74, vcc_lo, v70, v34
	v_add_co_ci_u32_e64 v75, null, v71, v35, vcc_lo
	v_add_co_u32 v76, vcc_lo, v72, v69
	v_add_co_ci_u32_e64 v77, null, 0, v73, vcc_lo
	;; [unrolled: 2-line block ×3, first 2 shown]
	v_add_co_u32 v78, vcc_lo, v52, v7
	v_cndmask_b32_e64 v74, v74, v76, s0
	v_cndmask_b32_e64 v75, v75, v77, s0
	v_add_co_ci_u32_e64 v79, null, 0, v53, vcc_lo
	v_add_co_u32 v52, vcc_lo, v52, v17
	global_load_dwordx4 v[74:77], v[74:75], off
	v_add_co_ci_u32_e64 v53, null, 0, v53, vcc_lo
	v_lshlrev_b64 v[78:79], 3, v[78:79]
	v_lshlrev_b64 v[52:53], 4, v[52:53]
	v_add_co_u32 v78, vcc_lo, s34, v78
	v_add_co_ci_u32_e64 v79, null, s35, v79, vcc_lo
	v_add_co_u32 v52, vcc_lo, s28, v52
	v_add_co_ci_u32_e64 v53, null, s29, v53, vcc_lo
	global_store_dwordx2 v[78:79], v[50:51], off offset:1792
	s_waitcnt vmcnt(0)
	global_store_dwordx4 v[52:53], v[74:77], off
.LBB311_55:                             ;   in Loop: Header=BB311_21 Depth=1
	s_or_b32 exec_lo, exec_lo, s96
	v_add_co_u32 v52, vcc_lo, v55, s15
	v_add_co_ci_u32_e64 v53, null, s93, v56, vcc_lo
	v_add_co_u32 v72, vcc_lo, v72, s4
	v_mul_lo_u32 v74, v52, s21
	v_mul_lo_u32 v75, v53, s20
	v_mad_u64_u32 v[52:53], null, v52, s20, s[36:37]
	v_add_co_ci_u32_e64 v73, null, s5, v73, vcc_lo
	v_add3_u32 v53, v75, v53, v74
	s_and_saveexec_b32 s96, s63
	s_cbranch_execnz .LBB311_113
; %bb.56:                               ;   in Loop: Header=BB311_21 Depth=1
	s_or_b32 exec_lo, exec_lo, s96
	s_and_saveexec_b32 s96, s64
	s_cbranch_execnz .LBB311_114
.LBB311_57:                             ;   in Loop: Header=BB311_21 Depth=1
	s_or_b32 exec_lo, exec_lo, s96
	s_and_saveexec_b32 s96, s65
	s_cbranch_execnz .LBB311_115
.LBB311_58:                             ;   in Loop: Header=BB311_21 Depth=1
	s_or_b32 exec_lo, exec_lo, s96
	s_and_saveexec_b32 s96, s66
	s_cbranch_execnz .LBB311_116
.LBB311_59:                             ;   in Loop: Header=BB311_21 Depth=1
	s_or_b32 exec_lo, exec_lo, s96
	s_and_saveexec_b32 s96, s67
	s_cbranch_execnz .LBB311_117
.LBB311_60:                             ;   in Loop: Header=BB311_21 Depth=1
	s_or_b32 exec_lo, exec_lo, s96
	s_and_saveexec_b32 s96, s68
	s_cbranch_execnz .LBB311_118
.LBB311_61:                             ;   in Loop: Header=BB311_21 Depth=1
	s_or_b32 exec_lo, exec_lo, s96
	s_and_saveexec_b32 s96, s69
	s_cbranch_execnz .LBB311_119
.LBB311_62:                             ;   in Loop: Header=BB311_21 Depth=1
	s_or_b32 exec_lo, exec_lo, s96
	s_and_saveexec_b32 s96, s6
	s_cbranch_execz .LBB311_64
.LBB311_63:                             ;   in Loop: Header=BB311_21 Depth=1
	v_add_co_u32 v70, vcc_lo, v70, v34
	v_add_co_ci_u32_e64 v71, null, v71, v35, vcc_lo
	v_add_co_u32 v74, vcc_lo, v72, v69
	v_add_co_ci_u32_e64 v75, null, 0, v73, vcc_lo
	;; [unrolled: 2-line block ×3, first 2 shown]
	v_cndmask_b32_e64 v70, v70, v74, s0
	v_cndmask_b32_e64 v71, v71, v75, s0
	global_load_dwordx4 v[74:77], v[70:71], off
	v_add_co_u32 v70, vcc_lo, v52, v7
	v_add_co_ci_u32_e64 v71, null, 0, v53, vcc_lo
	v_add_co_u32 v52, vcc_lo, v52, v17
	v_add_co_ci_u32_e64 v53, null, 0, v53, vcc_lo
	v_lshlrev_b64 v[70:71], 3, v[70:71]
	v_lshlrev_b64 v[52:53], 4, v[52:53]
	v_add_co_u32 v70, vcc_lo, s34, v70
	v_add_co_ci_u32_e64 v71, null, s35, v71, vcc_lo
	v_add_co_u32 v52, vcc_lo, s28, v52
	v_add_co_ci_u32_e64 v53, null, s29, v53, vcc_lo
	global_store_dwordx2 v[70:71], v[50:51], off offset:1792
	s_waitcnt vmcnt(0)
	global_store_dwordx4 v[52:53], v[74:77], off
.LBB311_64:                             ;   in Loop: Header=BB311_21 Depth=1
	s_or_b32 exec_lo, exec_lo, s96
	v_add_co_u32 v52, vcc_lo, v57, s15
	v_add_co_ci_u32_e64 v53, null, s93, v58, vcc_lo
	v_lshlrev_b32_e32 v74, 4, v3
	v_mul_lo_u32 v70, v52, s21
	v_mul_lo_u32 v71, v53, s20
	v_mad_u64_u32 v[52:53], null, v52, s20, s[36:37]
	v_add_co_u32 v74, s96, s94, v74
	v_add_co_ci_u32_e64 v75, null, s95, 0, s96
	v_add3_u32 v53, v71, v53, v70
	v_add_co_u32 v70, vcc_lo, v72, s4
	v_add_co_ci_u32_e64 v71, null, s5, v73, vcc_lo
	s_and_saveexec_b32 s96, s70
	s_cbranch_execnz .LBB311_120
; %bb.65:                               ;   in Loop: Header=BB311_21 Depth=1
	s_or_b32 exec_lo, exec_lo, s96
	s_and_saveexec_b32 s96, s71
	s_cbranch_execnz .LBB311_121
.LBB311_66:                             ;   in Loop: Header=BB311_21 Depth=1
	s_or_b32 exec_lo, exec_lo, s96
	s_and_saveexec_b32 s96, s72
	s_cbranch_execnz .LBB311_122
.LBB311_67:                             ;   in Loop: Header=BB311_21 Depth=1
	s_or_b32 exec_lo, exec_lo, s96
	s_and_saveexec_b32 s96, s73
	s_cbranch_execnz .LBB311_123
.LBB311_68:                             ;   in Loop: Header=BB311_21 Depth=1
	s_or_b32 exec_lo, exec_lo, s96
	s_and_saveexec_b32 s96, s74
	s_cbranch_execnz .LBB311_124
.LBB311_69:                             ;   in Loop: Header=BB311_21 Depth=1
	s_or_b32 exec_lo, exec_lo, s96
	s_and_saveexec_b32 s96, s75
	s_cbranch_execnz .LBB311_125
.LBB311_70:                             ;   in Loop: Header=BB311_21 Depth=1
	s_or_b32 exec_lo, exec_lo, s96
	s_and_saveexec_b32 s96, s76
	s_cbranch_execnz .LBB311_126
.LBB311_71:                             ;   in Loop: Header=BB311_21 Depth=1
	s_or_b32 exec_lo, exec_lo, s96
	s_and_saveexec_b32 s96, s7
	s_cbranch_execz .LBB311_73
.LBB311_72:                             ;   in Loop: Header=BB311_21 Depth=1
	v_add_co_u32 v72, vcc_lo, v70, v69
	v_add_co_ci_u32_e64 v73, null, 0, v71, vcc_lo
	v_add_co_u32 v74, vcc_lo, v74, v34
	v_add_co_ci_u32_e64 v75, null, v75, v35, vcc_lo
	v_add_co_u32 v76, vcc_lo, v52, v7
	v_cndmask_b32_e64 v72, v74, v72, s0
	v_cndmask_b32_e64 v73, v75, v73, s0
	v_add_co_ci_u32_e64 v77, null, 0, v53, vcc_lo
	v_add_co_u32 v52, vcc_lo, v52, v17
	global_load_dwordx4 v[72:75], v[72:73], off
	v_add_co_ci_u32_e64 v53, null, 0, v53, vcc_lo
	v_lshlrev_b64 v[76:77], 3, v[76:77]
	v_lshlrev_b64 v[52:53], 4, v[52:53]
	v_add_co_u32 v76, vcc_lo, s34, v76
	v_add_co_ci_u32_e64 v77, null, s35, v77, vcc_lo
	v_add_co_u32 v52, vcc_lo, s28, v52
	v_add_co_ci_u32_e64 v53, null, s29, v53, vcc_lo
	global_store_dwordx2 v[76:77], v[50:51], off offset:1792
	s_waitcnt vmcnt(0)
	global_store_dwordx4 v[52:53], v[72:75], off
.LBB311_73:                             ;   in Loop: Header=BB311_21 Depth=1
	s_or_b32 exec_lo, exec_lo, s96
	v_add_co_u32 v52, vcc_lo, v59, s15
	v_add_co_ci_u32_e64 v53, null, s93, v60, vcc_lo
	v_lshlrev_b32_e32 v72, 4, v4
	v_mul_lo_u32 v74, v52, s21
	v_add_co_u32 v70, vcc_lo, v70, s4
	v_mul_lo_u32 v75, v53, s20
	v_mad_u64_u32 v[52:53], null, v52, s20, s[36:37]
	v_add_co_u32 v72, s96, s94, v72
	v_add_co_ci_u32_e64 v73, null, s95, 0, s96
	v_add_co_ci_u32_e64 v71, null, s5, v71, vcc_lo
	v_add3_u32 v53, v75, v53, v74
	s_and_saveexec_b32 s96, s77
	s_cbranch_execnz .LBB311_127
; %bb.74:                               ;   in Loop: Header=BB311_21 Depth=1
	s_or_b32 exec_lo, exec_lo, s96
	s_and_saveexec_b32 s96, s78
	s_cbranch_execnz .LBB311_128
.LBB311_75:                             ;   in Loop: Header=BB311_21 Depth=1
	s_or_b32 exec_lo, exec_lo, s96
	s_and_saveexec_b32 s96, s79
	s_cbranch_execnz .LBB311_129
.LBB311_76:                             ;   in Loop: Header=BB311_21 Depth=1
	s_or_b32 exec_lo, exec_lo, s96
	s_and_saveexec_b32 s96, s80
	s_cbranch_execnz .LBB311_130
.LBB311_77:                             ;   in Loop: Header=BB311_21 Depth=1
	s_or_b32 exec_lo, exec_lo, s96
	s_and_saveexec_b32 s96, s81
	s_cbranch_execnz .LBB311_131
.LBB311_78:                             ;   in Loop: Header=BB311_21 Depth=1
	s_or_b32 exec_lo, exec_lo, s96
	s_and_saveexec_b32 s96, s82
	s_cbranch_execnz .LBB311_132
.LBB311_79:                             ;   in Loop: Header=BB311_21 Depth=1
	s_or_b32 exec_lo, exec_lo, s96
	s_and_saveexec_b32 s96, s83
	s_cbranch_execnz .LBB311_133
.LBB311_80:                             ;   in Loop: Header=BB311_21 Depth=1
	s_or_b32 exec_lo, exec_lo, s96
	s_and_saveexec_b32 s96, s8
	s_cbranch_execz .LBB311_82
.LBB311_81:                             ;   in Loop: Header=BB311_21 Depth=1
	v_add_co_u32 v74, vcc_lo, v70, v69
	v_add_co_ci_u32_e64 v75, null, 0, v71, vcc_lo
	v_add_co_u32 v72, vcc_lo, v72, v34
	v_add_co_ci_u32_e64 v73, null, v73, v35, vcc_lo
	v_add_co_u32 v76, vcc_lo, v52, v7
	v_cndmask_b32_e64 v72, v72, v74, s0
	v_cndmask_b32_e64 v73, v73, v75, s0
	v_add_co_ci_u32_e64 v77, null, 0, v53, vcc_lo
	v_add_co_u32 v52, vcc_lo, v52, v17
	global_load_dwordx4 v[72:75], v[72:73], off
	v_add_co_ci_u32_e64 v53, null, 0, v53, vcc_lo
	v_lshlrev_b64 v[76:77], 3, v[76:77]
	v_lshlrev_b64 v[52:53], 4, v[52:53]
	v_add_co_u32 v76, vcc_lo, s34, v76
	v_add_co_ci_u32_e64 v77, null, s35, v77, vcc_lo
	v_add_co_u32 v52, vcc_lo, s28, v52
	v_add_co_ci_u32_e64 v53, null, s29, v53, vcc_lo
	global_store_dwordx2 v[76:77], v[50:51], off offset:1792
	s_waitcnt vmcnt(0)
	global_store_dwordx4 v[52:53], v[72:75], off
.LBB311_82:                             ;   in Loop: Header=BB311_21 Depth=1
	s_or_b32 exec_lo, exec_lo, s96
	v_add_co_u32 v52, vcc_lo, v61, s15
	v_add_co_ci_u32_e64 v53, null, s93, v62, vcc_lo
	v_lshlrev_b32_e32 v72, 4, v5
	v_mul_lo_u32 v74, v52, s21
	v_add_co_u32 v70, vcc_lo, v70, s4
	v_mul_lo_u32 v75, v53, s20
	v_mad_u64_u32 v[52:53], null, v52, s20, s[36:37]
	v_add_co_u32 v72, s96, s94, v72
	v_add_co_ci_u32_e64 v73, null, s95, 0, s96
	v_add_co_ci_u32_e64 v71, null, s5, v71, vcc_lo
	v_add3_u32 v53, v75, v53, v74
	s_and_saveexec_b32 s96, s84
	s_cbranch_execnz .LBB311_134
; %bb.83:                               ;   in Loop: Header=BB311_21 Depth=1
	s_or_b32 exec_lo, exec_lo, s96
	s_and_saveexec_b32 s96, s85
	s_cbranch_execnz .LBB311_135
.LBB311_84:                             ;   in Loop: Header=BB311_21 Depth=1
	s_or_b32 exec_lo, exec_lo, s96
	s_and_saveexec_b32 s96, s86
	s_cbranch_execnz .LBB311_136
.LBB311_85:                             ;   in Loop: Header=BB311_21 Depth=1
	s_or_b32 exec_lo, exec_lo, s96
	s_and_saveexec_b32 s96, s87
	s_cbranch_execnz .LBB311_137
.LBB311_86:                             ;   in Loop: Header=BB311_21 Depth=1
	s_or_b32 exec_lo, exec_lo, s96
	s_and_saveexec_b32 s96, s88
	s_cbranch_execnz .LBB311_138
.LBB311_87:                             ;   in Loop: Header=BB311_21 Depth=1
	s_or_b32 exec_lo, exec_lo, s96
	s_and_saveexec_b32 s96, s89
	s_cbranch_execnz .LBB311_139
.LBB311_88:                             ;   in Loop: Header=BB311_21 Depth=1
	s_or_b32 exec_lo, exec_lo, s96
	s_and_saveexec_b32 s96, s90
	s_cbranch_execnz .LBB311_140
.LBB311_89:                             ;   in Loop: Header=BB311_21 Depth=1
	s_or_b32 exec_lo, exec_lo, s96
	s_and_saveexec_b32 s96, s10
	s_cbranch_execz .LBB311_91
.LBB311_90:                             ;   in Loop: Header=BB311_21 Depth=1
	v_add_co_u32 v74, vcc_lo, v70, v69
	v_add_co_ci_u32_e64 v75, null, 0, v71, vcc_lo
	v_add_co_u32 v72, vcc_lo, v72, v34
	v_add_co_ci_u32_e64 v73, null, v73, v35, vcc_lo
	v_add_co_u32 v76, vcc_lo, v52, v7
	v_cndmask_b32_e64 v72, v72, v74, s0
	v_cndmask_b32_e64 v73, v73, v75, s0
	v_add_co_ci_u32_e64 v77, null, 0, v53, vcc_lo
	v_add_co_u32 v52, vcc_lo, v52, v17
	global_load_dwordx4 v[72:75], v[72:73], off
	v_add_co_ci_u32_e64 v53, null, 0, v53, vcc_lo
	v_lshlrev_b64 v[76:77], 3, v[76:77]
	v_lshlrev_b64 v[52:53], 4, v[52:53]
	v_add_co_u32 v76, vcc_lo, s34, v76
	v_add_co_ci_u32_e64 v77, null, s35, v77, vcc_lo
	v_add_co_u32 v52, vcc_lo, s28, v52
	v_add_co_ci_u32_e64 v53, null, s29, v53, vcc_lo
	global_store_dwordx2 v[76:77], v[50:51], off offset:1792
	s_waitcnt vmcnt(0)
	global_store_dwordx4 v[52:53], v[72:75], off
.LBB311_91:                             ;   in Loop: Header=BB311_21 Depth=1
	s_or_b32 exec_lo, exec_lo, s96
	v_add_co_u32 v52, vcc_lo, v63, s15
	v_add_co_ci_u32_e64 v53, null, s93, v64, vcc_lo
	v_lshlrev_b32_e32 v72, 4, v6
	v_mul_lo_u32 v74, v52, s21
	v_add_co_u32 v70, vcc_lo, v70, s4
	v_mul_lo_u32 v75, v53, s20
	v_mad_u64_u32 v[52:53], null, v52, s20, s[36:37]
	v_add_co_u32 v72, s15, s94, v72
	v_add_co_ci_u32_e64 v73, null, s95, 0, s15
	v_add_co_ci_u32_e64 v71, null, s5, v71, vcc_lo
	v_add3_u32 v53, v75, v53, v74
	s_and_saveexec_b32 s4, s1
	s_cbranch_execnz .LBB311_141
; %bb.92:                               ;   in Loop: Header=BB311_21 Depth=1
	s_or_b32 exec_lo, exec_lo, s4
	s_and_saveexec_b32 s4, s91
	s_cbranch_execnz .LBB311_142
.LBB311_93:                             ;   in Loop: Header=BB311_21 Depth=1
	s_or_b32 exec_lo, exec_lo, s4
	s_and_saveexec_b32 s4, s92
	s_cbranch_execnz .LBB311_143
.LBB311_94:                             ;   in Loop: Header=BB311_21 Depth=1
	s_or_b32 exec_lo, exec_lo, s4
	s_and_saveexec_b32 s4, s11
	s_cbranch_execnz .LBB311_144
.LBB311_95:                             ;   in Loop: Header=BB311_21 Depth=1
	s_or_b32 exec_lo, exec_lo, s4
	s_and_saveexec_b32 s4, s12
	s_cbranch_execnz .LBB311_145
.LBB311_96:                             ;   in Loop: Header=BB311_21 Depth=1
	s_or_b32 exec_lo, exec_lo, s4
	s_and_saveexec_b32 s4, s13
	s_cbranch_execnz .LBB311_146
.LBB311_97:                             ;   in Loop: Header=BB311_21 Depth=1
	s_or_b32 exec_lo, exec_lo, s4
	s_and_saveexec_b32 s4, s14
	s_cbranch_execnz .LBB311_147
.LBB311_98:                             ;   in Loop: Header=BB311_21 Depth=1
	s_or_b32 exec_lo, exec_lo, s4
	s_and_saveexec_b32 s4, s9
	s_cbranch_execz .LBB311_20
	s_branch .LBB311_148
.LBB311_99:                             ;   in Loop: Header=BB311_21 Depth=1
	v_add_co_u32 v74, vcc_lo, v70, v20
	v_add_co_ci_u32_e64 v75, null, v71, v21, vcc_lo
	v_add_co_u32 v76, vcc_lo, v72, v65
	v_add_co_ci_u32_e64 v77, null, 0, v73, vcc_lo
	;; [unrolled: 2-line block ×3, first 2 shown]
	v_add_co_u32 v78, vcc_lo, v52, v7
	v_cndmask_b32_e64 v74, v74, v76, s0
	v_cndmask_b32_e64 v75, v75, v77, s0
	v_add_co_ci_u32_e64 v79, null, 0, v53, vcc_lo
	global_load_dwordx4 v[74:77], v[74:75], off
	v_lshlrev_b64 v[80:81], 3, v[78:79]
	v_lshlrev_b64 v[78:79], 4, v[78:79]
	v_add_co_u32 v80, vcc_lo, s34, v80
	v_add_co_ci_u32_e64 v81, null, s35, v81, vcc_lo
	v_add_co_u32 v78, vcc_lo, s28, v78
	v_add_co_ci_u32_e64 v79, null, s29, v79, vcc_lo
	global_store_dwordx2 v[80:81], v[36:37], off
	s_waitcnt vmcnt(0)
	global_store_dwordx4 v[78:79], v[74:77], off
	s_or_b32 exec_lo, exec_lo, s96
	s_and_saveexec_b32 s96, s41
	s_cbranch_execz .LBB311_39
.LBB311_100:                            ;   in Loop: Header=BB311_21 Depth=1
	v_add_co_u32 v74, vcc_lo, v72, v65
	v_add_co_ci_u32_e64 v75, null, 0, v73, vcc_lo
	v_add_co_u32 v76, vcc_lo, v70, v22
	v_add_co_ci_u32_e64 v77, null, v71, v23, vcc_lo
	v_add_co_u32 v74, vcc_lo, 0x200, v74
	v_add_co_ci_u32_e64 v75, null, 0, v75, vcc_lo
	v_add_co_u32 v76, vcc_lo, 0x200, v76
	v_add_co_ci_u32_e64 v77, null, 0, v77, vcc_lo
	v_add_co_u32 v78, vcc_lo, v52, v7
	v_cndmask_b32_e64 v74, v76, v74, s0
	v_cndmask_b32_e64 v75, v77, v75, s0
	v_add_co_ci_u32_e64 v79, null, 0, v53, vcc_lo
	global_load_dwordx4 v[74:77], v[74:75], off
	v_lshlrev_b64 v[80:81], 3, v[78:79]
	v_lshlrev_b64 v[78:79], 4, v[78:79]
	v_add_co_u32 v80, vcc_lo, s34, v80
	v_add_co_ci_u32_e64 v81, null, s35, v81, vcc_lo
	v_add_co_u32 v78, vcc_lo, s28, v78
	v_add_co_ci_u32_e64 v79, null, s29, v79, vcc_lo
	global_store_dwordx2 v[80:81], v[38:39], off offset:256
	s_waitcnt vmcnt(0)
	global_store_dwordx4 v[78:79], v[74:77], off offset:512
	s_or_b32 exec_lo, exec_lo, s96
	s_and_saveexec_b32 s96, s49
	s_cbranch_execz .LBB311_40
.LBB311_101:                            ;   in Loop: Header=BB311_21 Depth=1
	v_add_co_u32 v74, vcc_lo, v72, v65
	v_add_co_ci_u32_e64 v75, null, 0, v73, vcc_lo
	v_add_co_u32 v76, vcc_lo, v70, v24
	v_add_co_ci_u32_e64 v77, null, v71, v25, vcc_lo
	;; [unrolled: 2-line block ×4, first 2 shown]
	v_add_co_u32 v78, vcc_lo, v52, v7
	v_cndmask_b32_e64 v74, v76, v74, s0
	v_cndmask_b32_e64 v75, v77, v75, s0
	v_add_co_ci_u32_e64 v79, null, 0, v53, vcc_lo
	global_load_dwordx4 v[74:77], v[74:75], off
	v_lshlrev_b64 v[80:81], 3, v[78:79]
	v_lshlrev_b64 v[78:79], 4, v[78:79]
	v_add_co_u32 v80, vcc_lo, s34, v80
	v_add_co_ci_u32_e64 v81, null, s35, v81, vcc_lo
	v_add_co_u32 v78, vcc_lo, s28, v78
	v_add_co_ci_u32_e64 v79, null, s29, v79, vcc_lo
	global_store_dwordx2 v[80:81], v[40:41], off offset:512
	s_waitcnt vmcnt(0)
	global_store_dwordx4 v[78:79], v[74:77], off offset:1024
	s_or_b32 exec_lo, exec_lo, s96
	s_and_saveexec_b32 s96, s50
	s_cbranch_execz .LBB311_41
.LBB311_102:                            ;   in Loop: Header=BB311_21 Depth=1
	v_add_co_u32 v74, vcc_lo, v72, v65
	v_add_co_ci_u32_e64 v75, null, 0, v73, vcc_lo
	v_add_co_u32 v76, vcc_lo, v70, v26
	v_add_co_ci_u32_e64 v77, null, v71, v27, vcc_lo
	;; [unrolled: 2-line block ×4, first 2 shown]
	v_add_co_u32 v78, vcc_lo, v52, v7
	v_cndmask_b32_e64 v74, v76, v74, s0
	v_cndmask_b32_e64 v75, v77, v75, s0
	v_add_co_ci_u32_e64 v79, null, 0, v53, vcc_lo
	global_load_dwordx4 v[74:77], v[74:75], off
	v_lshlrev_b64 v[80:81], 3, v[78:79]
	v_lshlrev_b64 v[78:79], 4, v[78:79]
	v_add_co_u32 v80, vcc_lo, s34, v80
	v_add_co_ci_u32_e64 v81, null, s35, v81, vcc_lo
	v_add_co_u32 v78, vcc_lo, s28, v78
	v_add_co_ci_u32_e64 v79, null, s29, v79, vcc_lo
	global_store_dwordx2 v[80:81], v[42:43], off offset:768
	s_waitcnt vmcnt(0)
	global_store_dwordx4 v[78:79], v[74:77], off offset:1536
	s_or_b32 exec_lo, exec_lo, s96
	s_and_saveexec_b32 s96, s51
	s_cbranch_execz .LBB311_42
.LBB311_103:                            ;   in Loop: Header=BB311_21 Depth=1
	v_add_co_u32 v74, vcc_lo, v70, v28
	v_add_co_ci_u32_e64 v75, null, v71, v29, vcc_lo
	v_add_co_u32 v76, vcc_lo, v72, v66
	v_add_co_ci_u32_e64 v77, null, 0, v73, vcc_lo
	;; [unrolled: 2-line block ×3, first 2 shown]
	v_add_co_u32 v78, vcc_lo, v52, v7
	v_cndmask_b32_e64 v74, v74, v76, s0
	v_cndmask_b32_e64 v75, v75, v77, s0
	v_add_co_ci_u32_e64 v79, null, 0, v53, vcc_lo
	v_add_co_u32 v80, vcc_lo, v52, v12
	global_load_dwordx4 v[74:77], v[74:75], off
	v_add_co_ci_u32_e64 v81, null, 0, v53, vcc_lo
	v_lshlrev_b64 v[78:79], 3, v[78:79]
	v_lshlrev_b64 v[80:81], 4, v[80:81]
	v_add_co_u32 v78, vcc_lo, s34, v78
	v_add_co_ci_u32_e64 v79, null, s35, v79, vcc_lo
	v_add_co_u32 v80, vcc_lo, s28, v80
	v_add_co_ci_u32_e64 v81, null, s29, v81, vcc_lo
	global_store_dwordx2 v[78:79], v[44:45], off offset:1024
	s_waitcnt vmcnt(0)
	global_store_dwordx4 v[80:81], v[74:77], off
	s_or_b32 exec_lo, exec_lo, s96
	s_and_saveexec_b32 s96, s52
	s_cbranch_execz .LBB311_43
.LBB311_104:                            ;   in Loop: Header=BB311_21 Depth=1
	v_add_co_u32 v74, vcc_lo, v70, v30
	v_add_co_ci_u32_e64 v75, null, v71, v31, vcc_lo
	v_add_co_u32 v76, vcc_lo, v72, v67
	v_add_co_ci_u32_e64 v77, null, 0, v73, vcc_lo
	;; [unrolled: 2-line block ×3, first 2 shown]
	v_add_co_u32 v78, vcc_lo, v52, v7
	v_cndmask_b32_e64 v74, v74, v76, s0
	v_cndmask_b32_e64 v75, v75, v77, s0
	v_add_co_ci_u32_e64 v79, null, 0, v53, vcc_lo
	v_add_co_u32 v80, vcc_lo, v52, v13
	global_load_dwordx4 v[74:77], v[74:75], off
	v_add_co_ci_u32_e64 v81, null, 0, v53, vcc_lo
	v_lshlrev_b64 v[78:79], 3, v[78:79]
	v_lshlrev_b64 v[80:81], 4, v[80:81]
	v_add_co_u32 v78, vcc_lo, s34, v78
	v_add_co_ci_u32_e64 v79, null, s35, v79, vcc_lo
	v_add_co_u32 v80, vcc_lo, s28, v80
	v_add_co_ci_u32_e64 v81, null, s29, v81, vcc_lo
	global_store_dwordx2 v[78:79], v[46:47], off offset:1280
	s_waitcnt vmcnt(0)
	global_store_dwordx4 v[80:81], v[74:77], off
	s_or_b32 exec_lo, exec_lo, s96
	s_and_saveexec_b32 s96, s53
	s_cbranch_execz .LBB311_44
.LBB311_105:                            ;   in Loop: Header=BB311_21 Depth=1
	v_add_co_u32 v74, vcc_lo, v70, v32
	v_add_co_ci_u32_e64 v75, null, v71, v33, vcc_lo
	v_add_co_u32 v76, vcc_lo, v72, v68
	v_add_co_ci_u32_e64 v77, null, 0, v73, vcc_lo
	;; [unrolled: 2-line block ×3, first 2 shown]
	v_add_co_u32 v78, vcc_lo, v52, v7
	v_cndmask_b32_e64 v74, v74, v76, s0
	v_cndmask_b32_e64 v75, v75, v77, s0
	v_add_co_ci_u32_e64 v79, null, 0, v53, vcc_lo
	v_add_co_u32 v80, vcc_lo, v52, v14
	global_load_dwordx4 v[74:77], v[74:75], off
	v_add_co_ci_u32_e64 v81, null, 0, v53, vcc_lo
	v_lshlrev_b64 v[78:79], 3, v[78:79]
	v_lshlrev_b64 v[80:81], 4, v[80:81]
	v_add_co_u32 v78, vcc_lo, s34, v78
	v_add_co_ci_u32_e64 v79, null, s35, v79, vcc_lo
	v_add_co_u32 v80, vcc_lo, s28, v80
	v_add_co_ci_u32_e64 v81, null, s29, v81, vcc_lo
	global_store_dwordx2 v[78:79], v[48:49], off offset:1536
	s_waitcnt vmcnt(0)
	global_store_dwordx4 v[80:81], v[74:77], off
	s_or_b32 exec_lo, exec_lo, s96
	s_and_saveexec_b32 s96, s54
	s_cbranch_execnz .LBB311_45
	s_branch .LBB311_46
.LBB311_106:                            ;   in Loop: Header=BB311_21 Depth=1
	v_add_co_u32 v74, vcc_lo, v70, v20
	v_add_co_ci_u32_e64 v75, null, v71, v21, vcc_lo
	v_add_co_u32 v76, vcc_lo, v72, v65
	v_add_co_ci_u32_e64 v77, null, 0, v73, vcc_lo
	;; [unrolled: 2-line block ×3, first 2 shown]
	v_add_co_u32 v78, vcc_lo, v52, v7
	v_cndmask_b32_e64 v74, v74, v76, s0
	v_cndmask_b32_e64 v75, v75, v77, s0
	v_add_co_ci_u32_e64 v79, null, 0, v53, vcc_lo
	global_load_dwordx4 v[74:77], v[74:75], off
	v_lshlrev_b64 v[80:81], 3, v[78:79]
	v_lshlrev_b64 v[78:79], 4, v[78:79]
	v_add_co_u32 v80, vcc_lo, s34, v80
	v_add_co_ci_u32_e64 v81, null, s35, v81, vcc_lo
	v_add_co_u32 v78, vcc_lo, s28, v78
	v_add_co_ci_u32_e64 v79, null, s29, v79, vcc_lo
	global_store_dwordx2 v[80:81], v[36:37], off
	s_waitcnt vmcnt(0)
	global_store_dwordx4 v[78:79], v[74:77], off
	s_or_b32 exec_lo, exec_lo, s96
	s_and_saveexec_b32 s96, s56
	s_cbranch_execz .LBB311_48
.LBB311_107:                            ;   in Loop: Header=BB311_21 Depth=1
	v_add_co_u32 v74, vcc_lo, v72, v65
	v_add_co_ci_u32_e64 v75, null, 0, v73, vcc_lo
	v_add_co_u32 v76, vcc_lo, v70, v22
	v_add_co_ci_u32_e64 v77, null, v71, v23, vcc_lo
	;; [unrolled: 2-line block ×4, first 2 shown]
	v_add_co_u32 v78, vcc_lo, v52, v7
	v_cndmask_b32_e64 v74, v76, v74, s0
	v_cndmask_b32_e64 v75, v77, v75, s0
	v_add_co_ci_u32_e64 v79, null, 0, v53, vcc_lo
	global_load_dwordx4 v[74:77], v[74:75], off
	v_lshlrev_b64 v[80:81], 3, v[78:79]
	v_lshlrev_b64 v[78:79], 4, v[78:79]
	v_add_co_u32 v80, vcc_lo, s34, v80
	v_add_co_ci_u32_e64 v81, null, s35, v81, vcc_lo
	v_add_co_u32 v78, vcc_lo, s28, v78
	v_add_co_ci_u32_e64 v79, null, s29, v79, vcc_lo
	global_store_dwordx2 v[80:81], v[38:39], off offset:256
	s_waitcnt vmcnt(0)
	global_store_dwordx4 v[78:79], v[74:77], off offset:512
	s_or_b32 exec_lo, exec_lo, s96
	s_and_saveexec_b32 s96, s57
	s_cbranch_execz .LBB311_49
.LBB311_108:                            ;   in Loop: Header=BB311_21 Depth=1
	v_add_co_u32 v74, vcc_lo, v72, v65
	v_add_co_ci_u32_e64 v75, null, 0, v73, vcc_lo
	v_add_co_u32 v76, vcc_lo, v70, v24
	v_add_co_ci_u32_e64 v77, null, v71, v25, vcc_lo
	;; [unrolled: 2-line block ×4, first 2 shown]
	v_add_co_u32 v78, vcc_lo, v52, v7
	v_cndmask_b32_e64 v74, v76, v74, s0
	v_cndmask_b32_e64 v75, v77, v75, s0
	v_add_co_ci_u32_e64 v79, null, 0, v53, vcc_lo
	global_load_dwordx4 v[74:77], v[74:75], off
	v_lshlrev_b64 v[80:81], 3, v[78:79]
	v_lshlrev_b64 v[78:79], 4, v[78:79]
	v_add_co_u32 v80, vcc_lo, s34, v80
	v_add_co_ci_u32_e64 v81, null, s35, v81, vcc_lo
	v_add_co_u32 v78, vcc_lo, s28, v78
	v_add_co_ci_u32_e64 v79, null, s29, v79, vcc_lo
	global_store_dwordx2 v[80:81], v[40:41], off offset:512
	s_waitcnt vmcnt(0)
	global_store_dwordx4 v[78:79], v[74:77], off offset:1024
	s_or_b32 exec_lo, exec_lo, s96
	s_and_saveexec_b32 s96, s58
	s_cbranch_execz .LBB311_50
.LBB311_109:                            ;   in Loop: Header=BB311_21 Depth=1
	v_add_co_u32 v74, vcc_lo, v72, v65
	v_add_co_ci_u32_e64 v75, null, 0, v73, vcc_lo
	v_add_co_u32 v76, vcc_lo, v70, v26
	v_add_co_ci_u32_e64 v77, null, v71, v27, vcc_lo
	;; [unrolled: 2-line block ×4, first 2 shown]
	v_add_co_u32 v78, vcc_lo, v52, v7
	v_cndmask_b32_e64 v74, v76, v74, s0
	v_cndmask_b32_e64 v75, v77, v75, s0
	v_add_co_ci_u32_e64 v79, null, 0, v53, vcc_lo
	global_load_dwordx4 v[74:77], v[74:75], off
	v_lshlrev_b64 v[80:81], 3, v[78:79]
	v_lshlrev_b64 v[78:79], 4, v[78:79]
	v_add_co_u32 v80, vcc_lo, s34, v80
	v_add_co_ci_u32_e64 v81, null, s35, v81, vcc_lo
	v_add_co_u32 v78, vcc_lo, s28, v78
	v_add_co_ci_u32_e64 v79, null, s29, v79, vcc_lo
	global_store_dwordx2 v[80:81], v[42:43], off offset:768
	s_waitcnt vmcnt(0)
	global_store_dwordx4 v[78:79], v[74:77], off offset:1536
	s_or_b32 exec_lo, exec_lo, s96
	s_and_saveexec_b32 s96, s59
	s_cbranch_execz .LBB311_51
.LBB311_110:                            ;   in Loop: Header=BB311_21 Depth=1
	v_add_co_u32 v74, vcc_lo, v70, v28
	v_add_co_ci_u32_e64 v75, null, v71, v29, vcc_lo
	v_add_co_u32 v76, vcc_lo, v72, v66
	v_add_co_ci_u32_e64 v77, null, 0, v73, vcc_lo
	;; [unrolled: 2-line block ×3, first 2 shown]
	v_add_co_u32 v78, vcc_lo, v52, v7
	v_cndmask_b32_e64 v74, v74, v76, s0
	v_cndmask_b32_e64 v75, v75, v77, s0
	v_add_co_ci_u32_e64 v79, null, 0, v53, vcc_lo
	v_add_co_u32 v80, vcc_lo, v52, v12
	global_load_dwordx4 v[74:77], v[74:75], off
	v_add_co_ci_u32_e64 v81, null, 0, v53, vcc_lo
	v_lshlrev_b64 v[78:79], 3, v[78:79]
	v_lshlrev_b64 v[80:81], 4, v[80:81]
	v_add_co_u32 v78, vcc_lo, s34, v78
	v_add_co_ci_u32_e64 v79, null, s35, v79, vcc_lo
	v_add_co_u32 v80, vcc_lo, s28, v80
	v_add_co_ci_u32_e64 v81, null, s29, v81, vcc_lo
	global_store_dwordx2 v[78:79], v[44:45], off offset:1024
	s_waitcnt vmcnt(0)
	global_store_dwordx4 v[80:81], v[74:77], off
	s_or_b32 exec_lo, exec_lo, s96
	s_and_saveexec_b32 s96, s60
	s_cbranch_execz .LBB311_52
.LBB311_111:                            ;   in Loop: Header=BB311_21 Depth=1
	v_add_co_u32 v74, vcc_lo, v70, v30
	v_add_co_ci_u32_e64 v75, null, v71, v31, vcc_lo
	v_add_co_u32 v76, vcc_lo, v72, v67
	v_add_co_ci_u32_e64 v77, null, 0, v73, vcc_lo
	;; [unrolled: 2-line block ×3, first 2 shown]
	v_add_co_u32 v78, vcc_lo, v52, v7
	v_cndmask_b32_e64 v74, v74, v76, s0
	v_cndmask_b32_e64 v75, v75, v77, s0
	v_add_co_ci_u32_e64 v79, null, 0, v53, vcc_lo
	v_add_co_u32 v80, vcc_lo, v52, v13
	global_load_dwordx4 v[74:77], v[74:75], off
	v_add_co_ci_u32_e64 v81, null, 0, v53, vcc_lo
	v_lshlrev_b64 v[78:79], 3, v[78:79]
	v_lshlrev_b64 v[80:81], 4, v[80:81]
	v_add_co_u32 v78, vcc_lo, s34, v78
	v_add_co_ci_u32_e64 v79, null, s35, v79, vcc_lo
	v_add_co_u32 v80, vcc_lo, s28, v80
	v_add_co_ci_u32_e64 v81, null, s29, v81, vcc_lo
	global_store_dwordx2 v[78:79], v[46:47], off offset:1280
	s_waitcnt vmcnt(0)
	global_store_dwordx4 v[80:81], v[74:77], off
	s_or_b32 exec_lo, exec_lo, s96
	s_and_saveexec_b32 s96, s61
	s_cbranch_execz .LBB311_53
.LBB311_112:                            ;   in Loop: Header=BB311_21 Depth=1
	v_add_co_u32 v74, vcc_lo, v70, v32
	v_add_co_ci_u32_e64 v75, null, v71, v33, vcc_lo
	v_add_co_u32 v76, vcc_lo, v72, v68
	v_add_co_ci_u32_e64 v77, null, 0, v73, vcc_lo
	;; [unrolled: 2-line block ×3, first 2 shown]
	v_add_co_u32 v78, vcc_lo, v52, v7
	v_cndmask_b32_e64 v74, v74, v76, s0
	v_cndmask_b32_e64 v75, v75, v77, s0
	v_add_co_ci_u32_e64 v79, null, 0, v53, vcc_lo
	v_add_co_u32 v80, vcc_lo, v52, v14
	global_load_dwordx4 v[74:77], v[74:75], off
	v_add_co_ci_u32_e64 v81, null, 0, v53, vcc_lo
	v_lshlrev_b64 v[78:79], 3, v[78:79]
	v_lshlrev_b64 v[80:81], 4, v[80:81]
	v_add_co_u32 v78, vcc_lo, s34, v78
	v_add_co_ci_u32_e64 v79, null, s35, v79, vcc_lo
	v_add_co_u32 v80, vcc_lo, s28, v80
	v_add_co_ci_u32_e64 v81, null, s29, v81, vcc_lo
	global_store_dwordx2 v[78:79], v[48:49], off offset:1536
	s_waitcnt vmcnt(0)
	global_store_dwordx4 v[80:81], v[74:77], off
	s_or_b32 exec_lo, exec_lo, s96
	s_and_saveexec_b32 s96, s62
	s_cbranch_execnz .LBB311_54
	s_branch .LBB311_55
.LBB311_113:                            ;   in Loop: Header=BB311_21 Depth=1
	v_add_co_u32 v74, vcc_lo, v70, v20
	v_add_co_ci_u32_e64 v75, null, v71, v21, vcc_lo
	v_add_co_u32 v76, vcc_lo, v72, v65
	v_add_co_ci_u32_e64 v77, null, 0, v73, vcc_lo
	;; [unrolled: 2-line block ×3, first 2 shown]
	v_add_co_u32 v78, vcc_lo, v52, v7
	v_cndmask_b32_e64 v74, v74, v76, s0
	v_cndmask_b32_e64 v75, v75, v77, s0
	v_add_co_ci_u32_e64 v79, null, 0, v53, vcc_lo
	global_load_dwordx4 v[74:77], v[74:75], off
	v_lshlrev_b64 v[80:81], 3, v[78:79]
	v_lshlrev_b64 v[78:79], 4, v[78:79]
	v_add_co_u32 v80, vcc_lo, s34, v80
	v_add_co_ci_u32_e64 v81, null, s35, v81, vcc_lo
	v_add_co_u32 v78, vcc_lo, s28, v78
	v_add_co_ci_u32_e64 v79, null, s29, v79, vcc_lo
	global_store_dwordx2 v[80:81], v[36:37], off
	s_waitcnt vmcnt(0)
	global_store_dwordx4 v[78:79], v[74:77], off
	s_or_b32 exec_lo, exec_lo, s96
	s_and_saveexec_b32 s96, s64
	s_cbranch_execz .LBB311_57
.LBB311_114:                            ;   in Loop: Header=BB311_21 Depth=1
	v_add_co_u32 v74, vcc_lo, v72, v65
	v_add_co_ci_u32_e64 v75, null, 0, v73, vcc_lo
	v_add_co_u32 v76, vcc_lo, v70, v22
	v_add_co_ci_u32_e64 v77, null, v71, v23, vcc_lo
	;; [unrolled: 2-line block ×4, first 2 shown]
	v_add_co_u32 v78, vcc_lo, v52, v7
	v_cndmask_b32_e64 v74, v76, v74, s0
	v_cndmask_b32_e64 v75, v77, v75, s0
	v_add_co_ci_u32_e64 v79, null, 0, v53, vcc_lo
	global_load_dwordx4 v[74:77], v[74:75], off
	v_lshlrev_b64 v[80:81], 3, v[78:79]
	v_lshlrev_b64 v[78:79], 4, v[78:79]
	v_add_co_u32 v80, vcc_lo, s34, v80
	v_add_co_ci_u32_e64 v81, null, s35, v81, vcc_lo
	v_add_co_u32 v78, vcc_lo, s28, v78
	v_add_co_ci_u32_e64 v79, null, s29, v79, vcc_lo
	global_store_dwordx2 v[80:81], v[38:39], off offset:256
	s_waitcnt vmcnt(0)
	global_store_dwordx4 v[78:79], v[74:77], off offset:512
	s_or_b32 exec_lo, exec_lo, s96
	s_and_saveexec_b32 s96, s65
	s_cbranch_execz .LBB311_58
.LBB311_115:                            ;   in Loop: Header=BB311_21 Depth=1
	v_add_co_u32 v74, vcc_lo, v72, v65
	v_add_co_ci_u32_e64 v75, null, 0, v73, vcc_lo
	v_add_co_u32 v76, vcc_lo, v70, v24
	v_add_co_ci_u32_e64 v77, null, v71, v25, vcc_lo
	;; [unrolled: 2-line block ×4, first 2 shown]
	v_add_co_u32 v78, vcc_lo, v52, v7
	v_cndmask_b32_e64 v74, v76, v74, s0
	v_cndmask_b32_e64 v75, v77, v75, s0
	v_add_co_ci_u32_e64 v79, null, 0, v53, vcc_lo
	global_load_dwordx4 v[74:77], v[74:75], off
	v_lshlrev_b64 v[80:81], 3, v[78:79]
	v_lshlrev_b64 v[78:79], 4, v[78:79]
	v_add_co_u32 v80, vcc_lo, s34, v80
	v_add_co_ci_u32_e64 v81, null, s35, v81, vcc_lo
	v_add_co_u32 v78, vcc_lo, s28, v78
	v_add_co_ci_u32_e64 v79, null, s29, v79, vcc_lo
	global_store_dwordx2 v[80:81], v[40:41], off offset:512
	s_waitcnt vmcnt(0)
	global_store_dwordx4 v[78:79], v[74:77], off offset:1024
	s_or_b32 exec_lo, exec_lo, s96
	s_and_saveexec_b32 s96, s66
	s_cbranch_execz .LBB311_59
.LBB311_116:                            ;   in Loop: Header=BB311_21 Depth=1
	v_add_co_u32 v74, vcc_lo, v72, v65
	v_add_co_ci_u32_e64 v75, null, 0, v73, vcc_lo
	v_add_co_u32 v76, vcc_lo, v70, v26
	v_add_co_ci_u32_e64 v77, null, v71, v27, vcc_lo
	;; [unrolled: 2-line block ×4, first 2 shown]
	v_add_co_u32 v78, vcc_lo, v52, v7
	v_cndmask_b32_e64 v74, v76, v74, s0
	v_cndmask_b32_e64 v75, v77, v75, s0
	v_add_co_ci_u32_e64 v79, null, 0, v53, vcc_lo
	global_load_dwordx4 v[74:77], v[74:75], off
	v_lshlrev_b64 v[80:81], 3, v[78:79]
	v_lshlrev_b64 v[78:79], 4, v[78:79]
	v_add_co_u32 v80, vcc_lo, s34, v80
	v_add_co_ci_u32_e64 v81, null, s35, v81, vcc_lo
	v_add_co_u32 v78, vcc_lo, s28, v78
	v_add_co_ci_u32_e64 v79, null, s29, v79, vcc_lo
	global_store_dwordx2 v[80:81], v[42:43], off offset:768
	s_waitcnt vmcnt(0)
	global_store_dwordx4 v[78:79], v[74:77], off offset:1536
	s_or_b32 exec_lo, exec_lo, s96
	s_and_saveexec_b32 s96, s67
	s_cbranch_execz .LBB311_60
.LBB311_117:                            ;   in Loop: Header=BB311_21 Depth=1
	v_add_co_u32 v74, vcc_lo, v70, v28
	v_add_co_ci_u32_e64 v75, null, v71, v29, vcc_lo
	v_add_co_u32 v76, vcc_lo, v72, v66
	v_add_co_ci_u32_e64 v77, null, 0, v73, vcc_lo
	;; [unrolled: 2-line block ×3, first 2 shown]
	v_add_co_u32 v78, vcc_lo, v52, v7
	v_cndmask_b32_e64 v74, v74, v76, s0
	v_cndmask_b32_e64 v75, v75, v77, s0
	v_add_co_ci_u32_e64 v79, null, 0, v53, vcc_lo
	v_add_co_u32 v80, vcc_lo, v52, v12
	global_load_dwordx4 v[74:77], v[74:75], off
	v_add_co_ci_u32_e64 v81, null, 0, v53, vcc_lo
	v_lshlrev_b64 v[78:79], 3, v[78:79]
	v_lshlrev_b64 v[80:81], 4, v[80:81]
	v_add_co_u32 v78, vcc_lo, s34, v78
	v_add_co_ci_u32_e64 v79, null, s35, v79, vcc_lo
	v_add_co_u32 v80, vcc_lo, s28, v80
	v_add_co_ci_u32_e64 v81, null, s29, v81, vcc_lo
	global_store_dwordx2 v[78:79], v[44:45], off offset:1024
	s_waitcnt vmcnt(0)
	global_store_dwordx4 v[80:81], v[74:77], off
	s_or_b32 exec_lo, exec_lo, s96
	s_and_saveexec_b32 s96, s68
	s_cbranch_execz .LBB311_61
.LBB311_118:                            ;   in Loop: Header=BB311_21 Depth=1
	v_add_co_u32 v74, vcc_lo, v70, v30
	v_add_co_ci_u32_e64 v75, null, v71, v31, vcc_lo
	v_add_co_u32 v76, vcc_lo, v72, v67
	v_add_co_ci_u32_e64 v77, null, 0, v73, vcc_lo
	;; [unrolled: 2-line block ×3, first 2 shown]
	v_add_co_u32 v78, vcc_lo, v52, v7
	v_cndmask_b32_e64 v74, v74, v76, s0
	v_cndmask_b32_e64 v75, v75, v77, s0
	v_add_co_ci_u32_e64 v79, null, 0, v53, vcc_lo
	v_add_co_u32 v80, vcc_lo, v52, v13
	global_load_dwordx4 v[74:77], v[74:75], off
	v_add_co_ci_u32_e64 v81, null, 0, v53, vcc_lo
	v_lshlrev_b64 v[78:79], 3, v[78:79]
	v_lshlrev_b64 v[80:81], 4, v[80:81]
	v_add_co_u32 v78, vcc_lo, s34, v78
	v_add_co_ci_u32_e64 v79, null, s35, v79, vcc_lo
	v_add_co_u32 v80, vcc_lo, s28, v80
	v_add_co_ci_u32_e64 v81, null, s29, v81, vcc_lo
	global_store_dwordx2 v[78:79], v[46:47], off offset:1280
	s_waitcnt vmcnt(0)
	global_store_dwordx4 v[80:81], v[74:77], off
	s_or_b32 exec_lo, exec_lo, s96
	s_and_saveexec_b32 s96, s69
	s_cbranch_execz .LBB311_62
.LBB311_119:                            ;   in Loop: Header=BB311_21 Depth=1
	v_add_co_u32 v74, vcc_lo, v70, v32
	v_add_co_ci_u32_e64 v75, null, v71, v33, vcc_lo
	v_add_co_u32 v76, vcc_lo, v72, v68
	v_add_co_ci_u32_e64 v77, null, 0, v73, vcc_lo
	;; [unrolled: 2-line block ×3, first 2 shown]
	v_add_co_u32 v78, vcc_lo, v52, v7
	v_cndmask_b32_e64 v74, v74, v76, s0
	v_cndmask_b32_e64 v75, v75, v77, s0
	v_add_co_ci_u32_e64 v79, null, 0, v53, vcc_lo
	v_add_co_u32 v80, vcc_lo, v52, v14
	global_load_dwordx4 v[74:77], v[74:75], off
	v_add_co_ci_u32_e64 v81, null, 0, v53, vcc_lo
	v_lshlrev_b64 v[78:79], 3, v[78:79]
	v_lshlrev_b64 v[80:81], 4, v[80:81]
	v_add_co_u32 v78, vcc_lo, s34, v78
	v_add_co_ci_u32_e64 v79, null, s35, v79, vcc_lo
	v_add_co_u32 v80, vcc_lo, s28, v80
	v_add_co_ci_u32_e64 v81, null, s29, v81, vcc_lo
	global_store_dwordx2 v[78:79], v[48:49], off offset:1536
	s_waitcnt vmcnt(0)
	global_store_dwordx4 v[80:81], v[74:77], off
	s_or_b32 exec_lo, exec_lo, s96
	s_and_saveexec_b32 s96, s6
	s_cbranch_execnz .LBB311_63
	s_branch .LBB311_64
.LBB311_120:                            ;   in Loop: Header=BB311_21 Depth=1
	v_add_co_u32 v72, vcc_lo, v70, v65
	v_add_co_ci_u32_e64 v73, null, 0, v71, vcc_lo
	v_add_co_u32 v76, vcc_lo, v74, v20
	v_add_co_ci_u32_e64 v77, null, v75, v21, vcc_lo
	v_cndmask_b32_e64 v72, v76, v72, s0
	v_cndmask_b32_e64 v73, v77, v73, s0
	global_load_dwordx4 v[76:79], v[72:73], off
	v_add_co_u32 v72, vcc_lo, v52, v7
	v_add_co_ci_u32_e64 v73, null, 0, v53, vcc_lo
	v_lshlrev_b64 v[80:81], 3, v[72:73]
	v_lshlrev_b64 v[72:73], 4, v[72:73]
	v_add_co_u32 v80, vcc_lo, s34, v80
	v_add_co_ci_u32_e64 v81, null, s35, v81, vcc_lo
	v_add_co_u32 v72, vcc_lo, s28, v72
	v_add_co_ci_u32_e64 v73, null, s29, v73, vcc_lo
	global_store_dwordx2 v[80:81], v[36:37], off
	s_waitcnt vmcnt(0)
	global_store_dwordx4 v[72:73], v[76:79], off
	s_or_b32 exec_lo, exec_lo, s96
	s_and_saveexec_b32 s96, s71
	s_cbranch_execz .LBB311_66
.LBB311_121:                            ;   in Loop: Header=BB311_21 Depth=1
	v_add_co_u32 v72, vcc_lo, v70, v65
	v_add_co_ci_u32_e64 v73, null, 0, v71, vcc_lo
	v_add_co_u32 v72, vcc_lo, 0x200, v72
	v_add_co_ci_u32_e64 v73, null, 0, v73, vcc_lo
	;; [unrolled: 2-line block ×3, first 2 shown]
	v_cndmask_b32_e64 v72, v76, v72, s0
	v_cndmask_b32_e64 v73, v77, v73, s0
	global_load_dwordx4 v[76:79], v[72:73], off
	v_add_co_u32 v72, vcc_lo, v52, v7
	v_add_co_ci_u32_e64 v73, null, 0, v53, vcc_lo
	v_lshlrev_b64 v[80:81], 3, v[72:73]
	v_lshlrev_b64 v[72:73], 4, v[72:73]
	v_add_co_u32 v80, vcc_lo, s34, v80
	v_add_co_ci_u32_e64 v81, null, s35, v81, vcc_lo
	v_add_co_u32 v72, vcc_lo, s28, v72
	v_add_co_ci_u32_e64 v73, null, s29, v73, vcc_lo
	global_store_dwordx2 v[80:81], v[38:39], off offset:256
	s_waitcnt vmcnt(0)
	global_store_dwordx4 v[72:73], v[76:79], off offset:512
	s_or_b32 exec_lo, exec_lo, s96
	s_and_saveexec_b32 s96, s72
	s_cbranch_execz .LBB311_67
.LBB311_122:                            ;   in Loop: Header=BB311_21 Depth=1
	v_add_co_u32 v72, vcc_lo, v70, v65
	v_add_co_ci_u32_e64 v73, null, 0, v71, vcc_lo
	v_add_co_u32 v72, vcc_lo, 0x400, v72
	v_add_co_ci_u32_e64 v73, null, 0, v73, vcc_lo
	;; [unrolled: 2-line block ×3, first 2 shown]
	v_cndmask_b32_e64 v72, v76, v72, s0
	v_cndmask_b32_e64 v73, v77, v73, s0
	global_load_dwordx4 v[76:79], v[72:73], off
	v_add_co_u32 v72, vcc_lo, v52, v7
	v_add_co_ci_u32_e64 v73, null, 0, v53, vcc_lo
	v_lshlrev_b64 v[80:81], 3, v[72:73]
	v_lshlrev_b64 v[72:73], 4, v[72:73]
	v_add_co_u32 v80, vcc_lo, s34, v80
	v_add_co_ci_u32_e64 v81, null, s35, v81, vcc_lo
	v_add_co_u32 v72, vcc_lo, s28, v72
	v_add_co_ci_u32_e64 v73, null, s29, v73, vcc_lo
	global_store_dwordx2 v[80:81], v[40:41], off offset:512
	s_waitcnt vmcnt(0)
	global_store_dwordx4 v[72:73], v[76:79], off offset:1024
	s_or_b32 exec_lo, exec_lo, s96
	s_and_saveexec_b32 s96, s73
	s_cbranch_execz .LBB311_68
.LBB311_123:                            ;   in Loop: Header=BB311_21 Depth=1
	v_add_co_u32 v72, vcc_lo, v70, v65
	v_add_co_ci_u32_e64 v73, null, 0, v71, vcc_lo
	v_add_co_u32 v72, vcc_lo, 0x600, v72
	v_add_co_ci_u32_e64 v73, null, 0, v73, vcc_lo
	;; [unrolled: 2-line block ×3, first 2 shown]
	v_cndmask_b32_e64 v72, v76, v72, s0
	v_cndmask_b32_e64 v73, v77, v73, s0
	global_load_dwordx4 v[76:79], v[72:73], off
	v_add_co_u32 v72, vcc_lo, v52, v7
	v_add_co_ci_u32_e64 v73, null, 0, v53, vcc_lo
	v_lshlrev_b64 v[80:81], 3, v[72:73]
	v_lshlrev_b64 v[72:73], 4, v[72:73]
	v_add_co_u32 v80, vcc_lo, s34, v80
	v_add_co_ci_u32_e64 v81, null, s35, v81, vcc_lo
	v_add_co_u32 v72, vcc_lo, s28, v72
	v_add_co_ci_u32_e64 v73, null, s29, v73, vcc_lo
	global_store_dwordx2 v[80:81], v[42:43], off offset:768
	s_waitcnt vmcnt(0)
	global_store_dwordx4 v[72:73], v[76:79], off offset:1536
	s_or_b32 exec_lo, exec_lo, s96
	s_and_saveexec_b32 s96, s74
	s_cbranch_execz .LBB311_69
.LBB311_124:                            ;   in Loop: Header=BB311_21 Depth=1
	v_add_co_u32 v72, vcc_lo, v70, v66
	v_add_co_ci_u32_e64 v73, null, 0, v71, vcc_lo
	v_add_co_u32 v76, vcc_lo, v74, v28
	v_add_co_ci_u32_e64 v77, null, v75, v29, vcc_lo
	v_cndmask_b32_e64 v72, v76, v72, s0
	v_cndmask_b32_e64 v73, v77, v73, s0
	global_load_dwordx4 v[76:79], v[72:73], off
	v_add_co_u32 v72, vcc_lo, v52, v7
	v_add_co_ci_u32_e64 v73, null, 0, v53, vcc_lo
	v_add_co_u32 v80, vcc_lo, v52, v12
	v_add_co_ci_u32_e64 v81, null, 0, v53, vcc_lo
	v_lshlrev_b64 v[72:73], 3, v[72:73]
	v_lshlrev_b64 v[80:81], 4, v[80:81]
	v_add_co_u32 v72, vcc_lo, s34, v72
	v_add_co_ci_u32_e64 v73, null, s35, v73, vcc_lo
	v_add_co_u32 v80, vcc_lo, s28, v80
	v_add_co_ci_u32_e64 v81, null, s29, v81, vcc_lo
	global_store_dwordx2 v[72:73], v[44:45], off offset:1024
	s_waitcnt vmcnt(0)
	global_store_dwordx4 v[80:81], v[76:79], off
	s_or_b32 exec_lo, exec_lo, s96
	s_and_saveexec_b32 s96, s75
	s_cbranch_execz .LBB311_70
.LBB311_125:                            ;   in Loop: Header=BB311_21 Depth=1
	v_add_co_u32 v72, vcc_lo, v70, v67
	v_add_co_ci_u32_e64 v73, null, 0, v71, vcc_lo
	v_add_co_u32 v76, vcc_lo, v74, v30
	v_add_co_ci_u32_e64 v77, null, v75, v31, vcc_lo
	v_cndmask_b32_e64 v72, v76, v72, s0
	v_cndmask_b32_e64 v73, v77, v73, s0
	global_load_dwordx4 v[76:79], v[72:73], off
	v_add_co_u32 v72, vcc_lo, v52, v7
	v_add_co_ci_u32_e64 v73, null, 0, v53, vcc_lo
	v_add_co_u32 v80, vcc_lo, v52, v13
	v_add_co_ci_u32_e64 v81, null, 0, v53, vcc_lo
	v_lshlrev_b64 v[72:73], 3, v[72:73]
	v_lshlrev_b64 v[80:81], 4, v[80:81]
	v_add_co_u32 v72, vcc_lo, s34, v72
	v_add_co_ci_u32_e64 v73, null, s35, v73, vcc_lo
	v_add_co_u32 v80, vcc_lo, s28, v80
	v_add_co_ci_u32_e64 v81, null, s29, v81, vcc_lo
	global_store_dwordx2 v[72:73], v[46:47], off offset:1280
	s_waitcnt vmcnt(0)
	global_store_dwordx4 v[80:81], v[76:79], off
	s_or_b32 exec_lo, exec_lo, s96
	s_and_saveexec_b32 s96, s76
	s_cbranch_execz .LBB311_71
.LBB311_126:                            ;   in Loop: Header=BB311_21 Depth=1
	v_add_co_u32 v72, vcc_lo, v70, v68
	v_add_co_ci_u32_e64 v73, null, 0, v71, vcc_lo
	v_add_co_u32 v76, vcc_lo, v74, v32
	v_add_co_ci_u32_e64 v77, null, v75, v33, vcc_lo
	v_cndmask_b32_e64 v72, v76, v72, s0
	v_cndmask_b32_e64 v73, v77, v73, s0
	global_load_dwordx4 v[76:79], v[72:73], off
	v_add_co_u32 v72, vcc_lo, v52, v7
	v_add_co_ci_u32_e64 v73, null, 0, v53, vcc_lo
	v_add_co_u32 v80, vcc_lo, v52, v14
	v_add_co_ci_u32_e64 v81, null, 0, v53, vcc_lo
	v_lshlrev_b64 v[72:73], 3, v[72:73]
	v_lshlrev_b64 v[80:81], 4, v[80:81]
	v_add_co_u32 v72, vcc_lo, s34, v72
	v_add_co_ci_u32_e64 v73, null, s35, v73, vcc_lo
	v_add_co_u32 v80, vcc_lo, s28, v80
	v_add_co_ci_u32_e64 v81, null, s29, v81, vcc_lo
	global_store_dwordx2 v[72:73], v[48:49], off offset:1536
	s_waitcnt vmcnt(0)
	global_store_dwordx4 v[80:81], v[76:79], off
	s_or_b32 exec_lo, exec_lo, s96
	s_and_saveexec_b32 s96, s7
	s_cbranch_execnz .LBB311_72
	s_branch .LBB311_73
.LBB311_127:                            ;   in Loop: Header=BB311_21 Depth=1
	v_add_co_u32 v74, vcc_lo, v70, v65
	v_add_co_ci_u32_e64 v75, null, 0, v71, vcc_lo
	v_add_co_u32 v76, vcc_lo, v72, v20
	v_add_co_ci_u32_e64 v77, null, v73, v21, vcc_lo
	v_add_co_u32 v78, vcc_lo, v52, v7
	v_cndmask_b32_e64 v74, v76, v74, s0
	v_cndmask_b32_e64 v75, v77, v75, s0
	v_add_co_ci_u32_e64 v79, null, 0, v53, vcc_lo
	global_load_dwordx4 v[74:77], v[74:75], off
	v_lshlrev_b64 v[80:81], 3, v[78:79]
	v_lshlrev_b64 v[78:79], 4, v[78:79]
	v_add_co_u32 v80, vcc_lo, s34, v80
	v_add_co_ci_u32_e64 v81, null, s35, v81, vcc_lo
	v_add_co_u32 v78, vcc_lo, s28, v78
	v_add_co_ci_u32_e64 v79, null, s29, v79, vcc_lo
	global_store_dwordx2 v[80:81], v[36:37], off
	s_waitcnt vmcnt(0)
	global_store_dwordx4 v[78:79], v[74:77], off
	s_or_b32 exec_lo, exec_lo, s96
	s_and_saveexec_b32 s96, s78
	s_cbranch_execz .LBB311_75
.LBB311_128:                            ;   in Loop: Header=BB311_21 Depth=1
	v_add_co_u32 v74, vcc_lo, v70, v65
	v_add_co_ci_u32_e64 v75, null, 0, v71, vcc_lo
	v_add_co_u32 v74, vcc_lo, 0x200, v74
	v_add_co_ci_u32_e64 v75, null, 0, v75, vcc_lo
	;; [unrolled: 2-line block ×3, first 2 shown]
	v_add_co_u32 v78, vcc_lo, v52, v7
	v_cndmask_b32_e64 v74, v76, v74, s0
	v_cndmask_b32_e64 v75, v77, v75, s0
	v_add_co_ci_u32_e64 v79, null, 0, v53, vcc_lo
	global_load_dwordx4 v[74:77], v[74:75], off
	v_lshlrev_b64 v[80:81], 3, v[78:79]
	v_lshlrev_b64 v[78:79], 4, v[78:79]
	v_add_co_u32 v80, vcc_lo, s34, v80
	v_add_co_ci_u32_e64 v81, null, s35, v81, vcc_lo
	v_add_co_u32 v78, vcc_lo, s28, v78
	v_add_co_ci_u32_e64 v79, null, s29, v79, vcc_lo
	global_store_dwordx2 v[80:81], v[38:39], off offset:256
	s_waitcnt vmcnt(0)
	global_store_dwordx4 v[78:79], v[74:77], off offset:512
	s_or_b32 exec_lo, exec_lo, s96
	s_and_saveexec_b32 s96, s79
	s_cbranch_execz .LBB311_76
.LBB311_129:                            ;   in Loop: Header=BB311_21 Depth=1
	v_add_co_u32 v74, vcc_lo, v70, v65
	v_add_co_ci_u32_e64 v75, null, 0, v71, vcc_lo
	v_add_co_u32 v74, vcc_lo, 0x400, v74
	v_add_co_ci_u32_e64 v75, null, 0, v75, vcc_lo
	;; [unrolled: 2-line block ×3, first 2 shown]
	v_add_co_u32 v78, vcc_lo, v52, v7
	v_cndmask_b32_e64 v74, v76, v74, s0
	v_cndmask_b32_e64 v75, v77, v75, s0
	v_add_co_ci_u32_e64 v79, null, 0, v53, vcc_lo
	global_load_dwordx4 v[74:77], v[74:75], off
	v_lshlrev_b64 v[80:81], 3, v[78:79]
	v_lshlrev_b64 v[78:79], 4, v[78:79]
	v_add_co_u32 v80, vcc_lo, s34, v80
	v_add_co_ci_u32_e64 v81, null, s35, v81, vcc_lo
	v_add_co_u32 v78, vcc_lo, s28, v78
	v_add_co_ci_u32_e64 v79, null, s29, v79, vcc_lo
	global_store_dwordx2 v[80:81], v[40:41], off offset:512
	s_waitcnt vmcnt(0)
	global_store_dwordx4 v[78:79], v[74:77], off offset:1024
	s_or_b32 exec_lo, exec_lo, s96
	s_and_saveexec_b32 s96, s80
	s_cbranch_execz .LBB311_77
.LBB311_130:                            ;   in Loop: Header=BB311_21 Depth=1
	v_add_co_u32 v74, vcc_lo, v70, v65
	v_add_co_ci_u32_e64 v75, null, 0, v71, vcc_lo
	v_add_co_u32 v74, vcc_lo, 0x600, v74
	v_add_co_ci_u32_e64 v75, null, 0, v75, vcc_lo
	;; [unrolled: 2-line block ×3, first 2 shown]
	v_add_co_u32 v78, vcc_lo, v52, v7
	v_cndmask_b32_e64 v74, v76, v74, s0
	v_cndmask_b32_e64 v75, v77, v75, s0
	v_add_co_ci_u32_e64 v79, null, 0, v53, vcc_lo
	global_load_dwordx4 v[74:77], v[74:75], off
	v_lshlrev_b64 v[80:81], 3, v[78:79]
	v_lshlrev_b64 v[78:79], 4, v[78:79]
	v_add_co_u32 v80, vcc_lo, s34, v80
	v_add_co_ci_u32_e64 v81, null, s35, v81, vcc_lo
	v_add_co_u32 v78, vcc_lo, s28, v78
	v_add_co_ci_u32_e64 v79, null, s29, v79, vcc_lo
	global_store_dwordx2 v[80:81], v[42:43], off offset:768
	s_waitcnt vmcnt(0)
	global_store_dwordx4 v[78:79], v[74:77], off offset:1536
	s_or_b32 exec_lo, exec_lo, s96
	s_and_saveexec_b32 s96, s81
	s_cbranch_execz .LBB311_78
.LBB311_131:                            ;   in Loop: Header=BB311_21 Depth=1
	v_add_co_u32 v74, vcc_lo, v70, v66
	v_add_co_ci_u32_e64 v75, null, 0, v71, vcc_lo
	v_add_co_u32 v76, vcc_lo, v72, v28
	v_add_co_ci_u32_e64 v77, null, v73, v29, vcc_lo
	v_add_co_u32 v78, vcc_lo, v52, v7
	v_cndmask_b32_e64 v74, v76, v74, s0
	v_cndmask_b32_e64 v75, v77, v75, s0
	v_add_co_ci_u32_e64 v79, null, 0, v53, vcc_lo
	v_add_co_u32 v80, vcc_lo, v52, v12
	global_load_dwordx4 v[74:77], v[74:75], off
	v_add_co_ci_u32_e64 v81, null, 0, v53, vcc_lo
	v_lshlrev_b64 v[78:79], 3, v[78:79]
	v_lshlrev_b64 v[80:81], 4, v[80:81]
	v_add_co_u32 v78, vcc_lo, s34, v78
	v_add_co_ci_u32_e64 v79, null, s35, v79, vcc_lo
	v_add_co_u32 v80, vcc_lo, s28, v80
	v_add_co_ci_u32_e64 v81, null, s29, v81, vcc_lo
	global_store_dwordx2 v[78:79], v[44:45], off offset:1024
	s_waitcnt vmcnt(0)
	global_store_dwordx4 v[80:81], v[74:77], off
	s_or_b32 exec_lo, exec_lo, s96
	s_and_saveexec_b32 s96, s82
	s_cbranch_execz .LBB311_79
.LBB311_132:                            ;   in Loop: Header=BB311_21 Depth=1
	v_add_co_u32 v74, vcc_lo, v70, v67
	v_add_co_ci_u32_e64 v75, null, 0, v71, vcc_lo
	v_add_co_u32 v76, vcc_lo, v72, v30
	v_add_co_ci_u32_e64 v77, null, v73, v31, vcc_lo
	v_add_co_u32 v78, vcc_lo, v52, v7
	v_cndmask_b32_e64 v74, v76, v74, s0
	v_cndmask_b32_e64 v75, v77, v75, s0
	v_add_co_ci_u32_e64 v79, null, 0, v53, vcc_lo
	v_add_co_u32 v80, vcc_lo, v52, v13
	global_load_dwordx4 v[74:77], v[74:75], off
	v_add_co_ci_u32_e64 v81, null, 0, v53, vcc_lo
	v_lshlrev_b64 v[78:79], 3, v[78:79]
	v_lshlrev_b64 v[80:81], 4, v[80:81]
	v_add_co_u32 v78, vcc_lo, s34, v78
	v_add_co_ci_u32_e64 v79, null, s35, v79, vcc_lo
	v_add_co_u32 v80, vcc_lo, s28, v80
	v_add_co_ci_u32_e64 v81, null, s29, v81, vcc_lo
	global_store_dwordx2 v[78:79], v[46:47], off offset:1280
	s_waitcnt vmcnt(0)
	global_store_dwordx4 v[80:81], v[74:77], off
	s_or_b32 exec_lo, exec_lo, s96
	s_and_saveexec_b32 s96, s83
	s_cbranch_execz .LBB311_80
.LBB311_133:                            ;   in Loop: Header=BB311_21 Depth=1
	v_add_co_u32 v74, vcc_lo, v70, v68
	v_add_co_ci_u32_e64 v75, null, 0, v71, vcc_lo
	v_add_co_u32 v76, vcc_lo, v72, v32
	v_add_co_ci_u32_e64 v77, null, v73, v33, vcc_lo
	v_add_co_u32 v78, vcc_lo, v52, v7
	v_cndmask_b32_e64 v74, v76, v74, s0
	v_cndmask_b32_e64 v75, v77, v75, s0
	v_add_co_ci_u32_e64 v79, null, 0, v53, vcc_lo
	v_add_co_u32 v80, vcc_lo, v52, v14
	global_load_dwordx4 v[74:77], v[74:75], off
	v_add_co_ci_u32_e64 v81, null, 0, v53, vcc_lo
	v_lshlrev_b64 v[78:79], 3, v[78:79]
	v_lshlrev_b64 v[80:81], 4, v[80:81]
	v_add_co_u32 v78, vcc_lo, s34, v78
	v_add_co_ci_u32_e64 v79, null, s35, v79, vcc_lo
	v_add_co_u32 v80, vcc_lo, s28, v80
	v_add_co_ci_u32_e64 v81, null, s29, v81, vcc_lo
	global_store_dwordx2 v[78:79], v[48:49], off offset:1536
	s_waitcnt vmcnt(0)
	global_store_dwordx4 v[80:81], v[74:77], off
	s_or_b32 exec_lo, exec_lo, s96
	s_and_saveexec_b32 s96, s8
	s_cbranch_execnz .LBB311_81
	s_branch .LBB311_82
.LBB311_134:                            ;   in Loop: Header=BB311_21 Depth=1
	v_add_co_u32 v74, vcc_lo, v70, v65
	v_add_co_ci_u32_e64 v75, null, 0, v71, vcc_lo
	v_add_co_u32 v76, vcc_lo, v72, v20
	v_add_co_ci_u32_e64 v77, null, v73, v21, vcc_lo
	v_add_co_u32 v78, vcc_lo, v52, v7
	v_cndmask_b32_e64 v74, v76, v74, s0
	v_cndmask_b32_e64 v75, v77, v75, s0
	v_add_co_ci_u32_e64 v79, null, 0, v53, vcc_lo
	global_load_dwordx4 v[74:77], v[74:75], off
	v_lshlrev_b64 v[80:81], 3, v[78:79]
	v_lshlrev_b64 v[78:79], 4, v[78:79]
	v_add_co_u32 v80, vcc_lo, s34, v80
	v_add_co_ci_u32_e64 v81, null, s35, v81, vcc_lo
	v_add_co_u32 v78, vcc_lo, s28, v78
	v_add_co_ci_u32_e64 v79, null, s29, v79, vcc_lo
	global_store_dwordx2 v[80:81], v[36:37], off
	s_waitcnt vmcnt(0)
	global_store_dwordx4 v[78:79], v[74:77], off
	s_or_b32 exec_lo, exec_lo, s96
	s_and_saveexec_b32 s96, s85
	s_cbranch_execz .LBB311_84
.LBB311_135:                            ;   in Loop: Header=BB311_21 Depth=1
	v_add_co_u32 v74, vcc_lo, v70, v65
	v_add_co_ci_u32_e64 v75, null, 0, v71, vcc_lo
	v_add_co_u32 v74, vcc_lo, 0x200, v74
	v_add_co_ci_u32_e64 v75, null, 0, v75, vcc_lo
	;; [unrolled: 2-line block ×3, first 2 shown]
	v_add_co_u32 v78, vcc_lo, v52, v7
	v_cndmask_b32_e64 v74, v76, v74, s0
	v_cndmask_b32_e64 v75, v77, v75, s0
	v_add_co_ci_u32_e64 v79, null, 0, v53, vcc_lo
	global_load_dwordx4 v[74:77], v[74:75], off
	v_lshlrev_b64 v[80:81], 3, v[78:79]
	v_lshlrev_b64 v[78:79], 4, v[78:79]
	v_add_co_u32 v80, vcc_lo, s34, v80
	v_add_co_ci_u32_e64 v81, null, s35, v81, vcc_lo
	v_add_co_u32 v78, vcc_lo, s28, v78
	v_add_co_ci_u32_e64 v79, null, s29, v79, vcc_lo
	global_store_dwordx2 v[80:81], v[38:39], off offset:256
	s_waitcnt vmcnt(0)
	global_store_dwordx4 v[78:79], v[74:77], off offset:512
	s_or_b32 exec_lo, exec_lo, s96
	s_and_saveexec_b32 s96, s86
	s_cbranch_execz .LBB311_85
.LBB311_136:                            ;   in Loop: Header=BB311_21 Depth=1
	v_add_co_u32 v74, vcc_lo, v70, v65
	v_add_co_ci_u32_e64 v75, null, 0, v71, vcc_lo
	v_add_co_u32 v74, vcc_lo, 0x400, v74
	v_add_co_ci_u32_e64 v75, null, 0, v75, vcc_lo
	;; [unrolled: 2-line block ×3, first 2 shown]
	v_add_co_u32 v78, vcc_lo, v52, v7
	v_cndmask_b32_e64 v74, v76, v74, s0
	v_cndmask_b32_e64 v75, v77, v75, s0
	v_add_co_ci_u32_e64 v79, null, 0, v53, vcc_lo
	global_load_dwordx4 v[74:77], v[74:75], off
	v_lshlrev_b64 v[80:81], 3, v[78:79]
	v_lshlrev_b64 v[78:79], 4, v[78:79]
	v_add_co_u32 v80, vcc_lo, s34, v80
	v_add_co_ci_u32_e64 v81, null, s35, v81, vcc_lo
	v_add_co_u32 v78, vcc_lo, s28, v78
	v_add_co_ci_u32_e64 v79, null, s29, v79, vcc_lo
	global_store_dwordx2 v[80:81], v[40:41], off offset:512
	s_waitcnt vmcnt(0)
	global_store_dwordx4 v[78:79], v[74:77], off offset:1024
	s_or_b32 exec_lo, exec_lo, s96
	s_and_saveexec_b32 s96, s87
	s_cbranch_execz .LBB311_86
.LBB311_137:                            ;   in Loop: Header=BB311_21 Depth=1
	v_add_co_u32 v74, vcc_lo, v70, v65
	v_add_co_ci_u32_e64 v75, null, 0, v71, vcc_lo
	v_add_co_u32 v74, vcc_lo, 0x600, v74
	v_add_co_ci_u32_e64 v75, null, 0, v75, vcc_lo
	;; [unrolled: 2-line block ×3, first 2 shown]
	v_add_co_u32 v78, vcc_lo, v52, v7
	v_cndmask_b32_e64 v74, v76, v74, s0
	v_cndmask_b32_e64 v75, v77, v75, s0
	v_add_co_ci_u32_e64 v79, null, 0, v53, vcc_lo
	global_load_dwordx4 v[74:77], v[74:75], off
	v_lshlrev_b64 v[80:81], 3, v[78:79]
	v_lshlrev_b64 v[78:79], 4, v[78:79]
	v_add_co_u32 v80, vcc_lo, s34, v80
	v_add_co_ci_u32_e64 v81, null, s35, v81, vcc_lo
	v_add_co_u32 v78, vcc_lo, s28, v78
	v_add_co_ci_u32_e64 v79, null, s29, v79, vcc_lo
	global_store_dwordx2 v[80:81], v[42:43], off offset:768
	s_waitcnt vmcnt(0)
	global_store_dwordx4 v[78:79], v[74:77], off offset:1536
	s_or_b32 exec_lo, exec_lo, s96
	s_and_saveexec_b32 s96, s88
	s_cbranch_execz .LBB311_87
.LBB311_138:                            ;   in Loop: Header=BB311_21 Depth=1
	v_add_co_u32 v74, vcc_lo, v70, v66
	v_add_co_ci_u32_e64 v75, null, 0, v71, vcc_lo
	v_add_co_u32 v76, vcc_lo, v72, v28
	v_add_co_ci_u32_e64 v77, null, v73, v29, vcc_lo
	v_add_co_u32 v78, vcc_lo, v52, v7
	v_cndmask_b32_e64 v74, v76, v74, s0
	v_cndmask_b32_e64 v75, v77, v75, s0
	v_add_co_ci_u32_e64 v79, null, 0, v53, vcc_lo
	v_add_co_u32 v80, vcc_lo, v52, v12
	global_load_dwordx4 v[74:77], v[74:75], off
	v_add_co_ci_u32_e64 v81, null, 0, v53, vcc_lo
	v_lshlrev_b64 v[78:79], 3, v[78:79]
	v_lshlrev_b64 v[80:81], 4, v[80:81]
	v_add_co_u32 v78, vcc_lo, s34, v78
	v_add_co_ci_u32_e64 v79, null, s35, v79, vcc_lo
	v_add_co_u32 v80, vcc_lo, s28, v80
	v_add_co_ci_u32_e64 v81, null, s29, v81, vcc_lo
	global_store_dwordx2 v[78:79], v[44:45], off offset:1024
	s_waitcnt vmcnt(0)
	global_store_dwordx4 v[80:81], v[74:77], off
	s_or_b32 exec_lo, exec_lo, s96
	s_and_saveexec_b32 s96, s89
	s_cbranch_execz .LBB311_88
.LBB311_139:                            ;   in Loop: Header=BB311_21 Depth=1
	v_add_co_u32 v74, vcc_lo, v70, v67
	v_add_co_ci_u32_e64 v75, null, 0, v71, vcc_lo
	v_add_co_u32 v76, vcc_lo, v72, v30
	v_add_co_ci_u32_e64 v77, null, v73, v31, vcc_lo
	v_add_co_u32 v78, vcc_lo, v52, v7
	v_cndmask_b32_e64 v74, v76, v74, s0
	v_cndmask_b32_e64 v75, v77, v75, s0
	v_add_co_ci_u32_e64 v79, null, 0, v53, vcc_lo
	v_add_co_u32 v80, vcc_lo, v52, v13
	global_load_dwordx4 v[74:77], v[74:75], off
	v_add_co_ci_u32_e64 v81, null, 0, v53, vcc_lo
	v_lshlrev_b64 v[78:79], 3, v[78:79]
	v_lshlrev_b64 v[80:81], 4, v[80:81]
	v_add_co_u32 v78, vcc_lo, s34, v78
	v_add_co_ci_u32_e64 v79, null, s35, v79, vcc_lo
	v_add_co_u32 v80, vcc_lo, s28, v80
	v_add_co_ci_u32_e64 v81, null, s29, v81, vcc_lo
	global_store_dwordx2 v[78:79], v[46:47], off offset:1280
	s_waitcnt vmcnt(0)
	global_store_dwordx4 v[80:81], v[74:77], off
	s_or_b32 exec_lo, exec_lo, s96
	s_and_saveexec_b32 s96, s90
	s_cbranch_execz .LBB311_89
.LBB311_140:                            ;   in Loop: Header=BB311_21 Depth=1
	v_add_co_u32 v74, vcc_lo, v70, v68
	v_add_co_ci_u32_e64 v75, null, 0, v71, vcc_lo
	v_add_co_u32 v76, vcc_lo, v72, v32
	v_add_co_ci_u32_e64 v77, null, v73, v33, vcc_lo
	v_add_co_u32 v78, vcc_lo, v52, v7
	v_cndmask_b32_e64 v74, v76, v74, s0
	v_cndmask_b32_e64 v75, v77, v75, s0
	v_add_co_ci_u32_e64 v79, null, 0, v53, vcc_lo
	v_add_co_u32 v80, vcc_lo, v52, v14
	global_load_dwordx4 v[74:77], v[74:75], off
	v_add_co_ci_u32_e64 v81, null, 0, v53, vcc_lo
	v_lshlrev_b64 v[78:79], 3, v[78:79]
	v_lshlrev_b64 v[80:81], 4, v[80:81]
	v_add_co_u32 v78, vcc_lo, s34, v78
	v_add_co_ci_u32_e64 v79, null, s35, v79, vcc_lo
	v_add_co_u32 v80, vcc_lo, s28, v80
	v_add_co_ci_u32_e64 v81, null, s29, v81, vcc_lo
	global_store_dwordx2 v[78:79], v[48:49], off offset:1536
	s_waitcnt vmcnt(0)
	global_store_dwordx4 v[80:81], v[74:77], off
	s_or_b32 exec_lo, exec_lo, s96
	s_and_saveexec_b32 s96, s10
	s_cbranch_execnz .LBB311_90
	s_branch .LBB311_91
.LBB311_141:                            ;   in Loop: Header=BB311_21 Depth=1
	v_add_co_u32 v74, vcc_lo, v70, v65
	v_add_co_ci_u32_e64 v75, null, 0, v71, vcc_lo
	v_add_co_u32 v76, vcc_lo, v72, v20
	v_add_co_ci_u32_e64 v77, null, v73, v21, vcc_lo
	v_add_co_u32 v78, vcc_lo, v52, v7
	v_cndmask_b32_e64 v74, v76, v74, s0
	v_cndmask_b32_e64 v75, v77, v75, s0
	v_add_co_ci_u32_e64 v79, null, 0, v53, vcc_lo
	global_load_dwordx4 v[74:77], v[74:75], off
	v_lshlrev_b64 v[80:81], 3, v[78:79]
	v_lshlrev_b64 v[78:79], 4, v[78:79]
	v_add_co_u32 v80, vcc_lo, s34, v80
	v_add_co_ci_u32_e64 v81, null, s35, v81, vcc_lo
	v_add_co_u32 v78, vcc_lo, s28, v78
	v_add_co_ci_u32_e64 v79, null, s29, v79, vcc_lo
	global_store_dwordx2 v[80:81], v[36:37], off
	s_waitcnt vmcnt(0)
	global_store_dwordx4 v[78:79], v[74:77], off
	s_or_b32 exec_lo, exec_lo, s4
	s_and_saveexec_b32 s4, s91
	s_cbranch_execz .LBB311_93
.LBB311_142:                            ;   in Loop: Header=BB311_21 Depth=1
	v_add_co_u32 v36, vcc_lo, v70, v65
	v_add_co_ci_u32_e64 v37, null, 0, v71, vcc_lo
	v_add_co_u32 v36, vcc_lo, 0x200, v36
	v_add_co_ci_u32_e64 v37, null, 0, v37, vcc_lo
	;; [unrolled: 2-line block ×3, first 2 shown]
	v_cndmask_b32_e64 v36, v74, v36, s0
	v_cndmask_b32_e64 v37, v75, v37, s0
	global_load_dwordx4 v[74:77], v[36:37], off
	v_add_co_u32 v36, vcc_lo, v52, v7
	v_add_co_ci_u32_e64 v37, null, 0, v53, vcc_lo
	v_lshlrev_b64 v[78:79], 3, v[36:37]
	v_lshlrev_b64 v[36:37], 4, v[36:37]
	v_add_co_u32 v78, vcc_lo, s34, v78
	v_add_co_ci_u32_e64 v79, null, s35, v79, vcc_lo
	v_add_co_u32 v36, vcc_lo, s28, v36
	v_add_co_ci_u32_e64 v37, null, s29, v37, vcc_lo
	global_store_dwordx2 v[78:79], v[38:39], off offset:256
	s_waitcnt vmcnt(0)
	global_store_dwordx4 v[36:37], v[74:77], off offset:512
	s_or_b32 exec_lo, exec_lo, s4
	s_and_saveexec_b32 s4, s92
	s_cbranch_execz .LBB311_94
.LBB311_143:                            ;   in Loop: Header=BB311_21 Depth=1
	v_add_co_u32 v36, vcc_lo, v70, v65
	v_add_co_ci_u32_e64 v37, null, 0, v71, vcc_lo
	v_add_co_u32 v36, vcc_lo, 0x400, v36
	v_add_co_ci_u32_e64 v37, null, 0, v37, vcc_lo
	;; [unrolled: 2-line block ×3, first 2 shown]
	v_add_co_u32 v74, vcc_lo, v52, v7
	v_cndmask_b32_e64 v36, v38, v36, s0
	v_cndmask_b32_e64 v37, v39, v37, s0
	v_add_co_ci_u32_e64 v75, null, 0, v53, vcc_lo
	global_load_dwordx4 v[36:39], v[36:37], off
	v_lshlrev_b64 v[76:77], 3, v[74:75]
	v_lshlrev_b64 v[74:75], 4, v[74:75]
	v_add_co_u32 v76, vcc_lo, s34, v76
	v_add_co_ci_u32_e64 v77, null, s35, v77, vcc_lo
	v_add_co_u32 v74, vcc_lo, s28, v74
	v_add_co_ci_u32_e64 v75, null, s29, v75, vcc_lo
	global_store_dwordx2 v[76:77], v[40:41], off offset:512
	s_waitcnt vmcnt(0)
	global_store_dwordx4 v[74:75], v[36:39], off offset:1024
	s_or_b32 exec_lo, exec_lo, s4
	s_and_saveexec_b32 s4, s11
	s_cbranch_execz .LBB311_95
.LBB311_144:                            ;   in Loop: Header=BB311_21 Depth=1
	v_add_co_u32 v36, vcc_lo, v70, v65
	v_add_co_ci_u32_e64 v37, null, 0, v71, vcc_lo
	v_add_co_u32 v36, vcc_lo, 0x600, v36
	v_add_co_ci_u32_e64 v37, null, 0, v37, vcc_lo
	;; [unrolled: 2-line block ×3, first 2 shown]
	v_add_co_u32 v40, vcc_lo, v52, v7
	v_cndmask_b32_e64 v36, v38, v36, s0
	v_cndmask_b32_e64 v37, v39, v37, s0
	v_add_co_ci_u32_e64 v41, null, 0, v53, vcc_lo
	global_load_dwordx4 v[36:39], v[36:37], off
	v_lshlrev_b64 v[74:75], 3, v[40:41]
	v_lshlrev_b64 v[40:41], 4, v[40:41]
	v_add_co_u32 v74, vcc_lo, s34, v74
	v_add_co_ci_u32_e64 v75, null, s35, v75, vcc_lo
	v_add_co_u32 v40, vcc_lo, s28, v40
	v_add_co_ci_u32_e64 v41, null, s29, v41, vcc_lo
	global_store_dwordx2 v[74:75], v[42:43], off offset:768
	s_waitcnt vmcnt(0)
	global_store_dwordx4 v[40:41], v[36:39], off offset:1536
	s_or_b32 exec_lo, exec_lo, s4
	s_and_saveexec_b32 s4, s12
	s_cbranch_execz .LBB311_96
.LBB311_145:                            ;   in Loop: Header=BB311_21 Depth=1
	v_add_co_u32 v36, vcc_lo, v70, v66
	v_add_co_ci_u32_e64 v37, null, 0, v71, vcc_lo
	v_add_co_u32 v38, vcc_lo, v72, v28
	v_add_co_ci_u32_e64 v39, null, v73, v29, vcc_lo
	v_add_co_u32 v40, vcc_lo, v52, v7
	v_cndmask_b32_e64 v36, v38, v36, s0
	v_cndmask_b32_e64 v37, v39, v37, s0
	v_add_co_ci_u32_e64 v41, null, 0, v53, vcc_lo
	v_add_co_u32 v42, vcc_lo, v52, v12
	global_load_dwordx4 v[36:39], v[36:37], off
	v_add_co_ci_u32_e64 v43, null, 0, v53, vcc_lo
	v_lshlrev_b64 v[40:41], 3, v[40:41]
	v_lshlrev_b64 v[42:43], 4, v[42:43]
	v_add_co_u32 v40, vcc_lo, s34, v40
	v_add_co_ci_u32_e64 v41, null, s35, v41, vcc_lo
	v_add_co_u32 v42, vcc_lo, s28, v42
	v_add_co_ci_u32_e64 v43, null, s29, v43, vcc_lo
	global_store_dwordx2 v[40:41], v[44:45], off offset:1024
	s_waitcnt vmcnt(0)
	global_store_dwordx4 v[42:43], v[36:39], off
	s_or_b32 exec_lo, exec_lo, s4
	s_and_saveexec_b32 s4, s13
	s_cbranch_execz .LBB311_97
.LBB311_146:                            ;   in Loop: Header=BB311_21 Depth=1
	v_add_co_u32 v36, vcc_lo, v70, v67
	v_add_co_ci_u32_e64 v37, null, 0, v71, vcc_lo
	v_add_co_u32 v38, vcc_lo, v72, v30
	v_add_co_ci_u32_e64 v39, null, v73, v31, vcc_lo
	v_add_co_u32 v40, vcc_lo, v52, v7
	v_cndmask_b32_e64 v36, v38, v36, s0
	v_cndmask_b32_e64 v37, v39, v37, s0
	v_add_co_ci_u32_e64 v41, null, 0, v53, vcc_lo
	v_add_co_u32 v42, vcc_lo, v52, v13
	global_load_dwordx4 v[36:39], v[36:37], off
	v_add_co_ci_u32_e64 v43, null, 0, v53, vcc_lo
	v_lshlrev_b64 v[40:41], 3, v[40:41]
	v_lshlrev_b64 v[42:43], 4, v[42:43]
	v_add_co_u32 v40, vcc_lo, s34, v40
	v_add_co_ci_u32_e64 v41, null, s35, v41, vcc_lo
	v_add_co_u32 v42, vcc_lo, s28, v42
	v_add_co_ci_u32_e64 v43, null, s29, v43, vcc_lo
	global_store_dwordx2 v[40:41], v[46:47], off offset:1280
	s_waitcnt vmcnt(0)
	global_store_dwordx4 v[42:43], v[36:39], off
	s_or_b32 exec_lo, exec_lo, s4
	s_and_saveexec_b32 s4, s14
	s_cbranch_execz .LBB311_98
.LBB311_147:                            ;   in Loop: Header=BB311_21 Depth=1
	v_add_co_u32 v36, vcc_lo, v70, v68
	v_add_co_ci_u32_e64 v37, null, 0, v71, vcc_lo
	v_add_co_u32 v38, vcc_lo, v72, v32
	v_add_co_ci_u32_e64 v39, null, v73, v33, vcc_lo
	v_add_co_u32 v40, vcc_lo, v52, v7
	v_cndmask_b32_e64 v36, v38, v36, s0
	v_cndmask_b32_e64 v37, v39, v37, s0
	v_add_co_ci_u32_e64 v41, null, 0, v53, vcc_lo
	v_add_co_u32 v42, vcc_lo, v52, v14
	global_load_dwordx4 v[36:39], v[36:37], off
	v_add_co_ci_u32_e64 v43, null, 0, v53, vcc_lo
	v_lshlrev_b64 v[40:41], 3, v[40:41]
	v_lshlrev_b64 v[42:43], 4, v[42:43]
	v_add_co_u32 v40, vcc_lo, s34, v40
	v_add_co_ci_u32_e64 v41, null, s35, v41, vcc_lo
	v_add_co_u32 v42, vcc_lo, s28, v42
	v_add_co_ci_u32_e64 v43, null, s29, v43, vcc_lo
	global_store_dwordx2 v[40:41], v[48:49], off offset:1536
	s_waitcnt vmcnt(0)
	global_store_dwordx4 v[42:43], v[36:39], off
	s_or_b32 exec_lo, exec_lo, s4
	s_and_saveexec_b32 s4, s9
	s_cbranch_execz .LBB311_20
.LBB311_148:                            ;   in Loop: Header=BB311_21 Depth=1
	v_add_co_u32 v36, vcc_lo, v70, v69
	v_add_co_ci_u32_e64 v37, null, 0, v71, vcc_lo
	v_add_co_u32 v38, vcc_lo, v72, v34
	v_add_co_ci_u32_e64 v39, null, v73, v35, vcc_lo
	v_add_co_u32 v40, vcc_lo, v52, v7
	v_cndmask_b32_e64 v36, v38, v36, s0
	v_cndmask_b32_e64 v37, v39, v37, s0
	v_add_co_ci_u32_e64 v41, null, 0, v53, vcc_lo
	v_add_co_u32 v42, vcc_lo, v52, v17
	global_load_dwordx4 v[36:39], v[36:37], off
	v_add_co_ci_u32_e64 v43, null, 0, v53, vcc_lo
	v_lshlrev_b64 v[40:41], 3, v[40:41]
	v_lshlrev_b64 v[42:43], 4, v[42:43]
	v_add_co_u32 v40, vcc_lo, s34, v40
	v_add_co_ci_u32_e64 v41, null, s35, v41, vcc_lo
	v_add_co_u32 v42, vcc_lo, s28, v42
	v_add_co_ci_u32_e64 v43, null, s29, v43, vcc_lo
	global_store_dwordx2 v[40:41], v[50:51], off offset:1792
	s_waitcnt vmcnt(0)
	global_store_dwordx4 v[42:43], v[36:39], off
	s_branch .LBB311_20
.LBB311_149:
	s_endpgm
	.section	.rodata,"a",@progbits
	.p2align	6, 0x0
	.amdhsa_kernel _ZN9rocsparseL35bsr2csr_block_per_row_33_256_kernelILj1024ELj256ELj32E21rocsparse_complex_numIdEllEEv20rocsparse_direction_T4_S4_21rocsparse_index_base_PKT2_PKT3_PKS4_S4_S5_PS6_PS9_PS4_
		.amdhsa_group_segment_fixed_size 0
		.amdhsa_private_segment_fixed_size 0
		.amdhsa_kernarg_size 96
		.amdhsa_user_sgpr_count 6
		.amdhsa_user_sgpr_private_segment_buffer 1
		.amdhsa_user_sgpr_dispatch_ptr 0
		.amdhsa_user_sgpr_queue_ptr 0
		.amdhsa_user_sgpr_kernarg_segment_ptr 1
		.amdhsa_user_sgpr_dispatch_id 0
		.amdhsa_user_sgpr_flat_scratch_init 0
		.amdhsa_user_sgpr_private_segment_size 0
		.amdhsa_wavefront_size32 1
		.amdhsa_uses_dynamic_stack 0
		.amdhsa_system_sgpr_private_segment_wavefront_offset 0
		.amdhsa_system_sgpr_workgroup_id_x 1
		.amdhsa_system_sgpr_workgroup_id_y 0
		.amdhsa_system_sgpr_workgroup_id_z 0
		.amdhsa_system_sgpr_workgroup_info 0
		.amdhsa_system_vgpr_workitem_id 0
		.amdhsa_next_free_vgpr 82
		.amdhsa_next_free_sgpr 100
		.amdhsa_reserve_vcc 1
		.amdhsa_reserve_flat_scratch 0
		.amdhsa_float_round_mode_32 0
		.amdhsa_float_round_mode_16_64 0
		.amdhsa_float_denorm_mode_32 3
		.amdhsa_float_denorm_mode_16_64 3
		.amdhsa_dx10_clamp 1
		.amdhsa_ieee_mode 1
		.amdhsa_fp16_overflow 0
		.amdhsa_workgroup_processor_mode 1
		.amdhsa_memory_ordered 1
		.amdhsa_forward_progress 1
		.amdhsa_shared_vgpr_count 0
		.amdhsa_exception_fp_ieee_invalid_op 0
		.amdhsa_exception_fp_denorm_src 0
		.amdhsa_exception_fp_ieee_div_zero 0
		.amdhsa_exception_fp_ieee_overflow 0
		.amdhsa_exception_fp_ieee_underflow 0
		.amdhsa_exception_fp_ieee_inexact 0
		.amdhsa_exception_int_div_zero 0
	.end_amdhsa_kernel
	.section	.text._ZN9rocsparseL35bsr2csr_block_per_row_33_256_kernelILj1024ELj256ELj32E21rocsparse_complex_numIdEllEEv20rocsparse_direction_T4_S4_21rocsparse_index_base_PKT2_PKT3_PKS4_S4_S5_PS6_PS9_PS4_,"axG",@progbits,_ZN9rocsparseL35bsr2csr_block_per_row_33_256_kernelILj1024ELj256ELj32E21rocsparse_complex_numIdEllEEv20rocsparse_direction_T4_S4_21rocsparse_index_base_PKT2_PKT3_PKS4_S4_S5_PS6_PS9_PS4_,comdat
.Lfunc_end311:
	.size	_ZN9rocsparseL35bsr2csr_block_per_row_33_256_kernelILj1024ELj256ELj32E21rocsparse_complex_numIdEllEEv20rocsparse_direction_T4_S4_21rocsparse_index_base_PKT2_PKT3_PKS4_S4_S5_PS6_PS9_PS4_, .Lfunc_end311-_ZN9rocsparseL35bsr2csr_block_per_row_33_256_kernelILj1024ELj256ELj32E21rocsparse_complex_numIdEllEEv20rocsparse_direction_T4_S4_21rocsparse_index_base_PKT2_PKT3_PKS4_S4_S5_PS6_PS9_PS4_
                                        ; -- End function
	.set _ZN9rocsparseL35bsr2csr_block_per_row_33_256_kernelILj1024ELj256ELj32E21rocsparse_complex_numIdEllEEv20rocsparse_direction_T4_S4_21rocsparse_index_base_PKT2_PKT3_PKS4_S4_S5_PS6_PS9_PS4_.num_vgpr, 82
	.set _ZN9rocsparseL35bsr2csr_block_per_row_33_256_kernelILj1024ELj256ELj32E21rocsparse_complex_numIdEllEEv20rocsparse_direction_T4_S4_21rocsparse_index_base_PKT2_PKT3_PKS4_S4_S5_PS6_PS9_PS4_.num_agpr, 0
	.set _ZN9rocsparseL35bsr2csr_block_per_row_33_256_kernelILj1024ELj256ELj32E21rocsparse_complex_numIdEllEEv20rocsparse_direction_T4_S4_21rocsparse_index_base_PKT2_PKT3_PKS4_S4_S5_PS6_PS9_PS4_.numbered_sgpr, 100
	.set _ZN9rocsparseL35bsr2csr_block_per_row_33_256_kernelILj1024ELj256ELj32E21rocsparse_complex_numIdEllEEv20rocsparse_direction_T4_S4_21rocsparse_index_base_PKT2_PKT3_PKS4_S4_S5_PS6_PS9_PS4_.num_named_barrier, 0
	.set _ZN9rocsparseL35bsr2csr_block_per_row_33_256_kernelILj1024ELj256ELj32E21rocsparse_complex_numIdEllEEv20rocsparse_direction_T4_S4_21rocsparse_index_base_PKT2_PKT3_PKS4_S4_S5_PS6_PS9_PS4_.private_seg_size, 0
	.set _ZN9rocsparseL35bsr2csr_block_per_row_33_256_kernelILj1024ELj256ELj32E21rocsparse_complex_numIdEllEEv20rocsparse_direction_T4_S4_21rocsparse_index_base_PKT2_PKT3_PKS4_S4_S5_PS6_PS9_PS4_.uses_vcc, 1
	.set _ZN9rocsparseL35bsr2csr_block_per_row_33_256_kernelILj1024ELj256ELj32E21rocsparse_complex_numIdEllEEv20rocsparse_direction_T4_S4_21rocsparse_index_base_PKT2_PKT3_PKS4_S4_S5_PS6_PS9_PS4_.uses_flat_scratch, 0
	.set _ZN9rocsparseL35bsr2csr_block_per_row_33_256_kernelILj1024ELj256ELj32E21rocsparse_complex_numIdEllEEv20rocsparse_direction_T4_S4_21rocsparse_index_base_PKT2_PKT3_PKS4_S4_S5_PS6_PS9_PS4_.has_dyn_sized_stack, 0
	.set _ZN9rocsparseL35bsr2csr_block_per_row_33_256_kernelILj1024ELj256ELj32E21rocsparse_complex_numIdEllEEv20rocsparse_direction_T4_S4_21rocsparse_index_base_PKT2_PKT3_PKS4_S4_S5_PS6_PS9_PS4_.has_recursion, 0
	.set _ZN9rocsparseL35bsr2csr_block_per_row_33_256_kernelILj1024ELj256ELj32E21rocsparse_complex_numIdEllEEv20rocsparse_direction_T4_S4_21rocsparse_index_base_PKT2_PKT3_PKS4_S4_S5_PS6_PS9_PS4_.has_indirect_call, 0
	.section	.AMDGPU.csdata,"",@progbits
; Kernel info:
; codeLenInByte = 14336
; TotalNumSgprs: 102
; NumVgprs: 82
; ScratchSize: 0
; MemoryBound: 0
; FloatMode: 240
; IeeeMode: 1
; LDSByteSize: 0 bytes/workgroup (compile time only)
; SGPRBlocks: 0
; VGPRBlocks: 10
; NumSGPRsForWavesPerEU: 102
; NumVGPRsForWavesPerEU: 82
; Occupancy: 10
; WaveLimiterHint : 1
; COMPUTE_PGM_RSRC2:SCRATCH_EN: 0
; COMPUTE_PGM_RSRC2:USER_SGPR: 6
; COMPUTE_PGM_RSRC2:TRAP_HANDLER: 0
; COMPUTE_PGM_RSRC2:TGID_X_EN: 1
; COMPUTE_PGM_RSRC2:TGID_Y_EN: 0
; COMPUTE_PGM_RSRC2:TGID_Z_EN: 0
; COMPUTE_PGM_RSRC2:TIDIG_COMP_CNT: 0
	.section	.AMDGPU.gpr_maximums,"",@progbits
	.set amdgpu.max_num_vgpr, 0
	.set amdgpu.max_num_agpr, 0
	.set amdgpu.max_num_sgpr, 0
	.section	.AMDGPU.csdata,"",@progbits
	.type	__hip_cuid_3873b7fe408eccd9,@object ; @__hip_cuid_3873b7fe408eccd9
	.section	.bss,"aw",@nobits
	.globl	__hip_cuid_3873b7fe408eccd9
__hip_cuid_3873b7fe408eccd9:
	.byte	0                               ; 0x0
	.size	__hip_cuid_3873b7fe408eccd9, 1

	.ident	"AMD clang version 22.0.0git (https://github.com/RadeonOpenCompute/llvm-project roc-7.2.4 26084 f58b06dce1f9c15707c5f808fd002e18c2accf7e)"
	.section	".note.GNU-stack","",@progbits
	.addrsig
	.addrsig_sym __hip_cuid_3873b7fe408eccd9
	.amdgpu_metadata
---
amdhsa.kernels:
  - .args:
      - .offset:         0
        .size:           4
        .value_kind:     by_value
      - .offset:         4
        .size:           4
        .value_kind:     by_value
      - .offset:         8
        .size:           4
        .value_kind:     by_value
      - .actual_access:  read_only
        .address_space:  global
        .offset:         16
        .size:           8
        .value_kind:     global_buffer
      - .actual_access:  read_only
        .address_space:  global
        .offset:         24
        .size:           8
        .value_kind:     global_buffer
      - .actual_access:  read_only
        .address_space:  global
        .offset:         32
        .size:           8
        .value_kind:     global_buffer
      - .offset:         40
        .size:           4
        .value_kind:     by_value
      - .actual_access:  write_only
        .address_space:  global
        .offset:         48
        .size:           8
        .value_kind:     global_buffer
      - .actual_access:  write_only
        .address_space:  global
        .offset:         56
        .size:           8
        .value_kind:     global_buffer
      - .actual_access:  write_only
        .address_space:  global
        .offset:         64
        .size:           8
        .value_kind:     global_buffer
      - .offset:         72
        .size:           4
        .value_kind:     hidden_block_count_x
      - .offset:         76
        .size:           4
        .value_kind:     hidden_block_count_y
      - .offset:         80
        .size:           4
        .value_kind:     hidden_block_count_z
      - .offset:         84
        .size:           2
        .value_kind:     hidden_group_size_x
      - .offset:         86
        .size:           2
        .value_kind:     hidden_group_size_y
      - .offset:         88
        .size:           2
        .value_kind:     hidden_group_size_z
      - .offset:         90
        .size:           2
        .value_kind:     hidden_remainder_x
      - .offset:         92
        .size:           2
        .value_kind:     hidden_remainder_y
      - .offset:         94
        .size:           2
        .value_kind:     hidden_remainder_z
      - .offset:         112
        .size:           8
        .value_kind:     hidden_global_offset_x
      - .offset:         120
        .size:           8
        .value_kind:     hidden_global_offset_y
      - .offset:         128
        .size:           8
        .value_kind:     hidden_global_offset_z
      - .offset:         136
        .size:           2
        .value_kind:     hidden_grid_dims
    .group_segment_fixed_size: 0
    .kernarg_segment_align: 8
    .kernarg_segment_size: 328
    .language:       OpenCL C
    .language_version:
      - 2
      - 0
    .max_flat_workgroup_size: 1024
    .name:           _ZN9rocsparseL35bsr2csr_block_dim_equals_one_kernelILj1024EiiiEEvT2_S1_21rocsparse_index_base_PKT0_PKT1_PKS1_S2_PS3_PS6_PS1_
    .private_segment_fixed_size: 0
    .sgpr_count:     23
    .sgpr_spill_count: 0
    .symbol:         _ZN9rocsparseL35bsr2csr_block_dim_equals_one_kernelILj1024EiiiEEvT2_S1_21rocsparse_index_base_PKT0_PKT1_PKS1_S2_PS3_PS6_PS1_.kd
    .uniform_work_group_size: 1
    .uses_dynamic_stack: false
    .vgpr_count:     7
    .vgpr_spill_count: 0
    .wavefront_size: 32
    .workgroup_processor_mode: 1
  - .args:
      - .offset:         0
        .size:           4
        .value_kind:     by_value
      - .offset:         4
        .size:           4
        .value_kind:     by_value
      - .offset:         8
        .size:           4
        .value_kind:     by_value
      - .offset:         12
        .size:           4
        .value_kind:     by_value
      - .actual_access:  read_only
        .address_space:  global
        .offset:         16
        .size:           8
        .value_kind:     global_buffer
      - .actual_access:  read_only
        .address_space:  global
        .offset:         24
        .size:           8
        .value_kind:     global_buffer
      - .actual_access:  read_only
        .address_space:  global
        .offset:         32
        .size:           8
        .value_kind:     global_buffer
      - .offset:         40
        .size:           4
        .value_kind:     by_value
      - .offset:         44
        .size:           4
        .value_kind:     by_value
      - .actual_access:  write_only
        .address_space:  global
        .offset:         48
        .size:           8
        .value_kind:     global_buffer
      - .actual_access:  write_only
        .address_space:  global
        .offset:         56
        .size:           8
        .value_kind:     global_buffer
      - .actual_access:  write_only
        .address_space:  global
        .offset:         64
        .size:           8
        .value_kind:     global_buffer
    .group_segment_fixed_size: 0
    .kernarg_segment_align: 8
    .kernarg_segment_size: 72
    .language:       OpenCL C
    .language_version:
      - 2
      - 0
    .max_flat_workgroup_size: 256
    .name:           _ZN9rocsparseL32bsr2csr_block_per_row_2_7_kernelILj256ELj2EiiiEEv20rocsparse_direction_T3_S2_21rocsparse_index_base_PKT1_PKT2_PKS2_S2_S3_PS4_PS7_PS2_
    .private_segment_fixed_size: 0
    .sgpr_count:     16
    .sgpr_spill_count: 0
    .symbol:         _ZN9rocsparseL32bsr2csr_block_per_row_2_7_kernelILj256ELj2EiiiEEv20rocsparse_direction_T3_S2_21rocsparse_index_base_PKT1_PKT2_PKS2_S2_S3_PS4_PS7_PS2_.kd
    .uniform_work_group_size: 1
    .uses_dynamic_stack: false
    .vgpr_count:     15
    .vgpr_spill_count: 0
    .wavefront_size: 32
    .workgroup_processor_mode: 1
  - .args:
      - .offset:         0
        .size:           4
        .value_kind:     by_value
      - .offset:         4
        .size:           4
        .value_kind:     by_value
      - .offset:         8
        .size:           4
        .value_kind:     by_value
      - .offset:         12
        .size:           4
        .value_kind:     by_value
      - .actual_access:  read_only
        .address_space:  global
        .offset:         16
        .size:           8
        .value_kind:     global_buffer
      - .actual_access:  read_only
        .address_space:  global
        .offset:         24
        .size:           8
        .value_kind:     global_buffer
      - .actual_access:  read_only
        .address_space:  global
        .offset:         32
        .size:           8
        .value_kind:     global_buffer
      - .offset:         40
        .size:           4
        .value_kind:     by_value
      - .offset:         44
        .size:           4
        .value_kind:     by_value
      - .actual_access:  write_only
        .address_space:  global
        .offset:         48
        .size:           8
        .value_kind:     global_buffer
      - .actual_access:  write_only
        .address_space:  global
        .offset:         56
        .size:           8
        .value_kind:     global_buffer
      - .actual_access:  write_only
        .address_space:  global
        .offset:         64
        .size:           8
        .value_kind:     global_buffer
    .group_segment_fixed_size: 0
    .kernarg_segment_align: 8
    .kernarg_segment_size: 72
    .language:       OpenCL C
    .language_version:
      - 2
      - 0
    .max_flat_workgroup_size: 256
    .name:           _ZN9rocsparseL32bsr2csr_block_per_row_2_7_kernelILj256ELj3EiiiEEv20rocsparse_direction_T3_S2_21rocsparse_index_base_PKT1_PKT2_PKS2_S2_S3_PS4_PS7_PS2_
    .private_segment_fixed_size: 0
    .sgpr_count:     17
    .sgpr_spill_count: 0
    .symbol:         _ZN9rocsparseL32bsr2csr_block_per_row_2_7_kernelILj256ELj3EiiiEEv20rocsparse_direction_T3_S2_21rocsparse_index_base_PKT1_PKT2_PKS2_S2_S3_PS4_PS7_PS2_.kd
    .uniform_work_group_size: 1
    .uses_dynamic_stack: false
    .vgpr_count:     18
    .vgpr_spill_count: 0
    .wavefront_size: 32
    .workgroup_processor_mode: 1
  - .args:
      - .offset:         0
        .size:           4
        .value_kind:     by_value
      - .offset:         4
        .size:           4
        .value_kind:     by_value
      - .offset:         8
        .size:           4
        .value_kind:     by_value
      - .offset:         12
        .size:           4
        .value_kind:     by_value
      - .actual_access:  read_only
        .address_space:  global
        .offset:         16
        .size:           8
        .value_kind:     global_buffer
      - .actual_access:  read_only
        .address_space:  global
        .offset:         24
        .size:           8
        .value_kind:     global_buffer
      - .actual_access:  read_only
        .address_space:  global
        .offset:         32
        .size:           8
        .value_kind:     global_buffer
      - .offset:         40
        .size:           4
        .value_kind:     by_value
      - .offset:         44
        .size:           4
        .value_kind:     by_value
      - .actual_access:  write_only
        .address_space:  global
        .offset:         48
        .size:           8
        .value_kind:     global_buffer
      - .actual_access:  write_only
        .address_space:  global
        .offset:         56
        .size:           8
        .value_kind:     global_buffer
      - .actual_access:  write_only
        .address_space:  global
        .offset:         64
        .size:           8
        .value_kind:     global_buffer
    .group_segment_fixed_size: 0
    .kernarg_segment_align: 8
    .kernarg_segment_size: 72
    .language:       OpenCL C
    .language_version:
      - 2
      - 0
    .max_flat_workgroup_size: 256
    .name:           _ZN9rocsparseL32bsr2csr_block_per_row_2_7_kernelILj256ELj4EiiiEEv20rocsparse_direction_T3_S2_21rocsparse_index_base_PKT1_PKT2_PKS2_S2_S3_PS4_PS7_PS2_
    .private_segment_fixed_size: 0
    .sgpr_count:     16
    .sgpr_spill_count: 0
    .symbol:         _ZN9rocsparseL32bsr2csr_block_per_row_2_7_kernelILj256ELj4EiiiEEv20rocsparse_direction_T3_S2_21rocsparse_index_base_PKT1_PKT2_PKS2_S2_S3_PS4_PS7_PS2_.kd
    .uniform_work_group_size: 1
    .uses_dynamic_stack: false
    .vgpr_count:     20
    .vgpr_spill_count: 0
    .wavefront_size: 32
    .workgroup_processor_mode: 1
  - .args:
      - .offset:         0
        .size:           4
        .value_kind:     by_value
      - .offset:         4
        .size:           4
        .value_kind:     by_value
      - .offset:         8
        .size:           4
        .value_kind:     by_value
      - .offset:         12
        .size:           4
        .value_kind:     by_value
      - .actual_access:  read_only
        .address_space:  global
        .offset:         16
        .size:           8
        .value_kind:     global_buffer
      - .actual_access:  read_only
        .address_space:  global
        .offset:         24
        .size:           8
        .value_kind:     global_buffer
      - .actual_access:  read_only
        .address_space:  global
        .offset:         32
        .size:           8
        .value_kind:     global_buffer
      - .offset:         40
        .size:           4
        .value_kind:     by_value
      - .offset:         44
        .size:           4
        .value_kind:     by_value
      - .actual_access:  write_only
        .address_space:  global
        .offset:         48
        .size:           8
        .value_kind:     global_buffer
      - .actual_access:  write_only
        .address_space:  global
        .offset:         56
        .size:           8
        .value_kind:     global_buffer
      - .actual_access:  write_only
        .address_space:  global
        .offset:         64
        .size:           8
        .value_kind:     global_buffer
    .group_segment_fixed_size: 0
    .kernarg_segment_align: 8
    .kernarg_segment_size: 72
    .language:       OpenCL C
    .language_version:
      - 2
      - 0
    .max_flat_workgroup_size: 256
    .name:           _ZN9rocsparseL32bsr2csr_block_per_row_2_7_kernelILj256ELj5EiiiEEv20rocsparse_direction_T3_S2_21rocsparse_index_base_PKT1_PKT2_PKS2_S2_S3_PS4_PS7_PS2_
    .private_segment_fixed_size: 0
    .sgpr_count:     17
    .sgpr_spill_count: 0
    .symbol:         _ZN9rocsparseL32bsr2csr_block_per_row_2_7_kernelILj256ELj5EiiiEEv20rocsparse_direction_T3_S2_21rocsparse_index_base_PKT1_PKT2_PKS2_S2_S3_PS4_PS7_PS2_.kd
    .uniform_work_group_size: 1
    .uses_dynamic_stack: false
    .vgpr_count:     19
    .vgpr_spill_count: 0
    .wavefront_size: 32
    .workgroup_processor_mode: 1
  - .args:
      - .offset:         0
        .size:           4
        .value_kind:     by_value
      - .offset:         4
        .size:           4
        .value_kind:     by_value
      - .offset:         8
        .size:           4
        .value_kind:     by_value
      - .offset:         12
        .size:           4
        .value_kind:     by_value
      - .actual_access:  read_only
        .address_space:  global
        .offset:         16
        .size:           8
        .value_kind:     global_buffer
      - .actual_access:  read_only
        .address_space:  global
        .offset:         24
        .size:           8
        .value_kind:     global_buffer
      - .actual_access:  read_only
        .address_space:  global
        .offset:         32
        .size:           8
        .value_kind:     global_buffer
      - .offset:         40
        .size:           4
        .value_kind:     by_value
      - .offset:         44
        .size:           4
        .value_kind:     by_value
      - .actual_access:  write_only
        .address_space:  global
        .offset:         48
        .size:           8
        .value_kind:     global_buffer
      - .actual_access:  write_only
        .address_space:  global
        .offset:         56
        .size:           8
        .value_kind:     global_buffer
      - .actual_access:  write_only
        .address_space:  global
        .offset:         64
        .size:           8
        .value_kind:     global_buffer
    .group_segment_fixed_size: 0
    .kernarg_segment_align: 8
    .kernarg_segment_size: 72
    .language:       OpenCL C
    .language_version:
      - 2
      - 0
    .max_flat_workgroup_size: 256
    .name:           _ZN9rocsparseL32bsr2csr_block_per_row_2_7_kernelILj256ELj6EiiiEEv20rocsparse_direction_T3_S2_21rocsparse_index_base_PKT1_PKT2_PKS2_S2_S3_PS4_PS7_PS2_
    .private_segment_fixed_size: 0
    .sgpr_count:     16
    .sgpr_spill_count: 0
    .symbol:         _ZN9rocsparseL32bsr2csr_block_per_row_2_7_kernelILj256ELj6EiiiEEv20rocsparse_direction_T3_S2_21rocsparse_index_base_PKT1_PKT2_PKS2_S2_S3_PS4_PS7_PS2_.kd
    .uniform_work_group_size: 1
    .uses_dynamic_stack: false
    .vgpr_count:     23
    .vgpr_spill_count: 0
    .wavefront_size: 32
    .workgroup_processor_mode: 1
  - .args:
      - .offset:         0
        .size:           4
        .value_kind:     by_value
      - .offset:         4
        .size:           4
        .value_kind:     by_value
      - .offset:         8
        .size:           4
        .value_kind:     by_value
      - .offset:         12
        .size:           4
        .value_kind:     by_value
      - .actual_access:  read_only
        .address_space:  global
        .offset:         16
        .size:           8
        .value_kind:     global_buffer
      - .actual_access:  read_only
        .address_space:  global
        .offset:         24
        .size:           8
        .value_kind:     global_buffer
      - .actual_access:  read_only
        .address_space:  global
        .offset:         32
        .size:           8
        .value_kind:     global_buffer
      - .offset:         40
        .size:           4
        .value_kind:     by_value
      - .offset:         44
        .size:           4
        .value_kind:     by_value
      - .actual_access:  write_only
        .address_space:  global
        .offset:         48
        .size:           8
        .value_kind:     global_buffer
      - .actual_access:  write_only
        .address_space:  global
        .offset:         56
        .size:           8
        .value_kind:     global_buffer
      - .actual_access:  write_only
        .address_space:  global
        .offset:         64
        .size:           8
        .value_kind:     global_buffer
    .group_segment_fixed_size: 0
    .kernarg_segment_align: 8
    .kernarg_segment_size: 72
    .language:       OpenCL C
    .language_version:
      - 2
      - 0
    .max_flat_workgroup_size: 256
    .name:           _ZN9rocsparseL32bsr2csr_block_per_row_2_7_kernelILj256ELj7EiiiEEv20rocsparse_direction_T3_S2_21rocsparse_index_base_PKT1_PKT2_PKS2_S2_S3_PS4_PS7_PS2_
    .private_segment_fixed_size: 0
    .sgpr_count:     16
    .sgpr_spill_count: 0
    .symbol:         _ZN9rocsparseL32bsr2csr_block_per_row_2_7_kernelILj256ELj7EiiiEEv20rocsparse_direction_T3_S2_21rocsparse_index_base_PKT1_PKT2_PKS2_S2_S3_PS4_PS7_PS2_.kd
    .uniform_work_group_size: 1
    .uses_dynamic_stack: false
    .vgpr_count:     26
    .vgpr_spill_count: 0
    .wavefront_size: 32
    .workgroup_processor_mode: 1
  - .args:
      - .offset:         0
        .size:           4
        .value_kind:     by_value
      - .offset:         4
        .size:           4
        .value_kind:     by_value
      - .offset:         8
        .size:           4
        .value_kind:     by_value
      - .offset:         12
        .size:           4
        .value_kind:     by_value
      - .actual_access:  read_only
        .address_space:  global
        .offset:         16
        .size:           8
        .value_kind:     global_buffer
      - .actual_access:  read_only
        .address_space:  global
        .offset:         24
        .size:           8
        .value_kind:     global_buffer
      - .actual_access:  read_only
        .address_space:  global
        .offset:         32
        .size:           8
        .value_kind:     global_buffer
      - .offset:         40
        .size:           4
        .value_kind:     by_value
      - .offset:         44
        .size:           4
        .value_kind:     by_value
      - .actual_access:  write_only
        .address_space:  global
        .offset:         48
        .size:           8
        .value_kind:     global_buffer
      - .actual_access:  write_only
        .address_space:  global
        .offset:         56
        .size:           8
        .value_kind:     global_buffer
      - .actual_access:  write_only
        .address_space:  global
        .offset:         64
        .size:           8
        .value_kind:     global_buffer
    .group_segment_fixed_size: 0
    .kernarg_segment_align: 8
    .kernarg_segment_size: 72
    .language:       OpenCL C
    .language_version:
      - 2
      - 0
    .max_flat_workgroup_size: 1024
    .name:           _ZN9rocsparseL33bsr2csr_block_per_row_8_32_kernelILj1024ELj8EiiiEEv20rocsparse_direction_T3_S2_21rocsparse_index_base_PKT1_PKT2_PKS2_S2_S3_PS4_PS7_PS2_
    .private_segment_fixed_size: 0
    .sgpr_count:     19
    .sgpr_spill_count: 0
    .symbol:         _ZN9rocsparseL33bsr2csr_block_per_row_8_32_kernelILj1024ELj8EiiiEEv20rocsparse_direction_T3_S2_21rocsparse_index_base_PKT1_PKT2_PKS2_S2_S3_PS4_PS7_PS2_.kd
    .uniform_work_group_size: 1
    .uses_dynamic_stack: false
    .vgpr_count:     13
    .vgpr_spill_count: 0
    .wavefront_size: 32
    .workgroup_processor_mode: 1
  - .args:
      - .offset:         0
        .size:           4
        .value_kind:     by_value
      - .offset:         4
        .size:           4
        .value_kind:     by_value
      - .offset:         8
        .size:           4
        .value_kind:     by_value
      - .offset:         12
        .size:           4
        .value_kind:     by_value
      - .actual_access:  read_only
        .address_space:  global
        .offset:         16
        .size:           8
        .value_kind:     global_buffer
      - .actual_access:  read_only
        .address_space:  global
        .offset:         24
        .size:           8
        .value_kind:     global_buffer
      - .actual_access:  read_only
        .address_space:  global
        .offset:         32
        .size:           8
        .value_kind:     global_buffer
      - .offset:         40
        .size:           4
        .value_kind:     by_value
      - .offset:         44
        .size:           4
        .value_kind:     by_value
      - .actual_access:  write_only
        .address_space:  global
        .offset:         48
        .size:           8
        .value_kind:     global_buffer
      - .actual_access:  write_only
        .address_space:  global
        .offset:         56
        .size:           8
        .value_kind:     global_buffer
      - .actual_access:  write_only
        .address_space:  global
        .offset:         64
        .size:           8
        .value_kind:     global_buffer
    .group_segment_fixed_size: 0
    .kernarg_segment_align: 8
    .kernarg_segment_size: 72
    .language:       OpenCL C
    .language_version:
      - 2
      - 0
    .max_flat_workgroup_size: 1024
    .name:           _ZN9rocsparseL33bsr2csr_block_per_row_8_32_kernelILj1024ELj16EiiiEEv20rocsparse_direction_T3_S2_21rocsparse_index_base_PKT1_PKT2_PKS2_S2_S3_PS4_PS7_PS2_
    .private_segment_fixed_size: 0
    .sgpr_count:     19
    .sgpr_spill_count: 0
    .symbol:         _ZN9rocsparseL33bsr2csr_block_per_row_8_32_kernelILj1024ELj16EiiiEEv20rocsparse_direction_T3_S2_21rocsparse_index_base_PKT1_PKT2_PKS2_S2_S3_PS4_PS7_PS2_.kd
    .uniform_work_group_size: 1
    .uses_dynamic_stack: false
    .vgpr_count:     13
    .vgpr_spill_count: 0
    .wavefront_size: 32
    .workgroup_processor_mode: 1
  - .args:
      - .offset:         0
        .size:           4
        .value_kind:     by_value
      - .offset:         4
        .size:           4
        .value_kind:     by_value
      - .offset:         8
        .size:           4
        .value_kind:     by_value
      - .offset:         12
        .size:           4
        .value_kind:     by_value
      - .actual_access:  read_only
        .address_space:  global
        .offset:         16
        .size:           8
        .value_kind:     global_buffer
      - .actual_access:  read_only
        .address_space:  global
        .offset:         24
        .size:           8
        .value_kind:     global_buffer
      - .actual_access:  read_only
        .address_space:  global
        .offset:         32
        .size:           8
        .value_kind:     global_buffer
      - .offset:         40
        .size:           4
        .value_kind:     by_value
      - .offset:         44
        .size:           4
        .value_kind:     by_value
      - .actual_access:  write_only
        .address_space:  global
        .offset:         48
        .size:           8
        .value_kind:     global_buffer
      - .actual_access:  write_only
        .address_space:  global
        .offset:         56
        .size:           8
        .value_kind:     global_buffer
      - .actual_access:  write_only
        .address_space:  global
        .offset:         64
        .size:           8
        .value_kind:     global_buffer
    .group_segment_fixed_size: 0
    .kernarg_segment_align: 8
    .kernarg_segment_size: 72
    .language:       OpenCL C
    .language_version:
      - 2
      - 0
    .max_flat_workgroup_size: 1024
    .name:           _ZN9rocsparseL33bsr2csr_block_per_row_8_32_kernelILj1024ELj32EiiiEEv20rocsparse_direction_T3_S2_21rocsparse_index_base_PKT1_PKT2_PKS2_S2_S3_PS4_PS7_PS2_
    .private_segment_fixed_size: 0
    .sgpr_count:     20
    .sgpr_spill_count: 0
    .symbol:         _ZN9rocsparseL33bsr2csr_block_per_row_8_32_kernelILj1024ELj32EiiiEEv20rocsparse_direction_T3_S2_21rocsparse_index_base_PKT1_PKT2_PKS2_S2_S3_PS4_PS7_PS2_.kd
    .uniform_work_group_size: 1
    .uses_dynamic_stack: false
    .vgpr_count:     11
    .vgpr_spill_count: 0
    .wavefront_size: 32
    .workgroup_processor_mode: 1
  - .args:
      - .offset:         0
        .size:           4
        .value_kind:     by_value
      - .offset:         4
        .size:           4
        .value_kind:     by_value
      - .offset:         8
        .size:           4
        .value_kind:     by_value
      - .offset:         12
        .size:           4
        .value_kind:     by_value
      - .actual_access:  read_only
        .address_space:  global
        .offset:         16
        .size:           8
        .value_kind:     global_buffer
      - .actual_access:  read_only
        .address_space:  global
        .offset:         24
        .size:           8
        .value_kind:     global_buffer
      - .actual_access:  read_only
        .address_space:  global
        .offset:         32
        .size:           8
        .value_kind:     global_buffer
      - .offset:         40
        .size:           4
        .value_kind:     by_value
      - .offset:         44
        .size:           4
        .value_kind:     by_value
      - .actual_access:  write_only
        .address_space:  global
        .offset:         48
        .size:           8
        .value_kind:     global_buffer
      - .actual_access:  write_only
        .address_space:  global
        .offset:         56
        .size:           8
        .value_kind:     global_buffer
      - .actual_access:  write_only
        .address_space:  global
        .offset:         64
        .size:           8
        .value_kind:     global_buffer
    .group_segment_fixed_size: 0
    .kernarg_segment_align: 8
    .kernarg_segment_size: 72
    .language:       OpenCL C
    .language_version:
      - 2
      - 0
    .max_flat_workgroup_size: 1024
    .name:           _ZN9rocsparseL35bsr2csr_block_per_row_33_256_kernelILj1024ELj64ELj32EiiiEEv20rocsparse_direction_T4_S2_21rocsparse_index_base_PKT2_PKT3_PKS2_S2_S3_PS4_PS7_PS2_
    .private_segment_fixed_size: 0
    .sgpr_count:     26
    .sgpr_spill_count: 0
    .symbol:         _ZN9rocsparseL35bsr2csr_block_per_row_33_256_kernelILj1024ELj64ELj32EiiiEEv20rocsparse_direction_T4_S2_21rocsparse_index_base_PKT2_PKT3_PKS2_S2_S3_PS4_PS7_PS2_.kd
    .uniform_work_group_size: 1
    .uses_dynamic_stack: false
    .vgpr_count:     18
    .vgpr_spill_count: 0
    .wavefront_size: 32
    .workgroup_processor_mode: 1
  - .args:
      - .offset:         0
        .size:           4
        .value_kind:     by_value
      - .offset:         4
        .size:           4
        .value_kind:     by_value
      - .offset:         8
        .size:           4
        .value_kind:     by_value
      - .offset:         12
        .size:           4
        .value_kind:     by_value
      - .actual_access:  read_only
        .address_space:  global
        .offset:         16
        .size:           8
        .value_kind:     global_buffer
      - .actual_access:  read_only
        .address_space:  global
        .offset:         24
        .size:           8
        .value_kind:     global_buffer
      - .actual_access:  read_only
        .address_space:  global
        .offset:         32
        .size:           8
        .value_kind:     global_buffer
      - .offset:         40
        .size:           4
        .value_kind:     by_value
      - .offset:         44
        .size:           4
        .value_kind:     by_value
      - .actual_access:  write_only
        .address_space:  global
        .offset:         48
        .size:           8
        .value_kind:     global_buffer
      - .actual_access:  write_only
        .address_space:  global
        .offset:         56
        .size:           8
        .value_kind:     global_buffer
      - .actual_access:  write_only
        .address_space:  global
        .offset:         64
        .size:           8
        .value_kind:     global_buffer
    .group_segment_fixed_size: 0
    .kernarg_segment_align: 8
    .kernarg_segment_size: 72
    .language:       OpenCL C
    .language_version:
      - 2
      - 0
    .max_flat_workgroup_size: 1024
    .name:           _ZN9rocsparseL35bsr2csr_block_per_row_33_256_kernelILj1024ELj128ELj32EiiiEEv20rocsparse_direction_T4_S2_21rocsparse_index_base_PKT2_PKT3_PKS2_S2_S3_PS4_PS7_PS2_
    .private_segment_fixed_size: 0
    .sgpr_count:     42
    .sgpr_spill_count: 0
    .symbol:         _ZN9rocsparseL35bsr2csr_block_per_row_33_256_kernelILj1024ELj128ELj32EiiiEEv20rocsparse_direction_T4_S2_21rocsparse_index_base_PKT2_PKT3_PKS2_S2_S3_PS4_PS7_PS2_.kd
    .uniform_work_group_size: 1
    .uses_dynamic_stack: false
    .vgpr_count:     29
    .vgpr_spill_count: 0
    .wavefront_size: 32
    .workgroup_processor_mode: 1
  - .args:
      - .offset:         0
        .size:           4
        .value_kind:     by_value
      - .offset:         4
        .size:           4
        .value_kind:     by_value
      - .offset:         8
        .size:           4
        .value_kind:     by_value
      - .offset:         12
        .size:           4
        .value_kind:     by_value
      - .actual_access:  read_only
        .address_space:  global
        .offset:         16
        .size:           8
        .value_kind:     global_buffer
      - .actual_access:  read_only
        .address_space:  global
        .offset:         24
        .size:           8
        .value_kind:     global_buffer
      - .actual_access:  read_only
        .address_space:  global
        .offset:         32
        .size:           8
        .value_kind:     global_buffer
      - .offset:         40
        .size:           4
        .value_kind:     by_value
      - .offset:         44
        .size:           4
        .value_kind:     by_value
      - .actual_access:  write_only
        .address_space:  global
        .offset:         48
        .size:           8
        .value_kind:     global_buffer
      - .actual_access:  write_only
        .address_space:  global
        .offset:         56
        .size:           8
        .value_kind:     global_buffer
      - .actual_access:  write_only
        .address_space:  global
        .offset:         64
        .size:           8
        .value_kind:     global_buffer
    .group_segment_fixed_size: 0
    .kernarg_segment_align: 8
    .kernarg_segment_size: 72
    .language:       OpenCL C
    .language_version:
      - 2
      - 0
    .max_flat_workgroup_size: 1024
    .name:           _ZN9rocsparseL35bsr2csr_block_per_row_33_256_kernelILj1024ELj256ELj32EiiiEEv20rocsparse_direction_T4_S2_21rocsparse_index_base_PKT2_PKT3_PKS2_S2_S3_PS4_PS7_PS2_
    .private_segment_fixed_size: 0
    .sgpr_count:     89
    .sgpr_spill_count: 0
    .symbol:         _ZN9rocsparseL35bsr2csr_block_per_row_33_256_kernelILj1024ELj256ELj32EiiiEEv20rocsparse_direction_T4_S2_21rocsparse_index_base_PKT2_PKT3_PKS2_S2_S3_PS4_PS7_PS2_.kd
    .uniform_work_group_size: 1
    .uses_dynamic_stack: false
    .vgpr_count:     46
    .vgpr_spill_count: 0
    .wavefront_size: 32
    .workgroup_processor_mode: 1
  - .args:
      - .offset:         0
        .size:           4
        .value_kind:     by_value
      - .offset:         4
        .size:           4
        .value_kind:     by_value
      - .offset:         8
        .size:           4
        .value_kind:     by_value
      - .actual_access:  read_only
        .address_space:  global
        .offset:         16
        .size:           8
        .value_kind:     global_buffer
      - .actual_access:  read_only
        .address_space:  global
        .offset:         24
        .size:           8
        .value_kind:     global_buffer
      - .actual_access:  read_only
        .address_space:  global
        .offset:         32
        .size:           8
        .value_kind:     global_buffer
      - .offset:         40
        .size:           4
        .value_kind:     by_value
      - .actual_access:  write_only
        .address_space:  global
        .offset:         48
        .size:           8
        .value_kind:     global_buffer
      - .actual_access:  write_only
        .address_space:  global
        .offset:         56
        .size:           8
        .value_kind:     global_buffer
      - .actual_access:  write_only
        .address_space:  global
        .offset:         64
        .size:           8
        .value_kind:     global_buffer
      - .offset:         72
        .size:           4
        .value_kind:     hidden_block_count_x
      - .offset:         76
        .size:           4
        .value_kind:     hidden_block_count_y
      - .offset:         80
        .size:           4
        .value_kind:     hidden_block_count_z
      - .offset:         84
        .size:           2
        .value_kind:     hidden_group_size_x
      - .offset:         86
        .size:           2
        .value_kind:     hidden_group_size_y
      - .offset:         88
        .size:           2
        .value_kind:     hidden_group_size_z
      - .offset:         90
        .size:           2
        .value_kind:     hidden_remainder_x
      - .offset:         92
        .size:           2
        .value_kind:     hidden_remainder_y
      - .offset:         94
        .size:           2
        .value_kind:     hidden_remainder_z
      - .offset:         112
        .size:           8
        .value_kind:     hidden_global_offset_x
      - .offset:         120
        .size:           8
        .value_kind:     hidden_global_offset_y
      - .offset:         128
        .size:           8
        .value_kind:     hidden_global_offset_z
      - .offset:         136
        .size:           2
        .value_kind:     hidden_grid_dims
    .group_segment_fixed_size: 0
    .kernarg_segment_align: 8
    .kernarg_segment_size: 328
    .language:       OpenCL C
    .language_version:
      - 2
      - 0
    .max_flat_workgroup_size: 1024
    .name:           _ZN9rocsparseL35bsr2csr_block_dim_equals_one_kernelILj1024EiliEEvT2_S1_21rocsparse_index_base_PKT0_PKT1_PKS1_S2_PS3_PS6_PS1_
    .private_segment_fixed_size: 0
    .sgpr_count:     26
    .sgpr_spill_count: 0
    .symbol:         _ZN9rocsparseL35bsr2csr_block_dim_equals_one_kernelILj1024EiliEEvT2_S1_21rocsparse_index_base_PKT0_PKT1_PKS1_S2_PS3_PS6_PS1_.kd
    .uniform_work_group_size: 1
    .uses_dynamic_stack: false
    .vgpr_count:     10
    .vgpr_spill_count: 0
    .wavefront_size: 32
    .workgroup_processor_mode: 1
  - .args:
      - .offset:         0
        .size:           4
        .value_kind:     by_value
      - .offset:         4
        .size:           4
        .value_kind:     by_value
      - .offset:         8
        .size:           4
        .value_kind:     by_value
      - .offset:         12
        .size:           4
        .value_kind:     by_value
      - .actual_access:  read_only
        .address_space:  global
        .offset:         16
        .size:           8
        .value_kind:     global_buffer
      - .actual_access:  read_only
        .address_space:  global
        .offset:         24
        .size:           8
        .value_kind:     global_buffer
      - .actual_access:  read_only
        .address_space:  global
        .offset:         32
        .size:           8
        .value_kind:     global_buffer
      - .offset:         40
        .size:           4
        .value_kind:     by_value
      - .offset:         44
        .size:           4
        .value_kind:     by_value
      - .actual_access:  write_only
        .address_space:  global
        .offset:         48
        .size:           8
        .value_kind:     global_buffer
      - .actual_access:  write_only
        .address_space:  global
        .offset:         56
        .size:           8
        .value_kind:     global_buffer
      - .actual_access:  write_only
        .address_space:  global
        .offset:         64
        .size:           8
        .value_kind:     global_buffer
    .group_segment_fixed_size: 0
    .kernarg_segment_align: 8
    .kernarg_segment_size: 72
    .language:       OpenCL C
    .language_version:
      - 2
      - 0
    .max_flat_workgroup_size: 256
    .name:           _ZN9rocsparseL32bsr2csr_block_per_row_2_7_kernelILj256ELj2EiliEEv20rocsparse_direction_T3_S2_21rocsparse_index_base_PKT1_PKT2_PKS2_S2_S3_PS4_PS7_PS2_
    .private_segment_fixed_size: 0
    .sgpr_count:     20
    .sgpr_spill_count: 0
    .symbol:         _ZN9rocsparseL32bsr2csr_block_per_row_2_7_kernelILj256ELj2EiliEEv20rocsparse_direction_T3_S2_21rocsparse_index_base_PKT1_PKT2_PKS2_S2_S3_PS4_PS7_PS2_.kd
    .uniform_work_group_size: 1
    .uses_dynamic_stack: false
    .vgpr_count:     21
    .vgpr_spill_count: 0
    .wavefront_size: 32
    .workgroup_processor_mode: 1
  - .args:
      - .offset:         0
        .size:           4
        .value_kind:     by_value
      - .offset:         4
        .size:           4
        .value_kind:     by_value
      - .offset:         8
        .size:           4
        .value_kind:     by_value
      - .offset:         12
        .size:           4
        .value_kind:     by_value
      - .actual_access:  read_only
        .address_space:  global
        .offset:         16
        .size:           8
        .value_kind:     global_buffer
      - .actual_access:  read_only
        .address_space:  global
        .offset:         24
        .size:           8
        .value_kind:     global_buffer
      - .actual_access:  read_only
        .address_space:  global
        .offset:         32
        .size:           8
        .value_kind:     global_buffer
      - .offset:         40
        .size:           4
        .value_kind:     by_value
      - .offset:         44
        .size:           4
        .value_kind:     by_value
      - .actual_access:  write_only
        .address_space:  global
        .offset:         48
        .size:           8
        .value_kind:     global_buffer
      - .actual_access:  write_only
        .address_space:  global
        .offset:         56
        .size:           8
        .value_kind:     global_buffer
      - .actual_access:  write_only
        .address_space:  global
        .offset:         64
        .size:           8
        .value_kind:     global_buffer
    .group_segment_fixed_size: 0
    .kernarg_segment_align: 8
    .kernarg_segment_size: 72
    .language:       OpenCL C
    .language_version:
      - 2
      - 0
    .max_flat_workgroup_size: 256
    .name:           _ZN9rocsparseL32bsr2csr_block_per_row_2_7_kernelILj256ELj3EiliEEv20rocsparse_direction_T3_S2_21rocsparse_index_base_PKT1_PKT2_PKS2_S2_S3_PS4_PS7_PS2_
    .private_segment_fixed_size: 0
    .sgpr_count:     17
    .sgpr_spill_count: 0
    .symbol:         _ZN9rocsparseL32bsr2csr_block_per_row_2_7_kernelILj256ELj3EiliEEv20rocsparse_direction_T3_S2_21rocsparse_index_base_PKT1_PKT2_PKS2_S2_S3_PS4_PS7_PS2_.kd
    .uniform_work_group_size: 1
    .uses_dynamic_stack: false
    .vgpr_count:     25
    .vgpr_spill_count: 0
    .wavefront_size: 32
    .workgroup_processor_mode: 1
  - .args:
      - .offset:         0
        .size:           4
        .value_kind:     by_value
      - .offset:         4
        .size:           4
        .value_kind:     by_value
      - .offset:         8
        .size:           4
        .value_kind:     by_value
      - .offset:         12
        .size:           4
        .value_kind:     by_value
      - .actual_access:  read_only
        .address_space:  global
        .offset:         16
        .size:           8
        .value_kind:     global_buffer
      - .actual_access:  read_only
        .address_space:  global
        .offset:         24
        .size:           8
        .value_kind:     global_buffer
      - .actual_access:  read_only
        .address_space:  global
        .offset:         32
        .size:           8
        .value_kind:     global_buffer
      - .offset:         40
        .size:           4
        .value_kind:     by_value
      - .offset:         44
        .size:           4
        .value_kind:     by_value
      - .actual_access:  write_only
        .address_space:  global
        .offset:         48
        .size:           8
        .value_kind:     global_buffer
      - .actual_access:  write_only
        .address_space:  global
        .offset:         56
        .size:           8
        .value_kind:     global_buffer
      - .actual_access:  write_only
        .address_space:  global
        .offset:         64
        .size:           8
        .value_kind:     global_buffer
    .group_segment_fixed_size: 0
    .kernarg_segment_align: 8
    .kernarg_segment_size: 72
    .language:       OpenCL C
    .language_version:
      - 2
      - 0
    .max_flat_workgroup_size: 256
    .name:           _ZN9rocsparseL32bsr2csr_block_per_row_2_7_kernelILj256ELj4EiliEEv20rocsparse_direction_T3_S2_21rocsparse_index_base_PKT1_PKT2_PKS2_S2_S3_PS4_PS7_PS2_
    .private_segment_fixed_size: 0
    .sgpr_count:     22
    .sgpr_spill_count: 0
    .symbol:         _ZN9rocsparseL32bsr2csr_block_per_row_2_7_kernelILj256ELj4EiliEEv20rocsparse_direction_T3_S2_21rocsparse_index_base_PKT1_PKT2_PKS2_S2_S3_PS4_PS7_PS2_.kd
    .uniform_work_group_size: 1
    .uses_dynamic_stack: false
    .vgpr_count:     31
    .vgpr_spill_count: 0
    .wavefront_size: 32
    .workgroup_processor_mode: 1
  - .args:
      - .offset:         0
        .size:           4
        .value_kind:     by_value
      - .offset:         4
        .size:           4
        .value_kind:     by_value
      - .offset:         8
        .size:           4
        .value_kind:     by_value
      - .offset:         12
        .size:           4
        .value_kind:     by_value
      - .actual_access:  read_only
        .address_space:  global
        .offset:         16
        .size:           8
        .value_kind:     global_buffer
      - .actual_access:  read_only
        .address_space:  global
        .offset:         24
        .size:           8
        .value_kind:     global_buffer
      - .actual_access:  read_only
        .address_space:  global
        .offset:         32
        .size:           8
        .value_kind:     global_buffer
      - .offset:         40
        .size:           4
        .value_kind:     by_value
      - .offset:         44
        .size:           4
        .value_kind:     by_value
      - .actual_access:  write_only
        .address_space:  global
        .offset:         48
        .size:           8
        .value_kind:     global_buffer
      - .actual_access:  write_only
        .address_space:  global
        .offset:         56
        .size:           8
        .value_kind:     global_buffer
      - .actual_access:  write_only
        .address_space:  global
        .offset:         64
        .size:           8
        .value_kind:     global_buffer
    .group_segment_fixed_size: 0
    .kernarg_segment_align: 8
    .kernarg_segment_size: 72
    .language:       OpenCL C
    .language_version:
      - 2
      - 0
    .max_flat_workgroup_size: 256
    .name:           _ZN9rocsparseL32bsr2csr_block_per_row_2_7_kernelILj256ELj5EiliEEv20rocsparse_direction_T3_S2_21rocsparse_index_base_PKT1_PKT2_PKS2_S2_S3_PS4_PS7_PS2_
    .private_segment_fixed_size: 0
    .sgpr_count:     17
    .sgpr_spill_count: 0
    .symbol:         _ZN9rocsparseL32bsr2csr_block_per_row_2_7_kernelILj256ELj5EiliEEv20rocsparse_direction_T3_S2_21rocsparse_index_base_PKT1_PKT2_PKS2_S2_S3_PS4_PS7_PS2_.kd
    .uniform_work_group_size: 1
    .uses_dynamic_stack: false
    .vgpr_count:     35
    .vgpr_spill_count: 0
    .wavefront_size: 32
    .workgroup_processor_mode: 1
  - .args:
      - .offset:         0
        .size:           4
        .value_kind:     by_value
      - .offset:         4
        .size:           4
        .value_kind:     by_value
      - .offset:         8
        .size:           4
        .value_kind:     by_value
      - .offset:         12
        .size:           4
        .value_kind:     by_value
      - .actual_access:  read_only
        .address_space:  global
        .offset:         16
        .size:           8
        .value_kind:     global_buffer
      - .actual_access:  read_only
        .address_space:  global
        .offset:         24
        .size:           8
        .value_kind:     global_buffer
      - .actual_access:  read_only
        .address_space:  global
        .offset:         32
        .size:           8
        .value_kind:     global_buffer
      - .offset:         40
        .size:           4
        .value_kind:     by_value
      - .offset:         44
        .size:           4
        .value_kind:     by_value
      - .actual_access:  write_only
        .address_space:  global
        .offset:         48
        .size:           8
        .value_kind:     global_buffer
      - .actual_access:  write_only
        .address_space:  global
        .offset:         56
        .size:           8
        .value_kind:     global_buffer
      - .actual_access:  write_only
        .address_space:  global
        .offset:         64
        .size:           8
        .value_kind:     global_buffer
    .group_segment_fixed_size: 0
    .kernarg_segment_align: 8
    .kernarg_segment_size: 72
    .language:       OpenCL C
    .language_version:
      - 2
      - 0
    .max_flat_workgroup_size: 256
    .name:           _ZN9rocsparseL32bsr2csr_block_per_row_2_7_kernelILj256ELj6EiliEEv20rocsparse_direction_T3_S2_21rocsparse_index_base_PKT1_PKT2_PKS2_S2_S3_PS4_PS7_PS2_
    .private_segment_fixed_size: 0
    .sgpr_count:     17
    .sgpr_spill_count: 0
    .symbol:         _ZN9rocsparseL32bsr2csr_block_per_row_2_7_kernelILj256ELj6EiliEEv20rocsparse_direction_T3_S2_21rocsparse_index_base_PKT1_PKT2_PKS2_S2_S3_PS4_PS7_PS2_.kd
    .uniform_work_group_size: 1
    .uses_dynamic_stack: false
    .vgpr_count:     39
    .vgpr_spill_count: 0
    .wavefront_size: 32
    .workgroup_processor_mode: 1
  - .args:
      - .offset:         0
        .size:           4
        .value_kind:     by_value
      - .offset:         4
        .size:           4
        .value_kind:     by_value
      - .offset:         8
        .size:           4
        .value_kind:     by_value
      - .offset:         12
        .size:           4
        .value_kind:     by_value
      - .actual_access:  read_only
        .address_space:  global
        .offset:         16
        .size:           8
        .value_kind:     global_buffer
      - .actual_access:  read_only
        .address_space:  global
        .offset:         24
        .size:           8
        .value_kind:     global_buffer
      - .actual_access:  read_only
        .address_space:  global
        .offset:         32
        .size:           8
        .value_kind:     global_buffer
      - .offset:         40
        .size:           4
        .value_kind:     by_value
      - .offset:         44
        .size:           4
        .value_kind:     by_value
      - .actual_access:  write_only
        .address_space:  global
        .offset:         48
        .size:           8
        .value_kind:     global_buffer
      - .actual_access:  write_only
        .address_space:  global
        .offset:         56
        .size:           8
        .value_kind:     global_buffer
      - .actual_access:  write_only
        .address_space:  global
        .offset:         64
        .size:           8
        .value_kind:     global_buffer
    .group_segment_fixed_size: 0
    .kernarg_segment_align: 8
    .kernarg_segment_size: 72
    .language:       OpenCL C
    .language_version:
      - 2
      - 0
    .max_flat_workgroup_size: 256
    .name:           _ZN9rocsparseL32bsr2csr_block_per_row_2_7_kernelILj256ELj7EiliEEv20rocsparse_direction_T3_S2_21rocsparse_index_base_PKT1_PKT2_PKS2_S2_S3_PS4_PS7_PS2_
    .private_segment_fixed_size: 0
    .sgpr_count:     17
    .sgpr_spill_count: 0
    .symbol:         _ZN9rocsparseL32bsr2csr_block_per_row_2_7_kernelILj256ELj7EiliEEv20rocsparse_direction_T3_S2_21rocsparse_index_base_PKT1_PKT2_PKS2_S2_S3_PS4_PS7_PS2_.kd
    .uniform_work_group_size: 1
    .uses_dynamic_stack: false
    .vgpr_count:     43
    .vgpr_spill_count: 0
    .wavefront_size: 32
    .workgroup_processor_mode: 1
  - .args:
      - .offset:         0
        .size:           4
        .value_kind:     by_value
      - .offset:         4
        .size:           4
        .value_kind:     by_value
      - .offset:         8
        .size:           4
        .value_kind:     by_value
      - .offset:         12
        .size:           4
        .value_kind:     by_value
      - .actual_access:  read_only
        .address_space:  global
        .offset:         16
        .size:           8
        .value_kind:     global_buffer
      - .actual_access:  read_only
        .address_space:  global
        .offset:         24
        .size:           8
        .value_kind:     global_buffer
      - .actual_access:  read_only
        .address_space:  global
        .offset:         32
        .size:           8
        .value_kind:     global_buffer
      - .offset:         40
        .size:           4
        .value_kind:     by_value
      - .offset:         44
        .size:           4
        .value_kind:     by_value
      - .actual_access:  write_only
        .address_space:  global
        .offset:         48
        .size:           8
        .value_kind:     global_buffer
      - .actual_access:  write_only
        .address_space:  global
        .offset:         56
        .size:           8
        .value_kind:     global_buffer
      - .actual_access:  write_only
        .address_space:  global
        .offset:         64
        .size:           8
        .value_kind:     global_buffer
    .group_segment_fixed_size: 0
    .kernarg_segment_align: 8
    .kernarg_segment_size: 72
    .language:       OpenCL C
    .language_version:
      - 2
      - 0
    .max_flat_workgroup_size: 1024
    .name:           _ZN9rocsparseL33bsr2csr_block_per_row_8_32_kernelILj1024ELj8EiliEEv20rocsparse_direction_T3_S2_21rocsparse_index_base_PKT1_PKT2_PKS2_S2_S3_PS4_PS7_PS2_
    .private_segment_fixed_size: 0
    .sgpr_count:     24
    .sgpr_spill_count: 0
    .symbol:         _ZN9rocsparseL33bsr2csr_block_per_row_8_32_kernelILj1024ELj8EiliEEv20rocsparse_direction_T3_S2_21rocsparse_index_base_PKT1_PKT2_PKS2_S2_S3_PS4_PS7_PS2_.kd
    .uniform_work_group_size: 1
    .uses_dynamic_stack: false
    .vgpr_count:     17
    .vgpr_spill_count: 0
    .wavefront_size: 32
    .workgroup_processor_mode: 1
  - .args:
      - .offset:         0
        .size:           4
        .value_kind:     by_value
      - .offset:         4
        .size:           4
        .value_kind:     by_value
      - .offset:         8
        .size:           4
        .value_kind:     by_value
      - .offset:         12
        .size:           4
        .value_kind:     by_value
      - .actual_access:  read_only
        .address_space:  global
        .offset:         16
        .size:           8
        .value_kind:     global_buffer
      - .actual_access:  read_only
        .address_space:  global
        .offset:         24
        .size:           8
        .value_kind:     global_buffer
      - .actual_access:  read_only
        .address_space:  global
        .offset:         32
        .size:           8
        .value_kind:     global_buffer
      - .offset:         40
        .size:           4
        .value_kind:     by_value
      - .offset:         44
        .size:           4
        .value_kind:     by_value
      - .actual_access:  write_only
        .address_space:  global
        .offset:         48
        .size:           8
        .value_kind:     global_buffer
      - .actual_access:  write_only
        .address_space:  global
        .offset:         56
        .size:           8
        .value_kind:     global_buffer
      - .actual_access:  write_only
        .address_space:  global
        .offset:         64
        .size:           8
        .value_kind:     global_buffer
    .group_segment_fixed_size: 0
    .kernarg_segment_align: 8
    .kernarg_segment_size: 72
    .language:       OpenCL C
    .language_version:
      - 2
      - 0
    .max_flat_workgroup_size: 1024
    .name:           _ZN9rocsparseL33bsr2csr_block_per_row_8_32_kernelILj1024ELj16EiliEEv20rocsparse_direction_T3_S2_21rocsparse_index_base_PKT1_PKT2_PKS2_S2_S3_PS4_PS7_PS2_
    .private_segment_fixed_size: 0
    .sgpr_count:     24
    .sgpr_spill_count: 0
    .symbol:         _ZN9rocsparseL33bsr2csr_block_per_row_8_32_kernelILj1024ELj16EiliEEv20rocsparse_direction_T3_S2_21rocsparse_index_base_PKT1_PKT2_PKS2_S2_S3_PS4_PS7_PS2_.kd
    .uniform_work_group_size: 1
    .uses_dynamic_stack: false
    .vgpr_count:     17
    .vgpr_spill_count: 0
    .wavefront_size: 32
    .workgroup_processor_mode: 1
  - .args:
      - .offset:         0
        .size:           4
        .value_kind:     by_value
      - .offset:         4
        .size:           4
        .value_kind:     by_value
      - .offset:         8
        .size:           4
        .value_kind:     by_value
      - .offset:         12
        .size:           4
        .value_kind:     by_value
      - .actual_access:  read_only
        .address_space:  global
        .offset:         16
        .size:           8
        .value_kind:     global_buffer
      - .actual_access:  read_only
        .address_space:  global
        .offset:         24
        .size:           8
        .value_kind:     global_buffer
      - .actual_access:  read_only
        .address_space:  global
        .offset:         32
        .size:           8
        .value_kind:     global_buffer
      - .offset:         40
        .size:           4
        .value_kind:     by_value
      - .offset:         44
        .size:           4
        .value_kind:     by_value
      - .actual_access:  write_only
        .address_space:  global
        .offset:         48
        .size:           8
        .value_kind:     global_buffer
      - .actual_access:  write_only
        .address_space:  global
        .offset:         56
        .size:           8
        .value_kind:     global_buffer
      - .actual_access:  write_only
        .address_space:  global
        .offset:         64
        .size:           8
        .value_kind:     global_buffer
    .group_segment_fixed_size: 0
    .kernarg_segment_align: 8
    .kernarg_segment_size: 72
    .language:       OpenCL C
    .language_version:
      - 2
      - 0
    .max_flat_workgroup_size: 1024
    .name:           _ZN9rocsparseL33bsr2csr_block_per_row_8_32_kernelILj1024ELj32EiliEEv20rocsparse_direction_T3_S2_21rocsparse_index_base_PKT1_PKT2_PKS2_S2_S3_PS4_PS7_PS2_
    .private_segment_fixed_size: 0
    .sgpr_count:     28
    .sgpr_spill_count: 0
    .symbol:         _ZN9rocsparseL33bsr2csr_block_per_row_8_32_kernelILj1024ELj32EiliEEv20rocsparse_direction_T3_S2_21rocsparse_index_base_PKT1_PKT2_PKS2_S2_S3_PS4_PS7_PS2_.kd
    .uniform_work_group_size: 1
    .uses_dynamic_stack: false
    .vgpr_count:     12
    .vgpr_spill_count: 0
    .wavefront_size: 32
    .workgroup_processor_mode: 1
  - .args:
      - .offset:         0
        .size:           4
        .value_kind:     by_value
      - .offset:         4
        .size:           4
        .value_kind:     by_value
      - .offset:         8
        .size:           4
        .value_kind:     by_value
      - .offset:         12
        .size:           4
        .value_kind:     by_value
      - .actual_access:  read_only
        .address_space:  global
        .offset:         16
        .size:           8
        .value_kind:     global_buffer
      - .actual_access:  read_only
        .address_space:  global
        .offset:         24
        .size:           8
        .value_kind:     global_buffer
      - .actual_access:  read_only
        .address_space:  global
        .offset:         32
        .size:           8
        .value_kind:     global_buffer
      - .offset:         40
        .size:           4
        .value_kind:     by_value
      - .offset:         44
        .size:           4
        .value_kind:     by_value
      - .actual_access:  write_only
        .address_space:  global
        .offset:         48
        .size:           8
        .value_kind:     global_buffer
      - .actual_access:  write_only
        .address_space:  global
        .offset:         56
        .size:           8
        .value_kind:     global_buffer
      - .actual_access:  write_only
        .address_space:  global
        .offset:         64
        .size:           8
        .value_kind:     global_buffer
    .group_segment_fixed_size: 0
    .kernarg_segment_align: 8
    .kernarg_segment_size: 72
    .language:       OpenCL C
    .language_version:
      - 2
      - 0
    .max_flat_workgroup_size: 1024
    .name:           _ZN9rocsparseL35bsr2csr_block_per_row_33_256_kernelILj1024ELj64ELj32EiliEEv20rocsparse_direction_T4_S2_21rocsparse_index_base_PKT2_PKT3_PKS2_S2_S3_PS4_PS7_PS2_
    .private_segment_fixed_size: 0
    .sgpr_count:     40
    .sgpr_spill_count: 0
    .symbol:         _ZN9rocsparseL35bsr2csr_block_per_row_33_256_kernelILj1024ELj64ELj32EiliEEv20rocsparse_direction_T4_S2_21rocsparse_index_base_PKT2_PKT3_PKS2_S2_S3_PS4_PS7_PS2_.kd
    .uniform_work_group_size: 1
    .uses_dynamic_stack: false
    .vgpr_count:     27
    .vgpr_spill_count: 0
    .wavefront_size: 32
    .workgroup_processor_mode: 1
  - .args:
      - .offset:         0
        .size:           4
        .value_kind:     by_value
      - .offset:         4
        .size:           4
        .value_kind:     by_value
      - .offset:         8
        .size:           4
        .value_kind:     by_value
      - .offset:         12
        .size:           4
        .value_kind:     by_value
      - .actual_access:  read_only
        .address_space:  global
        .offset:         16
        .size:           8
        .value_kind:     global_buffer
      - .actual_access:  read_only
        .address_space:  global
        .offset:         24
        .size:           8
        .value_kind:     global_buffer
      - .actual_access:  read_only
        .address_space:  global
        .offset:         32
        .size:           8
        .value_kind:     global_buffer
      - .offset:         40
        .size:           4
        .value_kind:     by_value
      - .offset:         44
        .size:           4
        .value_kind:     by_value
      - .actual_access:  write_only
        .address_space:  global
        .offset:         48
        .size:           8
        .value_kind:     global_buffer
      - .actual_access:  write_only
        .address_space:  global
        .offset:         56
        .size:           8
        .value_kind:     global_buffer
      - .actual_access:  write_only
        .address_space:  global
        .offset:         64
        .size:           8
        .value_kind:     global_buffer
    .group_segment_fixed_size: 0
    .kernarg_segment_align: 8
    .kernarg_segment_size: 72
    .language:       OpenCL C
    .language_version:
      - 2
      - 0
    .max_flat_workgroup_size: 1024
    .name:           _ZN9rocsparseL35bsr2csr_block_per_row_33_256_kernelILj1024ELj128ELj32EiliEEv20rocsparse_direction_T4_S2_21rocsparse_index_base_PKT2_PKT3_PKS2_S2_S3_PS4_PS7_PS2_
    .private_segment_fixed_size: 0
    .sgpr_count:     52
    .sgpr_spill_count: 0
    .symbol:         _ZN9rocsparseL35bsr2csr_block_per_row_33_256_kernelILj1024ELj128ELj32EiliEEv20rocsparse_direction_T4_S2_21rocsparse_index_base_PKT2_PKT3_PKS2_S2_S3_PS4_PS7_PS2_.kd
    .uniform_work_group_size: 1
    .uses_dynamic_stack: false
    .vgpr_count:     45
    .vgpr_spill_count: 0
    .wavefront_size: 32
    .workgroup_processor_mode: 1
  - .args:
      - .offset:         0
        .size:           4
        .value_kind:     by_value
      - .offset:         4
        .size:           4
        .value_kind:     by_value
      - .offset:         8
        .size:           4
        .value_kind:     by_value
      - .offset:         12
        .size:           4
        .value_kind:     by_value
      - .actual_access:  read_only
        .address_space:  global
        .offset:         16
        .size:           8
        .value_kind:     global_buffer
      - .actual_access:  read_only
        .address_space:  global
        .offset:         24
        .size:           8
        .value_kind:     global_buffer
      - .actual_access:  read_only
        .address_space:  global
        .offset:         32
        .size:           8
        .value_kind:     global_buffer
      - .offset:         40
        .size:           4
        .value_kind:     by_value
      - .offset:         44
        .size:           4
        .value_kind:     by_value
      - .actual_access:  write_only
        .address_space:  global
        .offset:         48
        .size:           8
        .value_kind:     global_buffer
      - .actual_access:  write_only
        .address_space:  global
        .offset:         56
        .size:           8
        .value_kind:     global_buffer
      - .actual_access:  write_only
        .address_space:  global
        .offset:         64
        .size:           8
        .value_kind:     global_buffer
    .group_segment_fixed_size: 0
    .kernarg_segment_align: 8
    .kernarg_segment_size: 72
    .language:       OpenCL C
    .language_version:
      - 2
      - 0
    .max_flat_workgroup_size: 1024
    .name:           _ZN9rocsparseL35bsr2csr_block_per_row_33_256_kernelILj1024ELj256ELj32EiliEEv20rocsparse_direction_T4_S2_21rocsparse_index_base_PKT2_PKT3_PKS2_S2_S3_PS4_PS7_PS2_
    .private_segment_fixed_size: 0
    .sgpr_count:     94
    .sgpr_spill_count: 0
    .symbol:         _ZN9rocsparseL35bsr2csr_block_per_row_33_256_kernelILj1024ELj256ELj32EiliEEv20rocsparse_direction_T4_S2_21rocsparse_index_base_PKT2_PKT3_PKS2_S2_S3_PS4_PS7_PS2_.kd
    .uniform_work_group_size: 1
    .uses_dynamic_stack: false
    .vgpr_count:     77
    .vgpr_spill_count: 0
    .wavefront_size: 32
    .workgroup_processor_mode: 1
  - .args:
      - .offset:         0
        .size:           8
        .value_kind:     by_value
      - .offset:         8
        .size:           8
        .value_kind:     by_value
      - .offset:         16
        .size:           4
        .value_kind:     by_value
      - .actual_access:  read_only
        .address_space:  global
        .offset:         24
        .size:           8
        .value_kind:     global_buffer
      - .actual_access:  read_only
        .address_space:  global
        .offset:         32
        .size:           8
        .value_kind:     global_buffer
      - .actual_access:  read_only
        .address_space:  global
        .offset:         40
        .size:           8
        .value_kind:     global_buffer
      - .offset:         48
        .size:           4
        .value_kind:     by_value
      - .actual_access:  write_only
        .address_space:  global
        .offset:         56
        .size:           8
        .value_kind:     global_buffer
      - .actual_access:  write_only
        .address_space:  global
        .offset:         64
        .size:           8
        .value_kind:     global_buffer
      - .actual_access:  write_only
        .address_space:  global
        .offset:         72
        .size:           8
        .value_kind:     global_buffer
      - .offset:         80
        .size:           4
        .value_kind:     hidden_block_count_x
      - .offset:         84
        .size:           4
        .value_kind:     hidden_block_count_y
      - .offset:         88
        .size:           4
        .value_kind:     hidden_block_count_z
      - .offset:         92
        .size:           2
        .value_kind:     hidden_group_size_x
      - .offset:         94
        .size:           2
        .value_kind:     hidden_group_size_y
      - .offset:         96
        .size:           2
        .value_kind:     hidden_group_size_z
      - .offset:         98
        .size:           2
        .value_kind:     hidden_remainder_x
      - .offset:         100
        .size:           2
        .value_kind:     hidden_remainder_y
      - .offset:         102
        .size:           2
        .value_kind:     hidden_remainder_z
      - .offset:         120
        .size:           8
        .value_kind:     hidden_global_offset_x
      - .offset:         128
        .size:           8
        .value_kind:     hidden_global_offset_y
      - .offset:         136
        .size:           8
        .value_kind:     hidden_global_offset_z
      - .offset:         144
        .size:           2
        .value_kind:     hidden_grid_dims
    .group_segment_fixed_size: 0
    .kernarg_segment_align: 8
    .kernarg_segment_size: 336
    .language:       OpenCL C
    .language_version:
      - 2
      - 0
    .max_flat_workgroup_size: 1024
    .name:           _ZN9rocsparseL35bsr2csr_block_dim_equals_one_kernelILj1024EiilEEvT2_S1_21rocsparse_index_base_PKT0_PKT1_PKS1_S2_PS3_PS6_PS1_
    .private_segment_fixed_size: 0
    .sgpr_count:     24
    .sgpr_spill_count: 0
    .symbol:         _ZN9rocsparseL35bsr2csr_block_dim_equals_one_kernelILj1024EiilEEvT2_S1_21rocsparse_index_base_PKT0_PKT1_PKS1_S2_PS3_PS6_PS1_.kd
    .uniform_work_group_size: 1
    .uses_dynamic_stack: false
    .vgpr_count:     13
    .vgpr_spill_count: 0
    .wavefront_size: 32
    .workgroup_processor_mode: 1
  - .args:
      - .offset:         0
        .size:           4
        .value_kind:     by_value
      - .offset:         8
        .size:           8
        .value_kind:     by_value
      - .offset:         16
        .size:           8
        .value_kind:     by_value
      - .offset:         24
        .size:           4
        .value_kind:     by_value
      - .actual_access:  read_only
        .address_space:  global
        .offset:         32
        .size:           8
        .value_kind:     global_buffer
      - .actual_access:  read_only
        .address_space:  global
        .offset:         40
        .size:           8
        .value_kind:     global_buffer
      - .actual_access:  read_only
        .address_space:  global
        .offset:         48
        .size:           8
        .value_kind:     global_buffer
      - .offset:         56
        .size:           8
        .value_kind:     by_value
      - .offset:         64
        .size:           4
        .value_kind:     by_value
      - .actual_access:  write_only
        .address_space:  global
        .offset:         72
        .size:           8
        .value_kind:     global_buffer
      - .actual_access:  write_only
        .address_space:  global
        .offset:         80
        .size:           8
        .value_kind:     global_buffer
      - .actual_access:  write_only
        .address_space:  global
        .offset:         88
        .size:           8
        .value_kind:     global_buffer
    .group_segment_fixed_size: 0
    .kernarg_segment_align: 8
    .kernarg_segment_size: 96
    .language:       OpenCL C
    .language_version:
      - 2
      - 0
    .max_flat_workgroup_size: 256
    .name:           _ZN9rocsparseL32bsr2csr_block_per_row_2_7_kernelILj256ELj2EiilEEv20rocsparse_direction_T3_S2_21rocsparse_index_base_PKT1_PKT2_PKS2_S2_S3_PS4_PS7_PS2_
    .private_segment_fixed_size: 0
    .sgpr_count:     17
    .sgpr_spill_count: 0
    .symbol:         _ZN9rocsparseL32bsr2csr_block_per_row_2_7_kernelILj256ELj2EiilEEv20rocsparse_direction_T3_S2_21rocsparse_index_base_PKT1_PKT2_PKS2_S2_S3_PS4_PS7_PS2_.kd
    .uniform_work_group_size: 1
    .uses_dynamic_stack: false
    .vgpr_count:     19
    .vgpr_spill_count: 0
    .wavefront_size: 32
    .workgroup_processor_mode: 1
  - .args:
      - .offset:         0
        .size:           4
        .value_kind:     by_value
      - .offset:         8
        .size:           8
        .value_kind:     by_value
      - .offset:         16
        .size:           8
        .value_kind:     by_value
      - .offset:         24
        .size:           4
        .value_kind:     by_value
      - .actual_access:  read_only
        .address_space:  global
        .offset:         32
        .size:           8
        .value_kind:     global_buffer
      - .actual_access:  read_only
        .address_space:  global
        .offset:         40
        .size:           8
        .value_kind:     global_buffer
      - .actual_access:  read_only
        .address_space:  global
        .offset:         48
        .size:           8
        .value_kind:     global_buffer
      - .offset:         56
        .size:           8
        .value_kind:     by_value
      - .offset:         64
        .size:           4
        .value_kind:     by_value
      - .actual_access:  write_only
        .address_space:  global
        .offset:         72
        .size:           8
        .value_kind:     global_buffer
      - .actual_access:  write_only
        .address_space:  global
        .offset:         80
        .size:           8
        .value_kind:     global_buffer
      - .actual_access:  write_only
        .address_space:  global
        .offset:         88
        .size:           8
        .value_kind:     global_buffer
    .group_segment_fixed_size: 0
    .kernarg_segment_align: 8
    .kernarg_segment_size: 96
    .language:       OpenCL C
    .language_version:
      - 2
      - 0
    .max_flat_workgroup_size: 256
    .name:           _ZN9rocsparseL32bsr2csr_block_per_row_2_7_kernelILj256ELj3EiilEEv20rocsparse_direction_T3_S2_21rocsparse_index_base_PKT1_PKT2_PKS2_S2_S3_PS4_PS7_PS2_
    .private_segment_fixed_size: 0
    .sgpr_count:     16
    .sgpr_spill_count: 0
    .symbol:         _ZN9rocsparseL32bsr2csr_block_per_row_2_7_kernelILj256ELj3EiilEEv20rocsparse_direction_T3_S2_21rocsparse_index_base_PKT1_PKT2_PKS2_S2_S3_PS4_PS7_PS2_.kd
    .uniform_work_group_size: 1
    .uses_dynamic_stack: false
    .vgpr_count:     23
    .vgpr_spill_count: 0
    .wavefront_size: 32
    .workgroup_processor_mode: 1
  - .args:
      - .offset:         0
        .size:           4
        .value_kind:     by_value
      - .offset:         8
        .size:           8
        .value_kind:     by_value
      - .offset:         16
        .size:           8
        .value_kind:     by_value
      - .offset:         24
        .size:           4
        .value_kind:     by_value
      - .actual_access:  read_only
        .address_space:  global
        .offset:         32
        .size:           8
        .value_kind:     global_buffer
      - .actual_access:  read_only
        .address_space:  global
        .offset:         40
        .size:           8
        .value_kind:     global_buffer
      - .actual_access:  read_only
        .address_space:  global
        .offset:         48
        .size:           8
        .value_kind:     global_buffer
      - .offset:         56
        .size:           8
        .value_kind:     by_value
      - .offset:         64
        .size:           4
        .value_kind:     by_value
      - .actual_access:  write_only
        .address_space:  global
        .offset:         72
        .size:           8
        .value_kind:     global_buffer
      - .actual_access:  write_only
        .address_space:  global
        .offset:         80
        .size:           8
        .value_kind:     global_buffer
      - .actual_access:  write_only
        .address_space:  global
        .offset:         88
        .size:           8
        .value_kind:     global_buffer
    .group_segment_fixed_size: 0
    .kernarg_segment_align: 8
    .kernarg_segment_size: 96
    .language:       OpenCL C
    .language_version:
      - 2
      - 0
    .max_flat_workgroup_size: 256
    .name:           _ZN9rocsparseL32bsr2csr_block_per_row_2_7_kernelILj256ELj4EiilEEv20rocsparse_direction_T3_S2_21rocsparse_index_base_PKT1_PKT2_PKS2_S2_S3_PS4_PS7_PS2_
    .private_segment_fixed_size: 0
    .sgpr_count:     16
    .sgpr_spill_count: 0
    .symbol:         _ZN9rocsparseL32bsr2csr_block_per_row_2_7_kernelILj256ELj4EiilEEv20rocsparse_direction_T3_S2_21rocsparse_index_base_PKT1_PKT2_PKS2_S2_S3_PS4_PS7_PS2_.kd
    .uniform_work_group_size: 1
    .uses_dynamic_stack: false
    .vgpr_count:     27
    .vgpr_spill_count: 0
    .wavefront_size: 32
    .workgroup_processor_mode: 1
  - .args:
      - .offset:         0
        .size:           4
        .value_kind:     by_value
      - .offset:         8
        .size:           8
        .value_kind:     by_value
      - .offset:         16
        .size:           8
        .value_kind:     by_value
      - .offset:         24
        .size:           4
        .value_kind:     by_value
      - .actual_access:  read_only
        .address_space:  global
        .offset:         32
        .size:           8
        .value_kind:     global_buffer
      - .actual_access:  read_only
        .address_space:  global
        .offset:         40
        .size:           8
        .value_kind:     global_buffer
      - .actual_access:  read_only
        .address_space:  global
        .offset:         48
        .size:           8
        .value_kind:     global_buffer
      - .offset:         56
        .size:           8
        .value_kind:     by_value
      - .offset:         64
        .size:           4
        .value_kind:     by_value
      - .actual_access:  write_only
        .address_space:  global
        .offset:         72
        .size:           8
        .value_kind:     global_buffer
      - .actual_access:  write_only
        .address_space:  global
        .offset:         80
        .size:           8
        .value_kind:     global_buffer
      - .actual_access:  write_only
        .address_space:  global
        .offset:         88
        .size:           8
        .value_kind:     global_buffer
    .group_segment_fixed_size: 0
    .kernarg_segment_align: 8
    .kernarg_segment_size: 96
    .language:       OpenCL C
    .language_version:
      - 2
      - 0
    .max_flat_workgroup_size: 256
    .name:           _ZN9rocsparseL32bsr2csr_block_per_row_2_7_kernelILj256ELj5EiilEEv20rocsparse_direction_T3_S2_21rocsparse_index_base_PKT1_PKT2_PKS2_S2_S3_PS4_PS7_PS2_
    .private_segment_fixed_size: 0
    .sgpr_count:     17
    .sgpr_spill_count: 0
    .symbol:         _ZN9rocsparseL32bsr2csr_block_per_row_2_7_kernelILj256ELj5EiilEEv20rocsparse_direction_T3_S2_21rocsparse_index_base_PKT1_PKT2_PKS2_S2_S3_PS4_PS7_PS2_.kd
    .uniform_work_group_size: 1
    .uses_dynamic_stack: false
    .vgpr_count:     30
    .vgpr_spill_count: 0
    .wavefront_size: 32
    .workgroup_processor_mode: 1
  - .args:
      - .offset:         0
        .size:           4
        .value_kind:     by_value
      - .offset:         8
        .size:           8
        .value_kind:     by_value
      - .offset:         16
        .size:           8
        .value_kind:     by_value
      - .offset:         24
        .size:           4
        .value_kind:     by_value
      - .actual_access:  read_only
        .address_space:  global
        .offset:         32
        .size:           8
        .value_kind:     global_buffer
      - .actual_access:  read_only
        .address_space:  global
        .offset:         40
        .size:           8
        .value_kind:     global_buffer
      - .actual_access:  read_only
        .address_space:  global
        .offset:         48
        .size:           8
        .value_kind:     global_buffer
      - .offset:         56
        .size:           8
        .value_kind:     by_value
      - .offset:         64
        .size:           4
        .value_kind:     by_value
      - .actual_access:  write_only
        .address_space:  global
        .offset:         72
        .size:           8
        .value_kind:     global_buffer
      - .actual_access:  write_only
        .address_space:  global
        .offset:         80
        .size:           8
        .value_kind:     global_buffer
      - .actual_access:  write_only
        .address_space:  global
        .offset:         88
        .size:           8
        .value_kind:     global_buffer
    .group_segment_fixed_size: 0
    .kernarg_segment_align: 8
    .kernarg_segment_size: 96
    .language:       OpenCL C
    .language_version:
      - 2
      - 0
    .max_flat_workgroup_size: 256
    .name:           _ZN9rocsparseL32bsr2csr_block_per_row_2_7_kernelILj256ELj6EiilEEv20rocsparse_direction_T3_S2_21rocsparse_index_base_PKT1_PKT2_PKS2_S2_S3_PS4_PS7_PS2_
    .private_segment_fixed_size: 0
    .sgpr_count:     18
    .sgpr_spill_count: 0
    .symbol:         _ZN9rocsparseL32bsr2csr_block_per_row_2_7_kernelILj256ELj6EiilEEv20rocsparse_direction_T3_S2_21rocsparse_index_base_PKT1_PKT2_PKS2_S2_S3_PS4_PS7_PS2_.kd
    .uniform_work_group_size: 1
    .uses_dynamic_stack: false
    .vgpr_count:     35
    .vgpr_spill_count: 0
    .wavefront_size: 32
    .workgroup_processor_mode: 1
  - .args:
      - .offset:         0
        .size:           4
        .value_kind:     by_value
      - .offset:         8
        .size:           8
        .value_kind:     by_value
      - .offset:         16
        .size:           8
        .value_kind:     by_value
      - .offset:         24
        .size:           4
        .value_kind:     by_value
      - .actual_access:  read_only
        .address_space:  global
        .offset:         32
        .size:           8
        .value_kind:     global_buffer
      - .actual_access:  read_only
        .address_space:  global
        .offset:         40
        .size:           8
        .value_kind:     global_buffer
      - .actual_access:  read_only
        .address_space:  global
        .offset:         48
        .size:           8
        .value_kind:     global_buffer
      - .offset:         56
        .size:           8
        .value_kind:     by_value
      - .offset:         64
        .size:           4
        .value_kind:     by_value
      - .actual_access:  write_only
        .address_space:  global
        .offset:         72
        .size:           8
        .value_kind:     global_buffer
      - .actual_access:  write_only
        .address_space:  global
        .offset:         80
        .size:           8
        .value_kind:     global_buffer
      - .actual_access:  write_only
        .address_space:  global
        .offset:         88
        .size:           8
        .value_kind:     global_buffer
    .group_segment_fixed_size: 0
    .kernarg_segment_align: 8
    .kernarg_segment_size: 96
    .language:       OpenCL C
    .language_version:
      - 2
      - 0
    .max_flat_workgroup_size: 256
    .name:           _ZN9rocsparseL32bsr2csr_block_per_row_2_7_kernelILj256ELj7EiilEEv20rocsparse_direction_T3_S2_21rocsparse_index_base_PKT1_PKT2_PKS2_S2_S3_PS4_PS7_PS2_
    .private_segment_fixed_size: 0
    .sgpr_count:     19
    .sgpr_spill_count: 0
    .symbol:         _ZN9rocsparseL32bsr2csr_block_per_row_2_7_kernelILj256ELj7EiilEEv20rocsparse_direction_T3_S2_21rocsparse_index_base_PKT1_PKT2_PKS2_S2_S3_PS4_PS7_PS2_.kd
    .uniform_work_group_size: 1
    .uses_dynamic_stack: false
    .vgpr_count:     38
    .vgpr_spill_count: 0
    .wavefront_size: 32
    .workgroup_processor_mode: 1
  - .args:
      - .offset:         0
        .size:           4
        .value_kind:     by_value
      - .offset:         8
        .size:           8
        .value_kind:     by_value
      - .offset:         16
        .size:           8
        .value_kind:     by_value
      - .offset:         24
        .size:           4
        .value_kind:     by_value
      - .actual_access:  read_only
        .address_space:  global
        .offset:         32
        .size:           8
        .value_kind:     global_buffer
      - .actual_access:  read_only
        .address_space:  global
        .offset:         40
        .size:           8
        .value_kind:     global_buffer
      - .actual_access:  read_only
        .address_space:  global
        .offset:         48
        .size:           8
        .value_kind:     global_buffer
      - .offset:         56
        .size:           8
        .value_kind:     by_value
      - .offset:         64
        .size:           4
        .value_kind:     by_value
      - .actual_access:  write_only
        .address_space:  global
        .offset:         72
        .size:           8
        .value_kind:     global_buffer
      - .actual_access:  write_only
        .address_space:  global
        .offset:         80
        .size:           8
        .value_kind:     global_buffer
      - .actual_access:  write_only
        .address_space:  global
        .offset:         88
        .size:           8
        .value_kind:     global_buffer
    .group_segment_fixed_size: 0
    .kernarg_segment_align: 8
    .kernarg_segment_size: 96
    .language:       OpenCL C
    .language_version:
      - 2
      - 0
    .max_flat_workgroup_size: 1024
    .name:           _ZN9rocsparseL33bsr2csr_block_per_row_8_32_kernelILj1024ELj8EiilEEv20rocsparse_direction_T3_S2_21rocsparse_index_base_PKT1_PKT2_PKS2_S2_S3_PS4_PS7_PS2_
    .private_segment_fixed_size: 0
    .sgpr_count:     22
    .sgpr_spill_count: 0
    .symbol:         _ZN9rocsparseL33bsr2csr_block_per_row_8_32_kernelILj1024ELj8EiilEEv20rocsparse_direction_T3_S2_21rocsparse_index_base_PKT1_PKT2_PKS2_S2_S3_PS4_PS7_PS2_.kd
    .uniform_work_group_size: 1
    .uses_dynamic_stack: false
    .vgpr_count:     16
    .vgpr_spill_count: 0
    .wavefront_size: 32
    .workgroup_processor_mode: 1
  - .args:
      - .offset:         0
        .size:           4
        .value_kind:     by_value
      - .offset:         8
        .size:           8
        .value_kind:     by_value
      - .offset:         16
        .size:           8
        .value_kind:     by_value
      - .offset:         24
        .size:           4
        .value_kind:     by_value
      - .actual_access:  read_only
        .address_space:  global
        .offset:         32
        .size:           8
        .value_kind:     global_buffer
      - .actual_access:  read_only
        .address_space:  global
        .offset:         40
        .size:           8
        .value_kind:     global_buffer
      - .actual_access:  read_only
        .address_space:  global
        .offset:         48
        .size:           8
        .value_kind:     global_buffer
      - .offset:         56
        .size:           8
        .value_kind:     by_value
      - .offset:         64
        .size:           4
        .value_kind:     by_value
      - .actual_access:  write_only
        .address_space:  global
        .offset:         72
        .size:           8
        .value_kind:     global_buffer
      - .actual_access:  write_only
        .address_space:  global
        .offset:         80
        .size:           8
        .value_kind:     global_buffer
      - .actual_access:  write_only
        .address_space:  global
        .offset:         88
        .size:           8
        .value_kind:     global_buffer
    .group_segment_fixed_size: 0
    .kernarg_segment_align: 8
    .kernarg_segment_size: 96
    .language:       OpenCL C
    .language_version:
      - 2
      - 0
    .max_flat_workgroup_size: 1024
    .name:           _ZN9rocsparseL33bsr2csr_block_per_row_8_32_kernelILj1024ELj16EiilEEv20rocsparse_direction_T3_S2_21rocsparse_index_base_PKT1_PKT2_PKS2_S2_S3_PS4_PS7_PS2_
    .private_segment_fixed_size: 0
    .sgpr_count:     22
    .sgpr_spill_count: 0
    .symbol:         _ZN9rocsparseL33bsr2csr_block_per_row_8_32_kernelILj1024ELj16EiilEEv20rocsparse_direction_T3_S2_21rocsparse_index_base_PKT1_PKT2_PKS2_S2_S3_PS4_PS7_PS2_.kd
    .uniform_work_group_size: 1
    .uses_dynamic_stack: false
    .vgpr_count:     16
    .vgpr_spill_count: 0
    .wavefront_size: 32
    .workgroup_processor_mode: 1
  - .args:
      - .offset:         0
        .size:           4
        .value_kind:     by_value
      - .offset:         8
        .size:           8
        .value_kind:     by_value
      - .offset:         16
        .size:           8
        .value_kind:     by_value
      - .offset:         24
        .size:           4
        .value_kind:     by_value
      - .actual_access:  read_only
        .address_space:  global
        .offset:         32
        .size:           8
        .value_kind:     global_buffer
      - .actual_access:  read_only
        .address_space:  global
        .offset:         40
        .size:           8
        .value_kind:     global_buffer
      - .actual_access:  read_only
        .address_space:  global
        .offset:         48
        .size:           8
        .value_kind:     global_buffer
      - .offset:         56
        .size:           8
        .value_kind:     by_value
      - .offset:         64
        .size:           4
        .value_kind:     by_value
      - .actual_access:  write_only
        .address_space:  global
        .offset:         72
        .size:           8
        .value_kind:     global_buffer
      - .actual_access:  write_only
        .address_space:  global
        .offset:         80
        .size:           8
        .value_kind:     global_buffer
      - .actual_access:  write_only
        .address_space:  global
        .offset:         88
        .size:           8
        .value_kind:     global_buffer
    .group_segment_fixed_size: 0
    .kernarg_segment_align: 8
    .kernarg_segment_size: 96
    .language:       OpenCL C
    .language_version:
      - 2
      - 0
    .max_flat_workgroup_size: 1024
    .name:           _ZN9rocsparseL33bsr2csr_block_per_row_8_32_kernelILj1024ELj32EiilEEv20rocsparse_direction_T3_S2_21rocsparse_index_base_PKT1_PKT2_PKS2_S2_S3_PS4_PS7_PS2_
    .private_segment_fixed_size: 0
    .sgpr_count:     21
    .sgpr_spill_count: 0
    .symbol:         _ZN9rocsparseL33bsr2csr_block_per_row_8_32_kernelILj1024ELj32EiilEEv20rocsparse_direction_T3_S2_21rocsparse_index_base_PKT1_PKT2_PKS2_S2_S3_PS4_PS7_PS2_.kd
    .uniform_work_group_size: 1
    .uses_dynamic_stack: false
    .vgpr_count:     13
    .vgpr_spill_count: 0
    .wavefront_size: 32
    .workgroup_processor_mode: 1
  - .args:
      - .offset:         0
        .size:           4
        .value_kind:     by_value
      - .offset:         8
        .size:           8
        .value_kind:     by_value
      - .offset:         16
        .size:           8
        .value_kind:     by_value
      - .offset:         24
        .size:           4
        .value_kind:     by_value
      - .actual_access:  read_only
        .address_space:  global
        .offset:         32
        .size:           8
        .value_kind:     global_buffer
      - .actual_access:  read_only
        .address_space:  global
        .offset:         40
        .size:           8
        .value_kind:     global_buffer
      - .actual_access:  read_only
        .address_space:  global
        .offset:         48
        .size:           8
        .value_kind:     global_buffer
      - .offset:         56
        .size:           8
        .value_kind:     by_value
      - .offset:         64
        .size:           4
        .value_kind:     by_value
      - .actual_access:  write_only
        .address_space:  global
        .offset:         72
        .size:           8
        .value_kind:     global_buffer
      - .actual_access:  write_only
        .address_space:  global
        .offset:         80
        .size:           8
        .value_kind:     global_buffer
      - .actual_access:  write_only
        .address_space:  global
        .offset:         88
        .size:           8
        .value_kind:     global_buffer
    .group_segment_fixed_size: 0
    .kernarg_segment_align: 8
    .kernarg_segment_size: 96
    .language:       OpenCL C
    .language_version:
      - 2
      - 0
    .max_flat_workgroup_size: 1024
    .name:           _ZN9rocsparseL35bsr2csr_block_per_row_33_256_kernelILj1024ELj64ELj32EiilEEv20rocsparse_direction_T4_S2_21rocsparse_index_base_PKT2_PKT3_PKS2_S2_S3_PS4_PS7_PS2_
    .private_segment_fixed_size: 0
    .sgpr_count:     28
    .sgpr_spill_count: 0
    .symbol:         _ZN9rocsparseL35bsr2csr_block_per_row_33_256_kernelILj1024ELj64ELj32EiilEEv20rocsparse_direction_T4_S2_21rocsparse_index_base_PKT2_PKT3_PKS2_S2_S3_PS4_PS7_PS2_.kd
    .uniform_work_group_size: 1
    .uses_dynamic_stack: false
    .vgpr_count:     22
    .vgpr_spill_count: 0
    .wavefront_size: 32
    .workgroup_processor_mode: 1
  - .args:
      - .offset:         0
        .size:           4
        .value_kind:     by_value
      - .offset:         8
        .size:           8
        .value_kind:     by_value
      - .offset:         16
        .size:           8
        .value_kind:     by_value
      - .offset:         24
        .size:           4
        .value_kind:     by_value
      - .actual_access:  read_only
        .address_space:  global
        .offset:         32
        .size:           8
        .value_kind:     global_buffer
      - .actual_access:  read_only
        .address_space:  global
        .offset:         40
        .size:           8
        .value_kind:     global_buffer
      - .actual_access:  read_only
        .address_space:  global
        .offset:         48
        .size:           8
        .value_kind:     global_buffer
      - .offset:         56
        .size:           8
        .value_kind:     by_value
      - .offset:         64
        .size:           4
        .value_kind:     by_value
      - .actual_access:  write_only
        .address_space:  global
        .offset:         72
        .size:           8
        .value_kind:     global_buffer
      - .actual_access:  write_only
        .address_space:  global
        .offset:         80
        .size:           8
        .value_kind:     global_buffer
      - .actual_access:  write_only
        .address_space:  global
        .offset:         88
        .size:           8
        .value_kind:     global_buffer
    .group_segment_fixed_size: 0
    .kernarg_segment_align: 8
    .kernarg_segment_size: 96
    .language:       OpenCL C
    .language_version:
      - 2
      - 0
    .max_flat_workgroup_size: 1024
    .name:           _ZN9rocsparseL35bsr2csr_block_per_row_33_256_kernelILj1024ELj128ELj32EiilEEv20rocsparse_direction_T4_S2_21rocsparse_index_base_PKT2_PKT3_PKS2_S2_S3_PS4_PS7_PS2_
    .private_segment_fixed_size: 0
    .sgpr_count:     44
    .sgpr_spill_count: 0
    .symbol:         _ZN9rocsparseL35bsr2csr_block_per_row_33_256_kernelILj1024ELj128ELj32EiilEEv20rocsparse_direction_T4_S2_21rocsparse_index_base_PKT2_PKT3_PKS2_S2_S3_PS4_PS7_PS2_.kd
    .uniform_work_group_size: 1
    .uses_dynamic_stack: false
    .vgpr_count:     46
    .vgpr_spill_count: 0
    .wavefront_size: 32
    .workgroup_processor_mode: 1
  - .args:
      - .offset:         0
        .size:           4
        .value_kind:     by_value
      - .offset:         8
        .size:           8
        .value_kind:     by_value
      - .offset:         16
        .size:           8
        .value_kind:     by_value
      - .offset:         24
        .size:           4
        .value_kind:     by_value
      - .actual_access:  read_only
        .address_space:  global
        .offset:         32
        .size:           8
        .value_kind:     global_buffer
      - .actual_access:  read_only
        .address_space:  global
        .offset:         40
        .size:           8
        .value_kind:     global_buffer
      - .actual_access:  read_only
        .address_space:  global
        .offset:         48
        .size:           8
        .value_kind:     global_buffer
      - .offset:         56
        .size:           8
        .value_kind:     by_value
      - .offset:         64
        .size:           4
        .value_kind:     by_value
      - .actual_access:  write_only
        .address_space:  global
        .offset:         72
        .size:           8
        .value_kind:     global_buffer
      - .actual_access:  write_only
        .address_space:  global
        .offset:         80
        .size:           8
        .value_kind:     global_buffer
      - .actual_access:  write_only
        .address_space:  global
        .offset:         88
        .size:           8
        .value_kind:     global_buffer
    .group_segment_fixed_size: 0
    .kernarg_segment_align: 8
    .kernarg_segment_size: 96
    .language:       OpenCL C
    .language_version:
      - 2
      - 0
    .max_flat_workgroup_size: 1024
    .name:           _ZN9rocsparseL35bsr2csr_block_per_row_33_256_kernelILj1024ELj256ELj32EiilEEv20rocsparse_direction_T4_S2_21rocsparse_index_base_PKT2_PKT3_PKS2_S2_S3_PS4_PS7_PS2_
    .private_segment_fixed_size: 0
    .sgpr_count:     91
    .sgpr_spill_count: 0
    .symbol:         _ZN9rocsparseL35bsr2csr_block_per_row_33_256_kernelILj1024ELj256ELj32EiilEEv20rocsparse_direction_T4_S2_21rocsparse_index_base_PKT2_PKT3_PKS2_S2_S3_PS4_PS7_PS2_.kd
    .uniform_work_group_size: 1
    .uses_dynamic_stack: false
    .vgpr_count:     78
    .vgpr_spill_count: 0
    .wavefront_size: 32
    .workgroup_processor_mode: 1
  - .args:
      - .offset:         0
        .size:           8
        .value_kind:     by_value
      - .offset:         8
        .size:           8
        .value_kind:     by_value
      - .offset:         16
        .size:           4
        .value_kind:     by_value
      - .actual_access:  read_only
        .address_space:  global
        .offset:         24
        .size:           8
        .value_kind:     global_buffer
      - .actual_access:  read_only
        .address_space:  global
        .offset:         32
        .size:           8
        .value_kind:     global_buffer
      - .actual_access:  read_only
        .address_space:  global
        .offset:         40
        .size:           8
        .value_kind:     global_buffer
      - .offset:         48
        .size:           4
        .value_kind:     by_value
      - .actual_access:  write_only
        .address_space:  global
        .offset:         56
        .size:           8
        .value_kind:     global_buffer
      - .actual_access:  write_only
        .address_space:  global
        .offset:         64
        .size:           8
        .value_kind:     global_buffer
      - .actual_access:  write_only
        .address_space:  global
        .offset:         72
        .size:           8
        .value_kind:     global_buffer
      - .offset:         80
        .size:           4
        .value_kind:     hidden_block_count_x
      - .offset:         84
        .size:           4
        .value_kind:     hidden_block_count_y
      - .offset:         88
        .size:           4
        .value_kind:     hidden_block_count_z
      - .offset:         92
        .size:           2
        .value_kind:     hidden_group_size_x
      - .offset:         94
        .size:           2
        .value_kind:     hidden_group_size_y
      - .offset:         96
        .size:           2
        .value_kind:     hidden_group_size_z
      - .offset:         98
        .size:           2
        .value_kind:     hidden_remainder_x
      - .offset:         100
        .size:           2
        .value_kind:     hidden_remainder_y
      - .offset:         102
        .size:           2
        .value_kind:     hidden_remainder_z
      - .offset:         120
        .size:           8
        .value_kind:     hidden_global_offset_x
      - .offset:         128
        .size:           8
        .value_kind:     hidden_global_offset_y
      - .offset:         136
        .size:           8
        .value_kind:     hidden_global_offset_z
      - .offset:         144
        .size:           2
        .value_kind:     hidden_grid_dims
    .group_segment_fixed_size: 0
    .kernarg_segment_align: 8
    .kernarg_segment_size: 336
    .language:       OpenCL C
    .language_version:
      - 2
      - 0
    .max_flat_workgroup_size: 1024
    .name:           _ZN9rocsparseL35bsr2csr_block_dim_equals_one_kernelILj1024EillEEvT2_S1_21rocsparse_index_base_PKT0_PKT1_PKS1_S2_PS3_PS6_PS1_
    .private_segment_fixed_size: 0
    .sgpr_count:     26
    .sgpr_spill_count: 0
    .symbol:         _ZN9rocsparseL35bsr2csr_block_dim_equals_one_kernelILj1024EillEEvT2_S1_21rocsparse_index_base_PKT0_PKT1_PKS1_S2_PS3_PS6_PS1_.kd
    .uniform_work_group_size: 1
    .uses_dynamic_stack: false
    .vgpr_count:     13
    .vgpr_spill_count: 0
    .wavefront_size: 32
    .workgroup_processor_mode: 1
  - .args:
      - .offset:         0
        .size:           4
        .value_kind:     by_value
      - .offset:         8
        .size:           8
        .value_kind:     by_value
      - .offset:         16
        .size:           8
        .value_kind:     by_value
      - .offset:         24
        .size:           4
        .value_kind:     by_value
      - .actual_access:  read_only
        .address_space:  global
        .offset:         32
        .size:           8
        .value_kind:     global_buffer
      - .actual_access:  read_only
        .address_space:  global
        .offset:         40
        .size:           8
        .value_kind:     global_buffer
      - .actual_access:  read_only
        .address_space:  global
        .offset:         48
        .size:           8
        .value_kind:     global_buffer
      - .offset:         56
        .size:           8
        .value_kind:     by_value
      - .offset:         64
        .size:           4
        .value_kind:     by_value
      - .actual_access:  write_only
        .address_space:  global
        .offset:         72
        .size:           8
        .value_kind:     global_buffer
      - .actual_access:  write_only
        .address_space:  global
        .offset:         80
        .size:           8
        .value_kind:     global_buffer
      - .actual_access:  write_only
        .address_space:  global
        .offset:         88
        .size:           8
        .value_kind:     global_buffer
    .group_segment_fixed_size: 0
    .kernarg_segment_align: 8
    .kernarg_segment_size: 96
    .language:       OpenCL C
    .language_version:
      - 2
      - 0
    .max_flat_workgroup_size: 256
    .name:           _ZN9rocsparseL32bsr2csr_block_per_row_2_7_kernelILj256ELj2EillEEv20rocsparse_direction_T3_S2_21rocsparse_index_base_PKT1_PKT2_PKS2_S2_S3_PS4_PS7_PS2_
    .private_segment_fixed_size: 0
    .sgpr_count:     22
    .sgpr_spill_count: 0
    .symbol:         _ZN9rocsparseL32bsr2csr_block_per_row_2_7_kernelILj256ELj2EillEEv20rocsparse_direction_T3_S2_21rocsparse_index_base_PKT1_PKT2_PKS2_S2_S3_PS4_PS7_PS2_.kd
    .uniform_work_group_size: 1
    .uses_dynamic_stack: false
    .vgpr_count:     22
    .vgpr_spill_count: 0
    .wavefront_size: 32
    .workgroup_processor_mode: 1
  - .args:
      - .offset:         0
        .size:           4
        .value_kind:     by_value
      - .offset:         8
        .size:           8
        .value_kind:     by_value
      - .offset:         16
        .size:           8
        .value_kind:     by_value
      - .offset:         24
        .size:           4
        .value_kind:     by_value
      - .actual_access:  read_only
        .address_space:  global
        .offset:         32
        .size:           8
        .value_kind:     global_buffer
      - .actual_access:  read_only
        .address_space:  global
        .offset:         40
        .size:           8
        .value_kind:     global_buffer
      - .actual_access:  read_only
        .address_space:  global
        .offset:         48
        .size:           8
        .value_kind:     global_buffer
      - .offset:         56
        .size:           8
        .value_kind:     by_value
      - .offset:         64
        .size:           4
        .value_kind:     by_value
      - .actual_access:  write_only
        .address_space:  global
        .offset:         72
        .size:           8
        .value_kind:     global_buffer
      - .actual_access:  write_only
        .address_space:  global
        .offset:         80
        .size:           8
        .value_kind:     global_buffer
      - .actual_access:  write_only
        .address_space:  global
        .offset:         88
        .size:           8
        .value_kind:     global_buffer
    .group_segment_fixed_size: 0
    .kernarg_segment_align: 8
    .kernarg_segment_size: 96
    .language:       OpenCL C
    .language_version:
      - 2
      - 0
    .max_flat_workgroup_size: 256
    .name:           _ZN9rocsparseL32bsr2csr_block_per_row_2_7_kernelILj256ELj3EillEEv20rocsparse_direction_T3_S2_21rocsparse_index_base_PKT1_PKT2_PKS2_S2_S3_PS4_PS7_PS2_
    .private_segment_fixed_size: 0
    .sgpr_count:     21
    .sgpr_spill_count: 0
    .symbol:         _ZN9rocsparseL32bsr2csr_block_per_row_2_7_kernelILj256ELj3EillEEv20rocsparse_direction_T3_S2_21rocsparse_index_base_PKT1_PKT2_PKS2_S2_S3_PS4_PS7_PS2_.kd
    .uniform_work_group_size: 1
    .uses_dynamic_stack: false
    .vgpr_count:     27
    .vgpr_spill_count: 0
    .wavefront_size: 32
    .workgroup_processor_mode: 1
  - .args:
      - .offset:         0
        .size:           4
        .value_kind:     by_value
      - .offset:         8
        .size:           8
        .value_kind:     by_value
      - .offset:         16
        .size:           8
        .value_kind:     by_value
      - .offset:         24
        .size:           4
        .value_kind:     by_value
      - .actual_access:  read_only
        .address_space:  global
        .offset:         32
        .size:           8
        .value_kind:     global_buffer
      - .actual_access:  read_only
        .address_space:  global
        .offset:         40
        .size:           8
        .value_kind:     global_buffer
      - .actual_access:  read_only
        .address_space:  global
        .offset:         48
        .size:           8
        .value_kind:     global_buffer
      - .offset:         56
        .size:           8
        .value_kind:     by_value
      - .offset:         64
        .size:           4
        .value_kind:     by_value
      - .actual_access:  write_only
        .address_space:  global
        .offset:         72
        .size:           8
        .value_kind:     global_buffer
      - .actual_access:  write_only
        .address_space:  global
        .offset:         80
        .size:           8
        .value_kind:     global_buffer
      - .actual_access:  write_only
        .address_space:  global
        .offset:         88
        .size:           8
        .value_kind:     global_buffer
    .group_segment_fixed_size: 0
    .kernarg_segment_align: 8
    .kernarg_segment_size: 96
    .language:       OpenCL C
    .language_version:
      - 2
      - 0
    .max_flat_workgroup_size: 256
    .name:           _ZN9rocsparseL32bsr2csr_block_per_row_2_7_kernelILj256ELj4EillEEv20rocsparse_direction_T3_S2_21rocsparse_index_base_PKT1_PKT2_PKS2_S2_S3_PS4_PS7_PS2_
    .private_segment_fixed_size: 0
    .sgpr_count:     24
    .sgpr_spill_count: 0
    .symbol:         _ZN9rocsparseL32bsr2csr_block_per_row_2_7_kernelILj256ELj4EillEEv20rocsparse_direction_T3_S2_21rocsparse_index_base_PKT1_PKT2_PKS2_S2_S3_PS4_PS7_PS2_.kd
    .uniform_work_group_size: 1
    .uses_dynamic_stack: false
    .vgpr_count:     30
    .vgpr_spill_count: 0
    .wavefront_size: 32
    .workgroup_processor_mode: 1
  - .args:
      - .offset:         0
        .size:           4
        .value_kind:     by_value
      - .offset:         8
        .size:           8
        .value_kind:     by_value
      - .offset:         16
        .size:           8
        .value_kind:     by_value
      - .offset:         24
        .size:           4
        .value_kind:     by_value
      - .actual_access:  read_only
        .address_space:  global
        .offset:         32
        .size:           8
        .value_kind:     global_buffer
      - .actual_access:  read_only
        .address_space:  global
        .offset:         40
        .size:           8
        .value_kind:     global_buffer
      - .actual_access:  read_only
        .address_space:  global
        .offset:         48
        .size:           8
        .value_kind:     global_buffer
      - .offset:         56
        .size:           8
        .value_kind:     by_value
      - .offset:         64
        .size:           4
        .value_kind:     by_value
      - .actual_access:  write_only
        .address_space:  global
        .offset:         72
        .size:           8
        .value_kind:     global_buffer
      - .actual_access:  write_only
        .address_space:  global
        .offset:         80
        .size:           8
        .value_kind:     global_buffer
      - .actual_access:  write_only
        .address_space:  global
        .offset:         88
        .size:           8
        .value_kind:     global_buffer
    .group_segment_fixed_size: 0
    .kernarg_segment_align: 8
    .kernarg_segment_size: 96
    .language:       OpenCL C
    .language_version:
      - 2
      - 0
    .max_flat_workgroup_size: 256
    .name:           _ZN9rocsparseL32bsr2csr_block_per_row_2_7_kernelILj256ELj5EillEEv20rocsparse_direction_T3_S2_21rocsparse_index_base_PKT1_PKT2_PKS2_S2_S3_PS4_PS7_PS2_
    .private_segment_fixed_size: 0
    .sgpr_count:     21
    .sgpr_spill_count: 0
    .symbol:         _ZN9rocsparseL32bsr2csr_block_per_row_2_7_kernelILj256ELj5EillEEv20rocsparse_direction_T3_S2_21rocsparse_index_base_PKT1_PKT2_PKS2_S2_S3_PS4_PS7_PS2_.kd
    .uniform_work_group_size: 1
    .uses_dynamic_stack: false
    .vgpr_count:     37
    .vgpr_spill_count: 0
    .wavefront_size: 32
    .workgroup_processor_mode: 1
  - .args:
      - .offset:         0
        .size:           4
        .value_kind:     by_value
      - .offset:         8
        .size:           8
        .value_kind:     by_value
      - .offset:         16
        .size:           8
        .value_kind:     by_value
      - .offset:         24
        .size:           4
        .value_kind:     by_value
      - .actual_access:  read_only
        .address_space:  global
        .offset:         32
        .size:           8
        .value_kind:     global_buffer
      - .actual_access:  read_only
        .address_space:  global
        .offset:         40
        .size:           8
        .value_kind:     global_buffer
      - .actual_access:  read_only
        .address_space:  global
        .offset:         48
        .size:           8
        .value_kind:     global_buffer
      - .offset:         56
        .size:           8
        .value_kind:     by_value
      - .offset:         64
        .size:           4
        .value_kind:     by_value
      - .actual_access:  write_only
        .address_space:  global
        .offset:         72
        .size:           8
        .value_kind:     global_buffer
      - .actual_access:  write_only
        .address_space:  global
        .offset:         80
        .size:           8
        .value_kind:     global_buffer
      - .actual_access:  write_only
        .address_space:  global
        .offset:         88
        .size:           8
        .value_kind:     global_buffer
    .group_segment_fixed_size: 0
    .kernarg_segment_align: 8
    .kernarg_segment_size: 96
    .language:       OpenCL C
    .language_version:
      - 2
      - 0
    .max_flat_workgroup_size: 256
    .name:           _ZN9rocsparseL32bsr2csr_block_per_row_2_7_kernelILj256ELj6EillEEv20rocsparse_direction_T3_S2_21rocsparse_index_base_PKT1_PKT2_PKS2_S2_S3_PS4_PS7_PS2_
    .private_segment_fixed_size: 0
    .sgpr_count:     21
    .sgpr_spill_count: 0
    .symbol:         _ZN9rocsparseL32bsr2csr_block_per_row_2_7_kernelILj256ELj6EillEEv20rocsparse_direction_T3_S2_21rocsparse_index_base_PKT1_PKT2_PKS2_S2_S3_PS4_PS7_PS2_.kd
    .uniform_work_group_size: 1
    .uses_dynamic_stack: false
    .vgpr_count:     37
    .vgpr_spill_count: 0
    .wavefront_size: 32
    .workgroup_processor_mode: 1
  - .args:
      - .offset:         0
        .size:           4
        .value_kind:     by_value
      - .offset:         8
        .size:           8
        .value_kind:     by_value
      - .offset:         16
        .size:           8
        .value_kind:     by_value
      - .offset:         24
        .size:           4
        .value_kind:     by_value
      - .actual_access:  read_only
        .address_space:  global
        .offset:         32
        .size:           8
        .value_kind:     global_buffer
      - .actual_access:  read_only
        .address_space:  global
        .offset:         40
        .size:           8
        .value_kind:     global_buffer
      - .actual_access:  read_only
        .address_space:  global
        .offset:         48
        .size:           8
        .value_kind:     global_buffer
      - .offset:         56
        .size:           8
        .value_kind:     by_value
      - .offset:         64
        .size:           4
        .value_kind:     by_value
      - .actual_access:  write_only
        .address_space:  global
        .offset:         72
        .size:           8
        .value_kind:     global_buffer
      - .actual_access:  write_only
        .address_space:  global
        .offset:         80
        .size:           8
        .value_kind:     global_buffer
      - .actual_access:  write_only
        .address_space:  global
        .offset:         88
        .size:           8
        .value_kind:     global_buffer
    .group_segment_fixed_size: 0
    .kernarg_segment_align: 8
    .kernarg_segment_size: 96
    .language:       OpenCL C
    .language_version:
      - 2
      - 0
    .max_flat_workgroup_size: 256
    .name:           _ZN9rocsparseL32bsr2csr_block_per_row_2_7_kernelILj256ELj7EillEEv20rocsparse_direction_T3_S2_21rocsparse_index_base_PKT1_PKT2_PKS2_S2_S3_PS4_PS7_PS2_
    .private_segment_fixed_size: 0
    .sgpr_count:     21
    .sgpr_spill_count: 0
    .symbol:         _ZN9rocsparseL32bsr2csr_block_per_row_2_7_kernelILj256ELj7EillEEv20rocsparse_direction_T3_S2_21rocsparse_index_base_PKT1_PKT2_PKS2_S2_S3_PS4_PS7_PS2_.kd
    .uniform_work_group_size: 1
    .uses_dynamic_stack: false
    .vgpr_count:     41
    .vgpr_spill_count: 0
    .wavefront_size: 32
    .workgroup_processor_mode: 1
  - .args:
      - .offset:         0
        .size:           4
        .value_kind:     by_value
      - .offset:         8
        .size:           8
        .value_kind:     by_value
      - .offset:         16
        .size:           8
        .value_kind:     by_value
      - .offset:         24
        .size:           4
        .value_kind:     by_value
      - .actual_access:  read_only
        .address_space:  global
        .offset:         32
        .size:           8
        .value_kind:     global_buffer
      - .actual_access:  read_only
        .address_space:  global
        .offset:         40
        .size:           8
        .value_kind:     global_buffer
      - .actual_access:  read_only
        .address_space:  global
        .offset:         48
        .size:           8
        .value_kind:     global_buffer
      - .offset:         56
        .size:           8
        .value_kind:     by_value
      - .offset:         64
        .size:           4
        .value_kind:     by_value
      - .actual_access:  write_only
        .address_space:  global
        .offset:         72
        .size:           8
        .value_kind:     global_buffer
      - .actual_access:  write_only
        .address_space:  global
        .offset:         80
        .size:           8
        .value_kind:     global_buffer
      - .actual_access:  write_only
        .address_space:  global
        .offset:         88
        .size:           8
        .value_kind:     global_buffer
    .group_segment_fixed_size: 0
    .kernarg_segment_align: 8
    .kernarg_segment_size: 96
    .language:       OpenCL C
    .language_version:
      - 2
      - 0
    .max_flat_workgroup_size: 1024
    .name:           _ZN9rocsparseL33bsr2csr_block_per_row_8_32_kernelILj1024ELj8EillEEv20rocsparse_direction_T3_S2_21rocsparse_index_base_PKT1_PKT2_PKS2_S2_S3_PS4_PS7_PS2_
    .private_segment_fixed_size: 0
    .sgpr_count:     25
    .sgpr_spill_count: 0
    .symbol:         _ZN9rocsparseL33bsr2csr_block_per_row_8_32_kernelILj1024ELj8EillEEv20rocsparse_direction_T3_S2_21rocsparse_index_base_PKT1_PKT2_PKS2_S2_S3_PS4_PS7_PS2_.kd
    .uniform_work_group_size: 1
    .uses_dynamic_stack: false
    .vgpr_count:     17
    .vgpr_spill_count: 0
    .wavefront_size: 32
    .workgroup_processor_mode: 1
  - .args:
      - .offset:         0
        .size:           4
        .value_kind:     by_value
      - .offset:         8
        .size:           8
        .value_kind:     by_value
      - .offset:         16
        .size:           8
        .value_kind:     by_value
      - .offset:         24
        .size:           4
        .value_kind:     by_value
      - .actual_access:  read_only
        .address_space:  global
        .offset:         32
        .size:           8
        .value_kind:     global_buffer
      - .actual_access:  read_only
        .address_space:  global
        .offset:         40
        .size:           8
        .value_kind:     global_buffer
      - .actual_access:  read_only
        .address_space:  global
        .offset:         48
        .size:           8
        .value_kind:     global_buffer
      - .offset:         56
        .size:           8
        .value_kind:     by_value
      - .offset:         64
        .size:           4
        .value_kind:     by_value
      - .actual_access:  write_only
        .address_space:  global
        .offset:         72
        .size:           8
        .value_kind:     global_buffer
      - .actual_access:  write_only
        .address_space:  global
        .offset:         80
        .size:           8
        .value_kind:     global_buffer
      - .actual_access:  write_only
        .address_space:  global
        .offset:         88
        .size:           8
        .value_kind:     global_buffer
    .group_segment_fixed_size: 0
    .kernarg_segment_align: 8
    .kernarg_segment_size: 96
    .language:       OpenCL C
    .language_version:
      - 2
      - 0
    .max_flat_workgroup_size: 1024
    .name:           _ZN9rocsparseL33bsr2csr_block_per_row_8_32_kernelILj1024ELj16EillEEv20rocsparse_direction_T3_S2_21rocsparse_index_base_PKT1_PKT2_PKS2_S2_S3_PS4_PS7_PS2_
    .private_segment_fixed_size: 0
    .sgpr_count:     25
    .sgpr_spill_count: 0
    .symbol:         _ZN9rocsparseL33bsr2csr_block_per_row_8_32_kernelILj1024ELj16EillEEv20rocsparse_direction_T3_S2_21rocsparse_index_base_PKT1_PKT2_PKS2_S2_S3_PS4_PS7_PS2_.kd
    .uniform_work_group_size: 1
    .uses_dynamic_stack: false
    .vgpr_count:     17
    .vgpr_spill_count: 0
    .wavefront_size: 32
    .workgroup_processor_mode: 1
  - .args:
      - .offset:         0
        .size:           4
        .value_kind:     by_value
      - .offset:         8
        .size:           8
        .value_kind:     by_value
      - .offset:         16
        .size:           8
        .value_kind:     by_value
      - .offset:         24
        .size:           4
        .value_kind:     by_value
      - .actual_access:  read_only
        .address_space:  global
        .offset:         32
        .size:           8
        .value_kind:     global_buffer
      - .actual_access:  read_only
        .address_space:  global
        .offset:         40
        .size:           8
        .value_kind:     global_buffer
      - .actual_access:  read_only
        .address_space:  global
        .offset:         48
        .size:           8
        .value_kind:     global_buffer
      - .offset:         56
        .size:           8
        .value_kind:     by_value
      - .offset:         64
        .size:           4
        .value_kind:     by_value
      - .actual_access:  write_only
        .address_space:  global
        .offset:         72
        .size:           8
        .value_kind:     global_buffer
      - .actual_access:  write_only
        .address_space:  global
        .offset:         80
        .size:           8
        .value_kind:     global_buffer
      - .actual_access:  write_only
        .address_space:  global
        .offset:         88
        .size:           8
        .value_kind:     global_buffer
    .group_segment_fixed_size: 0
    .kernarg_segment_align: 8
    .kernarg_segment_size: 96
    .language:       OpenCL C
    .language_version:
      - 2
      - 0
    .max_flat_workgroup_size: 1024
    .name:           _ZN9rocsparseL33bsr2csr_block_per_row_8_32_kernelILj1024ELj32EillEEv20rocsparse_direction_T3_S2_21rocsparse_index_base_PKT1_PKT2_PKS2_S2_S3_PS4_PS7_PS2_
    .private_segment_fixed_size: 0
    .sgpr_count:     29
    .sgpr_spill_count: 0
    .symbol:         _ZN9rocsparseL33bsr2csr_block_per_row_8_32_kernelILj1024ELj32EillEEv20rocsparse_direction_T3_S2_21rocsparse_index_base_PKT1_PKT2_PKS2_S2_S3_PS4_PS7_PS2_.kd
    .uniform_work_group_size: 1
    .uses_dynamic_stack: false
    .vgpr_count:     12
    .vgpr_spill_count: 0
    .wavefront_size: 32
    .workgroup_processor_mode: 1
  - .args:
      - .offset:         0
        .size:           4
        .value_kind:     by_value
      - .offset:         8
        .size:           8
        .value_kind:     by_value
      - .offset:         16
        .size:           8
        .value_kind:     by_value
      - .offset:         24
        .size:           4
        .value_kind:     by_value
      - .actual_access:  read_only
        .address_space:  global
        .offset:         32
        .size:           8
        .value_kind:     global_buffer
      - .actual_access:  read_only
        .address_space:  global
        .offset:         40
        .size:           8
        .value_kind:     global_buffer
      - .actual_access:  read_only
        .address_space:  global
        .offset:         48
        .size:           8
        .value_kind:     global_buffer
      - .offset:         56
        .size:           8
        .value_kind:     by_value
      - .offset:         64
        .size:           4
        .value_kind:     by_value
      - .actual_access:  write_only
        .address_space:  global
        .offset:         72
        .size:           8
        .value_kind:     global_buffer
      - .actual_access:  write_only
        .address_space:  global
        .offset:         80
        .size:           8
        .value_kind:     global_buffer
      - .actual_access:  write_only
        .address_space:  global
        .offset:         88
        .size:           8
        .value_kind:     global_buffer
    .group_segment_fixed_size: 0
    .kernarg_segment_align: 8
    .kernarg_segment_size: 96
    .language:       OpenCL C
    .language_version:
      - 2
      - 0
    .max_flat_workgroup_size: 1024
    .name:           _ZN9rocsparseL35bsr2csr_block_per_row_33_256_kernelILj1024ELj64ELj32EillEEv20rocsparse_direction_T4_S2_21rocsparse_index_base_PKT2_PKT3_PKS2_S2_S3_PS4_PS7_PS2_
    .private_segment_fixed_size: 0
    .sgpr_count:     38
    .sgpr_spill_count: 0
    .symbol:         _ZN9rocsparseL35bsr2csr_block_per_row_33_256_kernelILj1024ELj64ELj32EillEEv20rocsparse_direction_T4_S2_21rocsparse_index_base_PKT2_PKT3_PKS2_S2_S3_PS4_PS7_PS2_.kd
    .uniform_work_group_size: 1
    .uses_dynamic_stack: false
    .vgpr_count:     29
    .vgpr_spill_count: 0
    .wavefront_size: 32
    .workgroup_processor_mode: 1
  - .args:
      - .offset:         0
        .size:           4
        .value_kind:     by_value
      - .offset:         8
        .size:           8
        .value_kind:     by_value
      - .offset:         16
        .size:           8
        .value_kind:     by_value
      - .offset:         24
        .size:           4
        .value_kind:     by_value
      - .actual_access:  read_only
        .address_space:  global
        .offset:         32
        .size:           8
        .value_kind:     global_buffer
      - .actual_access:  read_only
        .address_space:  global
        .offset:         40
        .size:           8
        .value_kind:     global_buffer
      - .actual_access:  read_only
        .address_space:  global
        .offset:         48
        .size:           8
        .value_kind:     global_buffer
      - .offset:         56
        .size:           8
        .value_kind:     by_value
      - .offset:         64
        .size:           4
        .value_kind:     by_value
      - .actual_access:  write_only
        .address_space:  global
        .offset:         72
        .size:           8
        .value_kind:     global_buffer
      - .actual_access:  write_only
        .address_space:  global
        .offset:         80
        .size:           8
        .value_kind:     global_buffer
      - .actual_access:  write_only
        .address_space:  global
        .offset:         88
        .size:           8
        .value_kind:     global_buffer
    .group_segment_fixed_size: 0
    .kernarg_segment_align: 8
    .kernarg_segment_size: 96
    .language:       OpenCL C
    .language_version:
      - 2
      - 0
    .max_flat_workgroup_size: 1024
    .name:           _ZN9rocsparseL35bsr2csr_block_per_row_33_256_kernelILj1024ELj128ELj32EillEEv20rocsparse_direction_T4_S2_21rocsparse_index_base_PKT2_PKT3_PKS2_S2_S3_PS4_PS7_PS2_
    .private_segment_fixed_size: 0
    .sgpr_count:     53
    .sgpr_spill_count: 0
    .symbol:         _ZN9rocsparseL35bsr2csr_block_per_row_33_256_kernelILj1024ELj128ELj32EillEEv20rocsparse_direction_T4_S2_21rocsparse_index_base_PKT2_PKT3_PKS2_S2_S3_PS4_PS7_PS2_.kd
    .uniform_work_group_size: 1
    .uses_dynamic_stack: false
    .vgpr_count:     45
    .vgpr_spill_count: 0
    .wavefront_size: 32
    .workgroup_processor_mode: 1
  - .args:
      - .offset:         0
        .size:           4
        .value_kind:     by_value
      - .offset:         8
        .size:           8
        .value_kind:     by_value
      - .offset:         16
        .size:           8
        .value_kind:     by_value
      - .offset:         24
        .size:           4
        .value_kind:     by_value
      - .actual_access:  read_only
        .address_space:  global
        .offset:         32
        .size:           8
        .value_kind:     global_buffer
      - .actual_access:  read_only
        .address_space:  global
        .offset:         40
        .size:           8
        .value_kind:     global_buffer
      - .actual_access:  read_only
        .address_space:  global
        .offset:         48
        .size:           8
        .value_kind:     global_buffer
      - .offset:         56
        .size:           8
        .value_kind:     by_value
      - .offset:         64
        .size:           4
        .value_kind:     by_value
      - .actual_access:  write_only
        .address_space:  global
        .offset:         72
        .size:           8
        .value_kind:     global_buffer
      - .actual_access:  write_only
        .address_space:  global
        .offset:         80
        .size:           8
        .value_kind:     global_buffer
      - .actual_access:  write_only
        .address_space:  global
        .offset:         88
        .size:           8
        .value_kind:     global_buffer
    .group_segment_fixed_size: 0
    .kernarg_segment_align: 8
    .kernarg_segment_size: 96
    .language:       OpenCL C
    .language_version:
      - 2
      - 0
    .max_flat_workgroup_size: 1024
    .name:           _ZN9rocsparseL35bsr2csr_block_per_row_33_256_kernelILj1024ELj256ELj32EillEEv20rocsparse_direction_T4_S2_21rocsparse_index_base_PKT2_PKT3_PKS2_S2_S3_PS4_PS7_PS2_
    .private_segment_fixed_size: 0
    .sgpr_count:     102
    .sgpr_spill_count: 0
    .symbol:         _ZN9rocsparseL35bsr2csr_block_per_row_33_256_kernelILj1024ELj256ELj32EillEEv20rocsparse_direction_T4_S2_21rocsparse_index_base_PKT2_PKT3_PKS2_S2_S3_PS4_PS7_PS2_.kd
    .uniform_work_group_size: 1
    .uses_dynamic_stack: false
    .vgpr_count:     71
    .vgpr_spill_count: 0
    .wavefront_size: 32
    .workgroup_processor_mode: 1
  - .args:
      - .offset:         0
        .size:           4
        .value_kind:     by_value
      - .offset:         4
        .size:           4
        .value_kind:     by_value
      - .offset:         8
        .size:           4
        .value_kind:     by_value
      - .actual_access:  read_only
        .address_space:  global
        .offset:         16
        .size:           8
        .value_kind:     global_buffer
      - .actual_access:  read_only
        .address_space:  global
        .offset:         24
        .size:           8
        .value_kind:     global_buffer
      - .actual_access:  read_only
        .address_space:  global
        .offset:         32
        .size:           8
        .value_kind:     global_buffer
      - .offset:         40
        .size:           4
        .value_kind:     by_value
      - .actual_access:  write_only
        .address_space:  global
        .offset:         48
        .size:           8
        .value_kind:     global_buffer
      - .actual_access:  write_only
        .address_space:  global
        .offset:         56
        .size:           8
        .value_kind:     global_buffer
      - .actual_access:  write_only
        .address_space:  global
        .offset:         64
        .size:           8
        .value_kind:     global_buffer
      - .offset:         72
        .size:           4
        .value_kind:     hidden_block_count_x
      - .offset:         76
        .size:           4
        .value_kind:     hidden_block_count_y
      - .offset:         80
        .size:           4
        .value_kind:     hidden_block_count_z
      - .offset:         84
        .size:           2
        .value_kind:     hidden_group_size_x
      - .offset:         86
        .size:           2
        .value_kind:     hidden_group_size_y
      - .offset:         88
        .size:           2
        .value_kind:     hidden_group_size_z
      - .offset:         90
        .size:           2
        .value_kind:     hidden_remainder_x
      - .offset:         92
        .size:           2
        .value_kind:     hidden_remainder_y
      - .offset:         94
        .size:           2
        .value_kind:     hidden_remainder_z
      - .offset:         112
        .size:           8
        .value_kind:     hidden_global_offset_x
      - .offset:         120
        .size:           8
        .value_kind:     hidden_global_offset_y
      - .offset:         128
        .size:           8
        .value_kind:     hidden_global_offset_z
      - .offset:         136
        .size:           2
        .value_kind:     hidden_grid_dims
    .group_segment_fixed_size: 0
    .kernarg_segment_align: 8
    .kernarg_segment_size: 328
    .language:       OpenCL C
    .language_version:
      - 2
      - 0
    .max_flat_workgroup_size: 1024
    .name:           _ZN9rocsparseL35bsr2csr_block_dim_equals_one_kernelILj1024EliiEEvT2_S1_21rocsparse_index_base_PKT0_PKT1_PKS1_S2_PS3_PS6_PS1_
    .private_segment_fixed_size: 0
    .sgpr_count:     23
    .sgpr_spill_count: 0
    .symbol:         _ZN9rocsparseL35bsr2csr_block_dim_equals_one_kernelILj1024EliiEEvT2_S1_21rocsparse_index_base_PKT0_PKT1_PKS1_S2_PS3_PS6_PS1_.kd
    .uniform_work_group_size: 1
    .uses_dynamic_stack: false
    .vgpr_count:     9
    .vgpr_spill_count: 0
    .wavefront_size: 32
    .workgroup_processor_mode: 1
  - .args:
      - .offset:         0
        .size:           4
        .value_kind:     by_value
      - .offset:         4
        .size:           4
        .value_kind:     by_value
      - .offset:         8
        .size:           4
        .value_kind:     by_value
      - .offset:         12
        .size:           4
        .value_kind:     by_value
      - .actual_access:  read_only
        .address_space:  global
        .offset:         16
        .size:           8
        .value_kind:     global_buffer
      - .actual_access:  read_only
        .address_space:  global
        .offset:         24
        .size:           8
        .value_kind:     global_buffer
      - .actual_access:  read_only
        .address_space:  global
        .offset:         32
        .size:           8
        .value_kind:     global_buffer
      - .offset:         40
        .size:           4
        .value_kind:     by_value
      - .offset:         44
        .size:           4
        .value_kind:     by_value
      - .actual_access:  write_only
        .address_space:  global
        .offset:         48
        .size:           8
        .value_kind:     global_buffer
      - .actual_access:  write_only
        .address_space:  global
        .offset:         56
        .size:           8
        .value_kind:     global_buffer
      - .actual_access:  write_only
        .address_space:  global
        .offset:         64
        .size:           8
        .value_kind:     global_buffer
    .group_segment_fixed_size: 0
    .kernarg_segment_align: 8
    .kernarg_segment_size: 72
    .language:       OpenCL C
    .language_version:
      - 2
      - 0
    .max_flat_workgroup_size: 256
    .name:           _ZN9rocsparseL32bsr2csr_block_per_row_2_7_kernelILj256ELj2EliiEEv20rocsparse_direction_T3_S2_21rocsparse_index_base_PKT1_PKT2_PKS2_S2_S3_PS4_PS7_PS2_
    .private_segment_fixed_size: 0
    .sgpr_count:     16
    .sgpr_spill_count: 0
    .symbol:         _ZN9rocsparseL32bsr2csr_block_per_row_2_7_kernelILj256ELj2EliiEEv20rocsparse_direction_T3_S2_21rocsparse_index_base_PKT1_PKT2_PKS2_S2_S3_PS4_PS7_PS2_.kd
    .uniform_work_group_size: 1
    .uses_dynamic_stack: false
    .vgpr_count:     17
    .vgpr_spill_count: 0
    .wavefront_size: 32
    .workgroup_processor_mode: 1
  - .args:
      - .offset:         0
        .size:           4
        .value_kind:     by_value
      - .offset:         4
        .size:           4
        .value_kind:     by_value
      - .offset:         8
        .size:           4
        .value_kind:     by_value
      - .offset:         12
        .size:           4
        .value_kind:     by_value
      - .actual_access:  read_only
        .address_space:  global
        .offset:         16
        .size:           8
        .value_kind:     global_buffer
      - .actual_access:  read_only
        .address_space:  global
        .offset:         24
        .size:           8
        .value_kind:     global_buffer
      - .actual_access:  read_only
        .address_space:  global
        .offset:         32
        .size:           8
        .value_kind:     global_buffer
      - .offset:         40
        .size:           4
        .value_kind:     by_value
      - .offset:         44
        .size:           4
        .value_kind:     by_value
      - .actual_access:  write_only
        .address_space:  global
        .offset:         48
        .size:           8
        .value_kind:     global_buffer
      - .actual_access:  write_only
        .address_space:  global
        .offset:         56
        .size:           8
        .value_kind:     global_buffer
      - .actual_access:  write_only
        .address_space:  global
        .offset:         64
        .size:           8
        .value_kind:     global_buffer
    .group_segment_fixed_size: 0
    .kernarg_segment_align: 8
    .kernarg_segment_size: 72
    .language:       OpenCL C
    .language_version:
      - 2
      - 0
    .max_flat_workgroup_size: 256
    .name:           _ZN9rocsparseL32bsr2csr_block_per_row_2_7_kernelILj256ELj3EliiEEv20rocsparse_direction_T3_S2_21rocsparse_index_base_PKT1_PKT2_PKS2_S2_S3_PS4_PS7_PS2_
    .private_segment_fixed_size: 0
    .sgpr_count:     17
    .sgpr_spill_count: 0
    .symbol:         _ZN9rocsparseL32bsr2csr_block_per_row_2_7_kernelILj256ELj3EliiEEv20rocsparse_direction_T3_S2_21rocsparse_index_base_PKT1_PKT2_PKS2_S2_S3_PS4_PS7_PS2_.kd
    .uniform_work_group_size: 1
    .uses_dynamic_stack: false
    .vgpr_count:     20
    .vgpr_spill_count: 0
    .wavefront_size: 32
    .workgroup_processor_mode: 1
  - .args:
      - .offset:         0
        .size:           4
        .value_kind:     by_value
      - .offset:         4
        .size:           4
        .value_kind:     by_value
      - .offset:         8
        .size:           4
        .value_kind:     by_value
      - .offset:         12
        .size:           4
        .value_kind:     by_value
      - .actual_access:  read_only
        .address_space:  global
        .offset:         16
        .size:           8
        .value_kind:     global_buffer
      - .actual_access:  read_only
        .address_space:  global
        .offset:         24
        .size:           8
        .value_kind:     global_buffer
      - .actual_access:  read_only
        .address_space:  global
        .offset:         32
        .size:           8
        .value_kind:     global_buffer
      - .offset:         40
        .size:           4
        .value_kind:     by_value
      - .offset:         44
        .size:           4
        .value_kind:     by_value
      - .actual_access:  write_only
        .address_space:  global
        .offset:         48
        .size:           8
        .value_kind:     global_buffer
      - .actual_access:  write_only
        .address_space:  global
        .offset:         56
        .size:           8
        .value_kind:     global_buffer
      - .actual_access:  write_only
        .address_space:  global
        .offset:         64
        .size:           8
        .value_kind:     global_buffer
    .group_segment_fixed_size: 0
    .kernarg_segment_align: 8
    .kernarg_segment_size: 72
    .language:       OpenCL C
    .language_version:
      - 2
      - 0
    .max_flat_workgroup_size: 256
    .name:           _ZN9rocsparseL32bsr2csr_block_per_row_2_7_kernelILj256ELj4EliiEEv20rocsparse_direction_T3_S2_21rocsparse_index_base_PKT1_PKT2_PKS2_S2_S3_PS4_PS7_PS2_
    .private_segment_fixed_size: 0
    .sgpr_count:     16
    .sgpr_spill_count: 0
    .symbol:         _ZN9rocsparseL32bsr2csr_block_per_row_2_7_kernelILj256ELj4EliiEEv20rocsparse_direction_T3_S2_21rocsparse_index_base_PKT1_PKT2_PKS2_S2_S3_PS4_PS7_PS2_.kd
    .uniform_work_group_size: 1
    .uses_dynamic_stack: false
    .vgpr_count:     24
    .vgpr_spill_count: 0
    .wavefront_size: 32
    .workgroup_processor_mode: 1
  - .args:
      - .offset:         0
        .size:           4
        .value_kind:     by_value
      - .offset:         4
        .size:           4
        .value_kind:     by_value
      - .offset:         8
        .size:           4
        .value_kind:     by_value
      - .offset:         12
        .size:           4
        .value_kind:     by_value
      - .actual_access:  read_only
        .address_space:  global
        .offset:         16
        .size:           8
        .value_kind:     global_buffer
      - .actual_access:  read_only
        .address_space:  global
        .offset:         24
        .size:           8
        .value_kind:     global_buffer
      - .actual_access:  read_only
        .address_space:  global
        .offset:         32
        .size:           8
        .value_kind:     global_buffer
      - .offset:         40
        .size:           4
        .value_kind:     by_value
      - .offset:         44
        .size:           4
        .value_kind:     by_value
      - .actual_access:  write_only
        .address_space:  global
        .offset:         48
        .size:           8
        .value_kind:     global_buffer
      - .actual_access:  write_only
        .address_space:  global
        .offset:         56
        .size:           8
        .value_kind:     global_buffer
      - .actual_access:  write_only
        .address_space:  global
        .offset:         64
        .size:           8
        .value_kind:     global_buffer
    .group_segment_fixed_size: 0
    .kernarg_segment_align: 8
    .kernarg_segment_size: 72
    .language:       OpenCL C
    .language_version:
      - 2
      - 0
    .max_flat_workgroup_size: 256
    .name:           _ZN9rocsparseL32bsr2csr_block_per_row_2_7_kernelILj256ELj5EliiEEv20rocsparse_direction_T3_S2_21rocsparse_index_base_PKT1_PKT2_PKS2_S2_S3_PS4_PS7_PS2_
    .private_segment_fixed_size: 0
    .sgpr_count:     17
    .sgpr_spill_count: 0
    .symbol:         _ZN9rocsparseL32bsr2csr_block_per_row_2_7_kernelILj256ELj5EliiEEv20rocsparse_direction_T3_S2_21rocsparse_index_base_PKT1_PKT2_PKS2_S2_S3_PS4_PS7_PS2_.kd
    .uniform_work_group_size: 1
    .uses_dynamic_stack: false
    .vgpr_count:     25
    .vgpr_spill_count: 0
    .wavefront_size: 32
    .workgroup_processor_mode: 1
  - .args:
      - .offset:         0
        .size:           4
        .value_kind:     by_value
      - .offset:         4
        .size:           4
        .value_kind:     by_value
      - .offset:         8
        .size:           4
        .value_kind:     by_value
      - .offset:         12
        .size:           4
        .value_kind:     by_value
      - .actual_access:  read_only
        .address_space:  global
        .offset:         16
        .size:           8
        .value_kind:     global_buffer
      - .actual_access:  read_only
        .address_space:  global
        .offset:         24
        .size:           8
        .value_kind:     global_buffer
      - .actual_access:  read_only
        .address_space:  global
        .offset:         32
        .size:           8
        .value_kind:     global_buffer
      - .offset:         40
        .size:           4
        .value_kind:     by_value
      - .offset:         44
        .size:           4
        .value_kind:     by_value
      - .actual_access:  write_only
        .address_space:  global
        .offset:         48
        .size:           8
        .value_kind:     global_buffer
      - .actual_access:  write_only
        .address_space:  global
        .offset:         56
        .size:           8
        .value_kind:     global_buffer
      - .actual_access:  write_only
        .address_space:  global
        .offset:         64
        .size:           8
        .value_kind:     global_buffer
    .group_segment_fixed_size: 0
    .kernarg_segment_align: 8
    .kernarg_segment_size: 72
    .language:       OpenCL C
    .language_version:
      - 2
      - 0
    .max_flat_workgroup_size: 256
    .name:           _ZN9rocsparseL32bsr2csr_block_per_row_2_7_kernelILj256ELj6EliiEEv20rocsparse_direction_T3_S2_21rocsparse_index_base_PKT1_PKT2_PKS2_S2_S3_PS4_PS7_PS2_
    .private_segment_fixed_size: 0
    .sgpr_count:     16
    .sgpr_spill_count: 0
    .symbol:         _ZN9rocsparseL32bsr2csr_block_per_row_2_7_kernelILj256ELj6EliiEEv20rocsparse_direction_T3_S2_21rocsparse_index_base_PKT1_PKT2_PKS2_S2_S3_PS4_PS7_PS2_.kd
    .uniform_work_group_size: 1
    .uses_dynamic_stack: false
    .vgpr_count:     29
    .vgpr_spill_count: 0
    .wavefront_size: 32
    .workgroup_processor_mode: 1
  - .args:
      - .offset:         0
        .size:           4
        .value_kind:     by_value
      - .offset:         4
        .size:           4
        .value_kind:     by_value
      - .offset:         8
        .size:           4
        .value_kind:     by_value
      - .offset:         12
        .size:           4
        .value_kind:     by_value
      - .actual_access:  read_only
        .address_space:  global
        .offset:         16
        .size:           8
        .value_kind:     global_buffer
      - .actual_access:  read_only
        .address_space:  global
        .offset:         24
        .size:           8
        .value_kind:     global_buffer
      - .actual_access:  read_only
        .address_space:  global
        .offset:         32
        .size:           8
        .value_kind:     global_buffer
      - .offset:         40
        .size:           4
        .value_kind:     by_value
      - .offset:         44
        .size:           4
        .value_kind:     by_value
      - .actual_access:  write_only
        .address_space:  global
        .offset:         48
        .size:           8
        .value_kind:     global_buffer
      - .actual_access:  write_only
        .address_space:  global
        .offset:         56
        .size:           8
        .value_kind:     global_buffer
      - .actual_access:  write_only
        .address_space:  global
        .offset:         64
        .size:           8
        .value_kind:     global_buffer
    .group_segment_fixed_size: 0
    .kernarg_segment_align: 8
    .kernarg_segment_size: 72
    .language:       OpenCL C
    .language_version:
      - 2
      - 0
    .max_flat_workgroup_size: 256
    .name:           _ZN9rocsparseL32bsr2csr_block_per_row_2_7_kernelILj256ELj7EliiEEv20rocsparse_direction_T3_S2_21rocsparse_index_base_PKT1_PKT2_PKS2_S2_S3_PS4_PS7_PS2_
    .private_segment_fixed_size: 0
    .sgpr_count:     16
    .sgpr_spill_count: 0
    .symbol:         _ZN9rocsparseL32bsr2csr_block_per_row_2_7_kernelILj256ELj7EliiEEv20rocsparse_direction_T3_S2_21rocsparse_index_base_PKT1_PKT2_PKS2_S2_S3_PS4_PS7_PS2_.kd
    .uniform_work_group_size: 1
    .uses_dynamic_stack: false
    .vgpr_count:     30
    .vgpr_spill_count: 0
    .wavefront_size: 32
    .workgroup_processor_mode: 1
  - .args:
      - .offset:         0
        .size:           4
        .value_kind:     by_value
      - .offset:         4
        .size:           4
        .value_kind:     by_value
      - .offset:         8
        .size:           4
        .value_kind:     by_value
      - .offset:         12
        .size:           4
        .value_kind:     by_value
      - .actual_access:  read_only
        .address_space:  global
        .offset:         16
        .size:           8
        .value_kind:     global_buffer
      - .actual_access:  read_only
        .address_space:  global
        .offset:         24
        .size:           8
        .value_kind:     global_buffer
      - .actual_access:  read_only
        .address_space:  global
        .offset:         32
        .size:           8
        .value_kind:     global_buffer
      - .offset:         40
        .size:           4
        .value_kind:     by_value
      - .offset:         44
        .size:           4
        .value_kind:     by_value
      - .actual_access:  write_only
        .address_space:  global
        .offset:         48
        .size:           8
        .value_kind:     global_buffer
      - .actual_access:  write_only
        .address_space:  global
        .offset:         56
        .size:           8
        .value_kind:     global_buffer
      - .actual_access:  write_only
        .address_space:  global
        .offset:         64
        .size:           8
        .value_kind:     global_buffer
    .group_segment_fixed_size: 0
    .kernarg_segment_align: 8
    .kernarg_segment_size: 72
    .language:       OpenCL C
    .language_version:
      - 2
      - 0
    .max_flat_workgroup_size: 1024
    .name:           _ZN9rocsparseL33bsr2csr_block_per_row_8_32_kernelILj1024ELj8EliiEEv20rocsparse_direction_T3_S2_21rocsparse_index_base_PKT1_PKT2_PKS2_S2_S3_PS4_PS7_PS2_
    .private_segment_fixed_size: 0
    .sgpr_count:     19
    .sgpr_spill_count: 0
    .symbol:         _ZN9rocsparseL33bsr2csr_block_per_row_8_32_kernelILj1024ELj8EliiEEv20rocsparse_direction_T3_S2_21rocsparse_index_base_PKT1_PKT2_PKS2_S2_S3_PS4_PS7_PS2_.kd
    .uniform_work_group_size: 1
    .uses_dynamic_stack: false
    .vgpr_count:     15
    .vgpr_spill_count: 0
    .wavefront_size: 32
    .workgroup_processor_mode: 1
  - .args:
      - .offset:         0
        .size:           4
        .value_kind:     by_value
      - .offset:         4
        .size:           4
        .value_kind:     by_value
      - .offset:         8
        .size:           4
        .value_kind:     by_value
      - .offset:         12
        .size:           4
        .value_kind:     by_value
      - .actual_access:  read_only
        .address_space:  global
        .offset:         16
        .size:           8
        .value_kind:     global_buffer
      - .actual_access:  read_only
        .address_space:  global
        .offset:         24
        .size:           8
        .value_kind:     global_buffer
      - .actual_access:  read_only
        .address_space:  global
        .offset:         32
        .size:           8
        .value_kind:     global_buffer
      - .offset:         40
        .size:           4
        .value_kind:     by_value
      - .offset:         44
        .size:           4
        .value_kind:     by_value
      - .actual_access:  write_only
        .address_space:  global
        .offset:         48
        .size:           8
        .value_kind:     global_buffer
      - .actual_access:  write_only
        .address_space:  global
        .offset:         56
        .size:           8
        .value_kind:     global_buffer
      - .actual_access:  write_only
        .address_space:  global
        .offset:         64
        .size:           8
        .value_kind:     global_buffer
    .group_segment_fixed_size: 0
    .kernarg_segment_align: 8
    .kernarg_segment_size: 72
    .language:       OpenCL C
    .language_version:
      - 2
      - 0
    .max_flat_workgroup_size: 1024
    .name:           _ZN9rocsparseL33bsr2csr_block_per_row_8_32_kernelILj1024ELj16EliiEEv20rocsparse_direction_T3_S2_21rocsparse_index_base_PKT1_PKT2_PKS2_S2_S3_PS4_PS7_PS2_
    .private_segment_fixed_size: 0
    .sgpr_count:     19
    .sgpr_spill_count: 0
    .symbol:         _ZN9rocsparseL33bsr2csr_block_per_row_8_32_kernelILj1024ELj16EliiEEv20rocsparse_direction_T3_S2_21rocsparse_index_base_PKT1_PKT2_PKS2_S2_S3_PS4_PS7_PS2_.kd
    .uniform_work_group_size: 1
    .uses_dynamic_stack: false
    .vgpr_count:     15
    .vgpr_spill_count: 0
    .wavefront_size: 32
    .workgroup_processor_mode: 1
  - .args:
      - .offset:         0
        .size:           4
        .value_kind:     by_value
      - .offset:         4
        .size:           4
        .value_kind:     by_value
      - .offset:         8
        .size:           4
        .value_kind:     by_value
      - .offset:         12
        .size:           4
        .value_kind:     by_value
      - .actual_access:  read_only
        .address_space:  global
        .offset:         16
        .size:           8
        .value_kind:     global_buffer
      - .actual_access:  read_only
        .address_space:  global
        .offset:         24
        .size:           8
        .value_kind:     global_buffer
      - .actual_access:  read_only
        .address_space:  global
        .offset:         32
        .size:           8
        .value_kind:     global_buffer
      - .offset:         40
        .size:           4
        .value_kind:     by_value
      - .offset:         44
        .size:           4
        .value_kind:     by_value
      - .actual_access:  write_only
        .address_space:  global
        .offset:         48
        .size:           8
        .value_kind:     global_buffer
      - .actual_access:  write_only
        .address_space:  global
        .offset:         56
        .size:           8
        .value_kind:     global_buffer
      - .actual_access:  write_only
        .address_space:  global
        .offset:         64
        .size:           8
        .value_kind:     global_buffer
    .group_segment_fixed_size: 0
    .kernarg_segment_align: 8
    .kernarg_segment_size: 72
    .language:       OpenCL C
    .language_version:
      - 2
      - 0
    .max_flat_workgroup_size: 1024
    .name:           _ZN9rocsparseL33bsr2csr_block_per_row_8_32_kernelILj1024ELj32EliiEEv20rocsparse_direction_T3_S2_21rocsparse_index_base_PKT1_PKT2_PKS2_S2_S3_PS4_PS7_PS2_
    .private_segment_fixed_size: 0
    .sgpr_count:     20
    .sgpr_spill_count: 0
    .symbol:         _ZN9rocsparseL33bsr2csr_block_per_row_8_32_kernelILj1024ELj32EliiEEv20rocsparse_direction_T3_S2_21rocsparse_index_base_PKT1_PKT2_PKS2_S2_S3_PS4_PS7_PS2_.kd
    .uniform_work_group_size: 1
    .uses_dynamic_stack: false
    .vgpr_count:     12
    .vgpr_spill_count: 0
    .wavefront_size: 32
    .workgroup_processor_mode: 1
  - .args:
      - .offset:         0
        .size:           4
        .value_kind:     by_value
      - .offset:         4
        .size:           4
        .value_kind:     by_value
      - .offset:         8
        .size:           4
        .value_kind:     by_value
      - .offset:         12
        .size:           4
        .value_kind:     by_value
      - .actual_access:  read_only
        .address_space:  global
        .offset:         16
        .size:           8
        .value_kind:     global_buffer
      - .actual_access:  read_only
        .address_space:  global
        .offset:         24
        .size:           8
        .value_kind:     global_buffer
      - .actual_access:  read_only
        .address_space:  global
        .offset:         32
        .size:           8
        .value_kind:     global_buffer
      - .offset:         40
        .size:           4
        .value_kind:     by_value
      - .offset:         44
        .size:           4
        .value_kind:     by_value
      - .actual_access:  write_only
        .address_space:  global
        .offset:         48
        .size:           8
        .value_kind:     global_buffer
      - .actual_access:  write_only
        .address_space:  global
        .offset:         56
        .size:           8
        .value_kind:     global_buffer
      - .actual_access:  write_only
        .address_space:  global
        .offset:         64
        .size:           8
        .value_kind:     global_buffer
    .group_segment_fixed_size: 0
    .kernarg_segment_align: 8
    .kernarg_segment_size: 72
    .language:       OpenCL C
    .language_version:
      - 2
      - 0
    .max_flat_workgroup_size: 1024
    .name:           _ZN9rocsparseL35bsr2csr_block_per_row_33_256_kernelILj1024ELj64ELj32EliiEEv20rocsparse_direction_T4_S2_21rocsparse_index_base_PKT2_PKT3_PKS2_S2_S3_PS4_PS7_PS2_
    .private_segment_fixed_size: 0
    .sgpr_count:     26
    .sgpr_spill_count: 0
    .symbol:         _ZN9rocsparseL35bsr2csr_block_per_row_33_256_kernelILj1024ELj64ELj32EliiEEv20rocsparse_direction_T4_S2_21rocsparse_index_base_PKT2_PKT3_PKS2_S2_S3_PS4_PS7_PS2_.kd
    .uniform_work_group_size: 1
    .uses_dynamic_stack: false
    .vgpr_count:     19
    .vgpr_spill_count: 0
    .wavefront_size: 32
    .workgroup_processor_mode: 1
  - .args:
      - .offset:         0
        .size:           4
        .value_kind:     by_value
      - .offset:         4
        .size:           4
        .value_kind:     by_value
      - .offset:         8
        .size:           4
        .value_kind:     by_value
      - .offset:         12
        .size:           4
        .value_kind:     by_value
      - .actual_access:  read_only
        .address_space:  global
        .offset:         16
        .size:           8
        .value_kind:     global_buffer
      - .actual_access:  read_only
        .address_space:  global
        .offset:         24
        .size:           8
        .value_kind:     global_buffer
      - .actual_access:  read_only
        .address_space:  global
        .offset:         32
        .size:           8
        .value_kind:     global_buffer
      - .offset:         40
        .size:           4
        .value_kind:     by_value
      - .offset:         44
        .size:           4
        .value_kind:     by_value
      - .actual_access:  write_only
        .address_space:  global
        .offset:         48
        .size:           8
        .value_kind:     global_buffer
      - .actual_access:  write_only
        .address_space:  global
        .offset:         56
        .size:           8
        .value_kind:     global_buffer
      - .actual_access:  write_only
        .address_space:  global
        .offset:         64
        .size:           8
        .value_kind:     global_buffer
    .group_segment_fixed_size: 0
    .kernarg_segment_align: 8
    .kernarg_segment_size: 72
    .language:       OpenCL C
    .language_version:
      - 2
      - 0
    .max_flat_workgroup_size: 1024
    .name:           _ZN9rocsparseL35bsr2csr_block_per_row_33_256_kernelILj1024ELj128ELj32EliiEEv20rocsparse_direction_T4_S2_21rocsparse_index_base_PKT2_PKT3_PKS2_S2_S3_PS4_PS7_PS2_
    .private_segment_fixed_size: 0
    .sgpr_count:     42
    .sgpr_spill_count: 0
    .symbol:         _ZN9rocsparseL35bsr2csr_block_per_row_33_256_kernelILj1024ELj128ELj32EliiEEv20rocsparse_direction_T4_S2_21rocsparse_index_base_PKT2_PKT3_PKS2_S2_S3_PS4_PS7_PS2_.kd
    .uniform_work_group_size: 1
    .uses_dynamic_stack: false
    .vgpr_count:     30
    .vgpr_spill_count: 0
    .wavefront_size: 32
    .workgroup_processor_mode: 1
  - .args:
      - .offset:         0
        .size:           4
        .value_kind:     by_value
      - .offset:         4
        .size:           4
        .value_kind:     by_value
      - .offset:         8
        .size:           4
        .value_kind:     by_value
      - .offset:         12
        .size:           4
        .value_kind:     by_value
      - .actual_access:  read_only
        .address_space:  global
        .offset:         16
        .size:           8
        .value_kind:     global_buffer
      - .actual_access:  read_only
        .address_space:  global
        .offset:         24
        .size:           8
        .value_kind:     global_buffer
      - .actual_access:  read_only
        .address_space:  global
        .offset:         32
        .size:           8
        .value_kind:     global_buffer
      - .offset:         40
        .size:           4
        .value_kind:     by_value
      - .offset:         44
        .size:           4
        .value_kind:     by_value
      - .actual_access:  write_only
        .address_space:  global
        .offset:         48
        .size:           8
        .value_kind:     global_buffer
      - .actual_access:  write_only
        .address_space:  global
        .offset:         56
        .size:           8
        .value_kind:     global_buffer
      - .actual_access:  write_only
        .address_space:  global
        .offset:         64
        .size:           8
        .value_kind:     global_buffer
    .group_segment_fixed_size: 0
    .kernarg_segment_align: 8
    .kernarg_segment_size: 72
    .language:       OpenCL C
    .language_version:
      - 2
      - 0
    .max_flat_workgroup_size: 1024
    .name:           _ZN9rocsparseL35bsr2csr_block_per_row_33_256_kernelILj1024ELj256ELj32EliiEEv20rocsparse_direction_T4_S2_21rocsparse_index_base_PKT2_PKT3_PKS2_S2_S3_PS4_PS7_PS2_
    .private_segment_fixed_size: 0
    .sgpr_count:     89
    .sgpr_spill_count: 0
    .symbol:         _ZN9rocsparseL35bsr2csr_block_per_row_33_256_kernelILj1024ELj256ELj32EliiEEv20rocsparse_direction_T4_S2_21rocsparse_index_base_PKT2_PKT3_PKS2_S2_S3_PS4_PS7_PS2_.kd
    .uniform_work_group_size: 1
    .uses_dynamic_stack: false
    .vgpr_count:     47
    .vgpr_spill_count: 0
    .wavefront_size: 32
    .workgroup_processor_mode: 1
  - .args:
      - .offset:         0
        .size:           4
        .value_kind:     by_value
      - .offset:         4
        .size:           4
        .value_kind:     by_value
      - .offset:         8
        .size:           4
        .value_kind:     by_value
      - .actual_access:  read_only
        .address_space:  global
        .offset:         16
        .size:           8
        .value_kind:     global_buffer
      - .actual_access:  read_only
        .address_space:  global
        .offset:         24
        .size:           8
        .value_kind:     global_buffer
      - .actual_access:  read_only
        .address_space:  global
        .offset:         32
        .size:           8
        .value_kind:     global_buffer
      - .offset:         40
        .size:           4
        .value_kind:     by_value
      - .actual_access:  write_only
        .address_space:  global
        .offset:         48
        .size:           8
        .value_kind:     global_buffer
      - .actual_access:  write_only
        .address_space:  global
        .offset:         56
        .size:           8
        .value_kind:     global_buffer
      - .actual_access:  write_only
        .address_space:  global
        .offset:         64
        .size:           8
        .value_kind:     global_buffer
      - .offset:         72
        .size:           4
        .value_kind:     hidden_block_count_x
      - .offset:         76
        .size:           4
        .value_kind:     hidden_block_count_y
      - .offset:         80
        .size:           4
        .value_kind:     hidden_block_count_z
      - .offset:         84
        .size:           2
        .value_kind:     hidden_group_size_x
      - .offset:         86
        .size:           2
        .value_kind:     hidden_group_size_y
      - .offset:         88
        .size:           2
        .value_kind:     hidden_group_size_z
      - .offset:         90
        .size:           2
        .value_kind:     hidden_remainder_x
      - .offset:         92
        .size:           2
        .value_kind:     hidden_remainder_y
      - .offset:         94
        .size:           2
        .value_kind:     hidden_remainder_z
      - .offset:         112
        .size:           8
        .value_kind:     hidden_global_offset_x
      - .offset:         120
        .size:           8
        .value_kind:     hidden_global_offset_y
      - .offset:         128
        .size:           8
        .value_kind:     hidden_global_offset_z
      - .offset:         136
        .size:           2
        .value_kind:     hidden_grid_dims
    .group_segment_fixed_size: 0
    .kernarg_segment_align: 8
    .kernarg_segment_size: 328
    .language:       OpenCL C
    .language_version:
      - 2
      - 0
    .max_flat_workgroup_size: 1024
    .name:           _ZN9rocsparseL35bsr2csr_block_dim_equals_one_kernelILj1024ElliEEvT2_S1_21rocsparse_index_base_PKT0_PKT1_PKS1_S2_PS3_PS6_PS1_
    .private_segment_fixed_size: 0
    .sgpr_count:     26
    .sgpr_spill_count: 0
    .symbol:         _ZN9rocsparseL35bsr2csr_block_dim_equals_one_kernelILj1024ElliEEvT2_S1_21rocsparse_index_base_PKT0_PKT1_PKS1_S2_PS3_PS6_PS1_.kd
    .uniform_work_group_size: 1
    .uses_dynamic_stack: false
    .vgpr_count:     11
    .vgpr_spill_count: 0
    .wavefront_size: 32
    .workgroup_processor_mode: 1
  - .args:
      - .offset:         0
        .size:           4
        .value_kind:     by_value
      - .offset:         4
        .size:           4
        .value_kind:     by_value
      - .offset:         8
        .size:           4
        .value_kind:     by_value
      - .offset:         12
        .size:           4
        .value_kind:     by_value
      - .actual_access:  read_only
        .address_space:  global
        .offset:         16
        .size:           8
        .value_kind:     global_buffer
      - .actual_access:  read_only
        .address_space:  global
        .offset:         24
        .size:           8
        .value_kind:     global_buffer
      - .actual_access:  read_only
        .address_space:  global
        .offset:         32
        .size:           8
        .value_kind:     global_buffer
      - .offset:         40
        .size:           4
        .value_kind:     by_value
      - .offset:         44
        .size:           4
        .value_kind:     by_value
      - .actual_access:  write_only
        .address_space:  global
        .offset:         48
        .size:           8
        .value_kind:     global_buffer
      - .actual_access:  write_only
        .address_space:  global
        .offset:         56
        .size:           8
        .value_kind:     global_buffer
      - .actual_access:  write_only
        .address_space:  global
        .offset:         64
        .size:           8
        .value_kind:     global_buffer
    .group_segment_fixed_size: 0
    .kernarg_segment_align: 8
    .kernarg_segment_size: 72
    .language:       OpenCL C
    .language_version:
      - 2
      - 0
    .max_flat_workgroup_size: 256
    .name:           _ZN9rocsparseL32bsr2csr_block_per_row_2_7_kernelILj256ELj2ElliEEv20rocsparse_direction_T3_S2_21rocsparse_index_base_PKT1_PKT2_PKS2_S2_S3_PS4_PS7_PS2_
    .private_segment_fixed_size: 0
    .sgpr_count:     20
    .sgpr_spill_count: 0
    .symbol:         _ZN9rocsparseL32bsr2csr_block_per_row_2_7_kernelILj256ELj2ElliEEv20rocsparse_direction_T3_S2_21rocsparse_index_base_PKT1_PKT2_PKS2_S2_S3_PS4_PS7_PS2_.kd
    .uniform_work_group_size: 1
    .uses_dynamic_stack: false
    .vgpr_count:     21
    .vgpr_spill_count: 0
    .wavefront_size: 32
    .workgroup_processor_mode: 1
  - .args:
      - .offset:         0
        .size:           4
        .value_kind:     by_value
      - .offset:         4
        .size:           4
        .value_kind:     by_value
      - .offset:         8
        .size:           4
        .value_kind:     by_value
      - .offset:         12
        .size:           4
        .value_kind:     by_value
      - .actual_access:  read_only
        .address_space:  global
        .offset:         16
        .size:           8
        .value_kind:     global_buffer
      - .actual_access:  read_only
        .address_space:  global
        .offset:         24
        .size:           8
        .value_kind:     global_buffer
      - .actual_access:  read_only
        .address_space:  global
        .offset:         32
        .size:           8
        .value_kind:     global_buffer
      - .offset:         40
        .size:           4
        .value_kind:     by_value
      - .offset:         44
        .size:           4
        .value_kind:     by_value
      - .actual_access:  write_only
        .address_space:  global
        .offset:         48
        .size:           8
        .value_kind:     global_buffer
      - .actual_access:  write_only
        .address_space:  global
        .offset:         56
        .size:           8
        .value_kind:     global_buffer
      - .actual_access:  write_only
        .address_space:  global
        .offset:         64
        .size:           8
        .value_kind:     global_buffer
    .group_segment_fixed_size: 0
    .kernarg_segment_align: 8
    .kernarg_segment_size: 72
    .language:       OpenCL C
    .language_version:
      - 2
      - 0
    .max_flat_workgroup_size: 256
    .name:           _ZN9rocsparseL32bsr2csr_block_per_row_2_7_kernelILj256ELj3ElliEEv20rocsparse_direction_T3_S2_21rocsparse_index_base_PKT1_PKT2_PKS2_S2_S3_PS4_PS7_PS2_
    .private_segment_fixed_size: 0
    .sgpr_count:     17
    .sgpr_spill_count: 0
    .symbol:         _ZN9rocsparseL32bsr2csr_block_per_row_2_7_kernelILj256ELj3ElliEEv20rocsparse_direction_T3_S2_21rocsparse_index_base_PKT1_PKT2_PKS2_S2_S3_PS4_PS7_PS2_.kd
    .uniform_work_group_size: 1
    .uses_dynamic_stack: false
    .vgpr_count:     25
    .vgpr_spill_count: 0
    .wavefront_size: 32
    .workgroup_processor_mode: 1
  - .args:
      - .offset:         0
        .size:           4
        .value_kind:     by_value
      - .offset:         4
        .size:           4
        .value_kind:     by_value
      - .offset:         8
        .size:           4
        .value_kind:     by_value
      - .offset:         12
        .size:           4
        .value_kind:     by_value
      - .actual_access:  read_only
        .address_space:  global
        .offset:         16
        .size:           8
        .value_kind:     global_buffer
      - .actual_access:  read_only
        .address_space:  global
        .offset:         24
        .size:           8
        .value_kind:     global_buffer
      - .actual_access:  read_only
        .address_space:  global
        .offset:         32
        .size:           8
        .value_kind:     global_buffer
      - .offset:         40
        .size:           4
        .value_kind:     by_value
      - .offset:         44
        .size:           4
        .value_kind:     by_value
      - .actual_access:  write_only
        .address_space:  global
        .offset:         48
        .size:           8
        .value_kind:     global_buffer
      - .actual_access:  write_only
        .address_space:  global
        .offset:         56
        .size:           8
        .value_kind:     global_buffer
      - .actual_access:  write_only
        .address_space:  global
        .offset:         64
        .size:           8
        .value_kind:     global_buffer
    .group_segment_fixed_size: 0
    .kernarg_segment_align: 8
    .kernarg_segment_size: 72
    .language:       OpenCL C
    .language_version:
      - 2
      - 0
    .max_flat_workgroup_size: 256
    .name:           _ZN9rocsparseL32bsr2csr_block_per_row_2_7_kernelILj256ELj4ElliEEv20rocsparse_direction_T3_S2_21rocsparse_index_base_PKT1_PKT2_PKS2_S2_S3_PS4_PS7_PS2_
    .private_segment_fixed_size: 0
    .sgpr_count:     22
    .sgpr_spill_count: 0
    .symbol:         _ZN9rocsparseL32bsr2csr_block_per_row_2_7_kernelILj256ELj4ElliEEv20rocsparse_direction_T3_S2_21rocsparse_index_base_PKT1_PKT2_PKS2_S2_S3_PS4_PS7_PS2_.kd
    .uniform_work_group_size: 1
    .uses_dynamic_stack: false
    .vgpr_count:     31
    .vgpr_spill_count: 0
    .wavefront_size: 32
    .workgroup_processor_mode: 1
  - .args:
      - .offset:         0
        .size:           4
        .value_kind:     by_value
      - .offset:         4
        .size:           4
        .value_kind:     by_value
      - .offset:         8
        .size:           4
        .value_kind:     by_value
      - .offset:         12
        .size:           4
        .value_kind:     by_value
      - .actual_access:  read_only
        .address_space:  global
        .offset:         16
        .size:           8
        .value_kind:     global_buffer
      - .actual_access:  read_only
        .address_space:  global
        .offset:         24
        .size:           8
        .value_kind:     global_buffer
      - .actual_access:  read_only
        .address_space:  global
        .offset:         32
        .size:           8
        .value_kind:     global_buffer
      - .offset:         40
        .size:           4
        .value_kind:     by_value
      - .offset:         44
        .size:           4
        .value_kind:     by_value
      - .actual_access:  write_only
        .address_space:  global
        .offset:         48
        .size:           8
        .value_kind:     global_buffer
      - .actual_access:  write_only
        .address_space:  global
        .offset:         56
        .size:           8
        .value_kind:     global_buffer
      - .actual_access:  write_only
        .address_space:  global
        .offset:         64
        .size:           8
        .value_kind:     global_buffer
    .group_segment_fixed_size: 0
    .kernarg_segment_align: 8
    .kernarg_segment_size: 72
    .language:       OpenCL C
    .language_version:
      - 2
      - 0
    .max_flat_workgroup_size: 256
    .name:           _ZN9rocsparseL32bsr2csr_block_per_row_2_7_kernelILj256ELj5ElliEEv20rocsparse_direction_T3_S2_21rocsparse_index_base_PKT1_PKT2_PKS2_S2_S3_PS4_PS7_PS2_
    .private_segment_fixed_size: 0
    .sgpr_count:     17
    .sgpr_spill_count: 0
    .symbol:         _ZN9rocsparseL32bsr2csr_block_per_row_2_7_kernelILj256ELj5ElliEEv20rocsparse_direction_T3_S2_21rocsparse_index_base_PKT1_PKT2_PKS2_S2_S3_PS4_PS7_PS2_.kd
    .uniform_work_group_size: 1
    .uses_dynamic_stack: false
    .vgpr_count:     35
    .vgpr_spill_count: 0
    .wavefront_size: 32
    .workgroup_processor_mode: 1
  - .args:
      - .offset:         0
        .size:           4
        .value_kind:     by_value
      - .offset:         4
        .size:           4
        .value_kind:     by_value
      - .offset:         8
        .size:           4
        .value_kind:     by_value
      - .offset:         12
        .size:           4
        .value_kind:     by_value
      - .actual_access:  read_only
        .address_space:  global
        .offset:         16
        .size:           8
        .value_kind:     global_buffer
      - .actual_access:  read_only
        .address_space:  global
        .offset:         24
        .size:           8
        .value_kind:     global_buffer
      - .actual_access:  read_only
        .address_space:  global
        .offset:         32
        .size:           8
        .value_kind:     global_buffer
      - .offset:         40
        .size:           4
        .value_kind:     by_value
      - .offset:         44
        .size:           4
        .value_kind:     by_value
      - .actual_access:  write_only
        .address_space:  global
        .offset:         48
        .size:           8
        .value_kind:     global_buffer
      - .actual_access:  write_only
        .address_space:  global
        .offset:         56
        .size:           8
        .value_kind:     global_buffer
      - .actual_access:  write_only
        .address_space:  global
        .offset:         64
        .size:           8
        .value_kind:     global_buffer
    .group_segment_fixed_size: 0
    .kernarg_segment_align: 8
    .kernarg_segment_size: 72
    .language:       OpenCL C
    .language_version:
      - 2
      - 0
    .max_flat_workgroup_size: 256
    .name:           _ZN9rocsparseL32bsr2csr_block_per_row_2_7_kernelILj256ELj6ElliEEv20rocsparse_direction_T3_S2_21rocsparse_index_base_PKT1_PKT2_PKS2_S2_S3_PS4_PS7_PS2_
    .private_segment_fixed_size: 0
    .sgpr_count:     17
    .sgpr_spill_count: 0
    .symbol:         _ZN9rocsparseL32bsr2csr_block_per_row_2_7_kernelILj256ELj6ElliEEv20rocsparse_direction_T3_S2_21rocsparse_index_base_PKT1_PKT2_PKS2_S2_S3_PS4_PS7_PS2_.kd
    .uniform_work_group_size: 1
    .uses_dynamic_stack: false
    .vgpr_count:     39
    .vgpr_spill_count: 0
    .wavefront_size: 32
    .workgroup_processor_mode: 1
  - .args:
      - .offset:         0
        .size:           4
        .value_kind:     by_value
      - .offset:         4
        .size:           4
        .value_kind:     by_value
      - .offset:         8
        .size:           4
        .value_kind:     by_value
      - .offset:         12
        .size:           4
        .value_kind:     by_value
      - .actual_access:  read_only
        .address_space:  global
        .offset:         16
        .size:           8
        .value_kind:     global_buffer
      - .actual_access:  read_only
        .address_space:  global
        .offset:         24
        .size:           8
        .value_kind:     global_buffer
      - .actual_access:  read_only
        .address_space:  global
        .offset:         32
        .size:           8
        .value_kind:     global_buffer
      - .offset:         40
        .size:           4
        .value_kind:     by_value
      - .offset:         44
        .size:           4
        .value_kind:     by_value
      - .actual_access:  write_only
        .address_space:  global
        .offset:         48
        .size:           8
        .value_kind:     global_buffer
      - .actual_access:  write_only
        .address_space:  global
        .offset:         56
        .size:           8
        .value_kind:     global_buffer
      - .actual_access:  write_only
        .address_space:  global
        .offset:         64
        .size:           8
        .value_kind:     global_buffer
    .group_segment_fixed_size: 0
    .kernarg_segment_align: 8
    .kernarg_segment_size: 72
    .language:       OpenCL C
    .language_version:
      - 2
      - 0
    .max_flat_workgroup_size: 256
    .name:           _ZN9rocsparseL32bsr2csr_block_per_row_2_7_kernelILj256ELj7ElliEEv20rocsparse_direction_T3_S2_21rocsparse_index_base_PKT1_PKT2_PKS2_S2_S3_PS4_PS7_PS2_
    .private_segment_fixed_size: 0
    .sgpr_count:     17
    .sgpr_spill_count: 0
    .symbol:         _ZN9rocsparseL32bsr2csr_block_per_row_2_7_kernelILj256ELj7ElliEEv20rocsparse_direction_T3_S2_21rocsparse_index_base_PKT1_PKT2_PKS2_S2_S3_PS4_PS7_PS2_.kd
    .uniform_work_group_size: 1
    .uses_dynamic_stack: false
    .vgpr_count:     43
    .vgpr_spill_count: 0
    .wavefront_size: 32
    .workgroup_processor_mode: 1
  - .args:
      - .offset:         0
        .size:           4
        .value_kind:     by_value
      - .offset:         4
        .size:           4
        .value_kind:     by_value
      - .offset:         8
        .size:           4
        .value_kind:     by_value
      - .offset:         12
        .size:           4
        .value_kind:     by_value
      - .actual_access:  read_only
        .address_space:  global
        .offset:         16
        .size:           8
        .value_kind:     global_buffer
      - .actual_access:  read_only
        .address_space:  global
        .offset:         24
        .size:           8
        .value_kind:     global_buffer
      - .actual_access:  read_only
        .address_space:  global
        .offset:         32
        .size:           8
        .value_kind:     global_buffer
      - .offset:         40
        .size:           4
        .value_kind:     by_value
      - .offset:         44
        .size:           4
        .value_kind:     by_value
      - .actual_access:  write_only
        .address_space:  global
        .offset:         48
        .size:           8
        .value_kind:     global_buffer
      - .actual_access:  write_only
        .address_space:  global
        .offset:         56
        .size:           8
        .value_kind:     global_buffer
      - .actual_access:  write_only
        .address_space:  global
        .offset:         64
        .size:           8
        .value_kind:     global_buffer
    .group_segment_fixed_size: 0
    .kernarg_segment_align: 8
    .kernarg_segment_size: 72
    .language:       OpenCL C
    .language_version:
      - 2
      - 0
    .max_flat_workgroup_size: 1024
    .name:           _ZN9rocsparseL33bsr2csr_block_per_row_8_32_kernelILj1024ELj8ElliEEv20rocsparse_direction_T3_S2_21rocsparse_index_base_PKT1_PKT2_PKS2_S2_S3_PS4_PS7_PS2_
    .private_segment_fixed_size: 0
    .sgpr_count:     24
    .sgpr_spill_count: 0
    .symbol:         _ZN9rocsparseL33bsr2csr_block_per_row_8_32_kernelILj1024ELj8ElliEEv20rocsparse_direction_T3_S2_21rocsparse_index_base_PKT1_PKT2_PKS2_S2_S3_PS4_PS7_PS2_.kd
    .uniform_work_group_size: 1
    .uses_dynamic_stack: false
    .vgpr_count:     17
    .vgpr_spill_count: 0
    .wavefront_size: 32
    .workgroup_processor_mode: 1
  - .args:
      - .offset:         0
        .size:           4
        .value_kind:     by_value
      - .offset:         4
        .size:           4
        .value_kind:     by_value
      - .offset:         8
        .size:           4
        .value_kind:     by_value
      - .offset:         12
        .size:           4
        .value_kind:     by_value
      - .actual_access:  read_only
        .address_space:  global
        .offset:         16
        .size:           8
        .value_kind:     global_buffer
      - .actual_access:  read_only
        .address_space:  global
        .offset:         24
        .size:           8
        .value_kind:     global_buffer
      - .actual_access:  read_only
        .address_space:  global
        .offset:         32
        .size:           8
        .value_kind:     global_buffer
      - .offset:         40
        .size:           4
        .value_kind:     by_value
      - .offset:         44
        .size:           4
        .value_kind:     by_value
      - .actual_access:  write_only
        .address_space:  global
        .offset:         48
        .size:           8
        .value_kind:     global_buffer
      - .actual_access:  write_only
        .address_space:  global
        .offset:         56
        .size:           8
        .value_kind:     global_buffer
      - .actual_access:  write_only
        .address_space:  global
        .offset:         64
        .size:           8
        .value_kind:     global_buffer
    .group_segment_fixed_size: 0
    .kernarg_segment_align: 8
    .kernarg_segment_size: 72
    .language:       OpenCL C
    .language_version:
      - 2
      - 0
    .max_flat_workgroup_size: 1024
    .name:           _ZN9rocsparseL33bsr2csr_block_per_row_8_32_kernelILj1024ELj16ElliEEv20rocsparse_direction_T3_S2_21rocsparse_index_base_PKT1_PKT2_PKS2_S2_S3_PS4_PS7_PS2_
    .private_segment_fixed_size: 0
    .sgpr_count:     24
    .sgpr_spill_count: 0
    .symbol:         _ZN9rocsparseL33bsr2csr_block_per_row_8_32_kernelILj1024ELj16ElliEEv20rocsparse_direction_T3_S2_21rocsparse_index_base_PKT1_PKT2_PKS2_S2_S3_PS4_PS7_PS2_.kd
    .uniform_work_group_size: 1
    .uses_dynamic_stack: false
    .vgpr_count:     17
    .vgpr_spill_count: 0
    .wavefront_size: 32
    .workgroup_processor_mode: 1
  - .args:
      - .offset:         0
        .size:           4
        .value_kind:     by_value
      - .offset:         4
        .size:           4
        .value_kind:     by_value
      - .offset:         8
        .size:           4
        .value_kind:     by_value
      - .offset:         12
        .size:           4
        .value_kind:     by_value
      - .actual_access:  read_only
        .address_space:  global
        .offset:         16
        .size:           8
        .value_kind:     global_buffer
      - .actual_access:  read_only
        .address_space:  global
        .offset:         24
        .size:           8
        .value_kind:     global_buffer
      - .actual_access:  read_only
        .address_space:  global
        .offset:         32
        .size:           8
        .value_kind:     global_buffer
      - .offset:         40
        .size:           4
        .value_kind:     by_value
      - .offset:         44
        .size:           4
        .value_kind:     by_value
      - .actual_access:  write_only
        .address_space:  global
        .offset:         48
        .size:           8
        .value_kind:     global_buffer
      - .actual_access:  write_only
        .address_space:  global
        .offset:         56
        .size:           8
        .value_kind:     global_buffer
      - .actual_access:  write_only
        .address_space:  global
        .offset:         64
        .size:           8
        .value_kind:     global_buffer
    .group_segment_fixed_size: 0
    .kernarg_segment_align: 8
    .kernarg_segment_size: 72
    .language:       OpenCL C
    .language_version:
      - 2
      - 0
    .max_flat_workgroup_size: 1024
    .name:           _ZN9rocsparseL33bsr2csr_block_per_row_8_32_kernelILj1024ELj32ElliEEv20rocsparse_direction_T3_S2_21rocsparse_index_base_PKT1_PKT2_PKS2_S2_S3_PS4_PS7_PS2_
    .private_segment_fixed_size: 0
    .sgpr_count:     29
    .sgpr_spill_count: 0
    .symbol:         _ZN9rocsparseL33bsr2csr_block_per_row_8_32_kernelILj1024ELj32ElliEEv20rocsparse_direction_T3_S2_21rocsparse_index_base_PKT1_PKT2_PKS2_S2_S3_PS4_PS7_PS2_.kd
    .uniform_work_group_size: 1
    .uses_dynamic_stack: false
    .vgpr_count:     11
    .vgpr_spill_count: 0
    .wavefront_size: 32
    .workgroup_processor_mode: 1
  - .args:
      - .offset:         0
        .size:           4
        .value_kind:     by_value
      - .offset:         4
        .size:           4
        .value_kind:     by_value
      - .offset:         8
        .size:           4
        .value_kind:     by_value
      - .offset:         12
        .size:           4
        .value_kind:     by_value
      - .actual_access:  read_only
        .address_space:  global
        .offset:         16
        .size:           8
        .value_kind:     global_buffer
      - .actual_access:  read_only
        .address_space:  global
        .offset:         24
        .size:           8
        .value_kind:     global_buffer
      - .actual_access:  read_only
        .address_space:  global
        .offset:         32
        .size:           8
        .value_kind:     global_buffer
      - .offset:         40
        .size:           4
        .value_kind:     by_value
      - .offset:         44
        .size:           4
        .value_kind:     by_value
      - .actual_access:  write_only
        .address_space:  global
        .offset:         48
        .size:           8
        .value_kind:     global_buffer
      - .actual_access:  write_only
        .address_space:  global
        .offset:         56
        .size:           8
        .value_kind:     global_buffer
      - .actual_access:  write_only
        .address_space:  global
        .offset:         64
        .size:           8
        .value_kind:     global_buffer
    .group_segment_fixed_size: 0
    .kernarg_segment_align: 8
    .kernarg_segment_size: 72
    .language:       OpenCL C
    .language_version:
      - 2
      - 0
    .max_flat_workgroup_size: 1024
    .name:           _ZN9rocsparseL35bsr2csr_block_per_row_33_256_kernelILj1024ELj64ELj32ElliEEv20rocsparse_direction_T4_S2_21rocsparse_index_base_PKT2_PKT3_PKS2_S2_S3_PS4_PS7_PS2_
    .private_segment_fixed_size: 0
    .sgpr_count:     38
    .sgpr_spill_count: 0
    .symbol:         _ZN9rocsparseL35bsr2csr_block_per_row_33_256_kernelILj1024ELj64ELj32ElliEEv20rocsparse_direction_T4_S2_21rocsparse_index_base_PKT2_PKT3_PKS2_S2_S3_PS4_PS7_PS2_.kd
    .uniform_work_group_size: 1
    .uses_dynamic_stack: false
    .vgpr_count:     28
    .vgpr_spill_count: 0
    .wavefront_size: 32
    .workgroup_processor_mode: 1
  - .args:
      - .offset:         0
        .size:           4
        .value_kind:     by_value
      - .offset:         4
        .size:           4
        .value_kind:     by_value
      - .offset:         8
        .size:           4
        .value_kind:     by_value
      - .offset:         12
        .size:           4
        .value_kind:     by_value
      - .actual_access:  read_only
        .address_space:  global
        .offset:         16
        .size:           8
        .value_kind:     global_buffer
      - .actual_access:  read_only
        .address_space:  global
        .offset:         24
        .size:           8
        .value_kind:     global_buffer
      - .actual_access:  read_only
        .address_space:  global
        .offset:         32
        .size:           8
        .value_kind:     global_buffer
      - .offset:         40
        .size:           4
        .value_kind:     by_value
      - .offset:         44
        .size:           4
        .value_kind:     by_value
      - .actual_access:  write_only
        .address_space:  global
        .offset:         48
        .size:           8
        .value_kind:     global_buffer
      - .actual_access:  write_only
        .address_space:  global
        .offset:         56
        .size:           8
        .value_kind:     global_buffer
      - .actual_access:  write_only
        .address_space:  global
        .offset:         64
        .size:           8
        .value_kind:     global_buffer
    .group_segment_fixed_size: 0
    .kernarg_segment_align: 8
    .kernarg_segment_size: 72
    .language:       OpenCL C
    .language_version:
      - 2
      - 0
    .max_flat_workgroup_size: 1024
    .name:           _ZN9rocsparseL35bsr2csr_block_per_row_33_256_kernelILj1024ELj128ELj32ElliEEv20rocsparse_direction_T4_S2_21rocsparse_index_base_PKT2_PKT3_PKS2_S2_S3_PS4_PS7_PS2_
    .private_segment_fixed_size: 0
    .sgpr_count:     52
    .sgpr_spill_count: 0
    .symbol:         _ZN9rocsparseL35bsr2csr_block_per_row_33_256_kernelILj1024ELj128ELj32ElliEEv20rocsparse_direction_T4_S2_21rocsparse_index_base_PKT2_PKT3_PKS2_S2_S3_PS4_PS7_PS2_.kd
    .uniform_work_group_size: 1
    .uses_dynamic_stack: false
    .vgpr_count:     46
    .vgpr_spill_count: 0
    .wavefront_size: 32
    .workgroup_processor_mode: 1
  - .args:
      - .offset:         0
        .size:           4
        .value_kind:     by_value
      - .offset:         4
        .size:           4
        .value_kind:     by_value
      - .offset:         8
        .size:           4
        .value_kind:     by_value
      - .offset:         12
        .size:           4
        .value_kind:     by_value
      - .actual_access:  read_only
        .address_space:  global
        .offset:         16
        .size:           8
        .value_kind:     global_buffer
      - .actual_access:  read_only
        .address_space:  global
        .offset:         24
        .size:           8
        .value_kind:     global_buffer
      - .actual_access:  read_only
        .address_space:  global
        .offset:         32
        .size:           8
        .value_kind:     global_buffer
      - .offset:         40
        .size:           4
        .value_kind:     by_value
      - .offset:         44
        .size:           4
        .value_kind:     by_value
      - .actual_access:  write_only
        .address_space:  global
        .offset:         48
        .size:           8
        .value_kind:     global_buffer
      - .actual_access:  write_only
        .address_space:  global
        .offset:         56
        .size:           8
        .value_kind:     global_buffer
      - .actual_access:  write_only
        .address_space:  global
        .offset:         64
        .size:           8
        .value_kind:     global_buffer
    .group_segment_fixed_size: 0
    .kernarg_segment_align: 8
    .kernarg_segment_size: 72
    .language:       OpenCL C
    .language_version:
      - 2
      - 0
    .max_flat_workgroup_size: 1024
    .name:           _ZN9rocsparseL35bsr2csr_block_per_row_33_256_kernelILj1024ELj256ELj32ElliEEv20rocsparse_direction_T4_S2_21rocsparse_index_base_PKT2_PKT3_PKS2_S2_S3_PS4_PS7_PS2_
    .private_segment_fixed_size: 0
    .sgpr_count:     94
    .sgpr_spill_count: 0
    .symbol:         _ZN9rocsparseL35bsr2csr_block_per_row_33_256_kernelILj1024ELj256ELj32ElliEEv20rocsparse_direction_T4_S2_21rocsparse_index_base_PKT2_PKT3_PKS2_S2_S3_PS4_PS7_PS2_.kd
    .uniform_work_group_size: 1
    .uses_dynamic_stack: false
    .vgpr_count:     78
    .vgpr_spill_count: 0
    .wavefront_size: 32
    .workgroup_processor_mode: 1
  - .args:
      - .offset:         0
        .size:           8
        .value_kind:     by_value
      - .offset:         8
        .size:           8
        .value_kind:     by_value
      - .offset:         16
        .size:           4
        .value_kind:     by_value
      - .actual_access:  read_only
        .address_space:  global
        .offset:         24
        .size:           8
        .value_kind:     global_buffer
      - .actual_access:  read_only
        .address_space:  global
        .offset:         32
        .size:           8
        .value_kind:     global_buffer
      - .actual_access:  read_only
        .address_space:  global
        .offset:         40
        .size:           8
        .value_kind:     global_buffer
      - .offset:         48
        .size:           4
        .value_kind:     by_value
      - .actual_access:  write_only
        .address_space:  global
        .offset:         56
        .size:           8
        .value_kind:     global_buffer
      - .actual_access:  write_only
        .address_space:  global
        .offset:         64
        .size:           8
        .value_kind:     global_buffer
      - .actual_access:  write_only
        .address_space:  global
        .offset:         72
        .size:           8
        .value_kind:     global_buffer
      - .offset:         80
        .size:           4
        .value_kind:     hidden_block_count_x
      - .offset:         84
        .size:           4
        .value_kind:     hidden_block_count_y
      - .offset:         88
        .size:           4
        .value_kind:     hidden_block_count_z
      - .offset:         92
        .size:           2
        .value_kind:     hidden_group_size_x
      - .offset:         94
        .size:           2
        .value_kind:     hidden_group_size_y
      - .offset:         96
        .size:           2
        .value_kind:     hidden_group_size_z
      - .offset:         98
        .size:           2
        .value_kind:     hidden_remainder_x
      - .offset:         100
        .size:           2
        .value_kind:     hidden_remainder_y
      - .offset:         102
        .size:           2
        .value_kind:     hidden_remainder_z
      - .offset:         120
        .size:           8
        .value_kind:     hidden_global_offset_x
      - .offset:         128
        .size:           8
        .value_kind:     hidden_global_offset_y
      - .offset:         136
        .size:           8
        .value_kind:     hidden_global_offset_z
      - .offset:         144
        .size:           2
        .value_kind:     hidden_grid_dims
    .group_segment_fixed_size: 0
    .kernarg_segment_align: 8
    .kernarg_segment_size: 336
    .language:       OpenCL C
    .language_version:
      - 2
      - 0
    .max_flat_workgroup_size: 1024
    .name:           _ZN9rocsparseL35bsr2csr_block_dim_equals_one_kernelILj1024ElilEEvT2_S1_21rocsparse_index_base_PKT0_PKT1_PKS1_S2_PS3_PS6_PS1_
    .private_segment_fixed_size: 0
    .sgpr_count:     24
    .sgpr_spill_count: 0
    .symbol:         _ZN9rocsparseL35bsr2csr_block_dim_equals_one_kernelILj1024ElilEEvT2_S1_21rocsparse_index_base_PKT0_PKT1_PKS1_S2_PS3_PS6_PS1_.kd
    .uniform_work_group_size: 1
    .uses_dynamic_stack: false
    .vgpr_count:     12
    .vgpr_spill_count: 0
    .wavefront_size: 32
    .workgroup_processor_mode: 1
  - .args:
      - .offset:         0
        .size:           4
        .value_kind:     by_value
      - .offset:         8
        .size:           8
        .value_kind:     by_value
      - .offset:         16
        .size:           8
        .value_kind:     by_value
      - .offset:         24
        .size:           4
        .value_kind:     by_value
      - .actual_access:  read_only
        .address_space:  global
        .offset:         32
        .size:           8
        .value_kind:     global_buffer
      - .actual_access:  read_only
        .address_space:  global
        .offset:         40
        .size:           8
        .value_kind:     global_buffer
      - .actual_access:  read_only
        .address_space:  global
        .offset:         48
        .size:           8
        .value_kind:     global_buffer
      - .offset:         56
        .size:           8
        .value_kind:     by_value
      - .offset:         64
        .size:           4
        .value_kind:     by_value
      - .actual_access:  write_only
        .address_space:  global
        .offset:         72
        .size:           8
        .value_kind:     global_buffer
      - .actual_access:  write_only
        .address_space:  global
        .offset:         80
        .size:           8
        .value_kind:     global_buffer
      - .actual_access:  write_only
        .address_space:  global
        .offset:         88
        .size:           8
        .value_kind:     global_buffer
    .group_segment_fixed_size: 0
    .kernarg_segment_align: 8
    .kernarg_segment_size: 96
    .language:       OpenCL C
    .language_version:
      - 2
      - 0
    .max_flat_workgroup_size: 256
    .name:           _ZN9rocsparseL32bsr2csr_block_per_row_2_7_kernelILj256ELj2ElilEEv20rocsparse_direction_T3_S2_21rocsparse_index_base_PKT1_PKT2_PKS2_S2_S3_PS4_PS7_PS2_
    .private_segment_fixed_size: 0
    .sgpr_count:     17
    .sgpr_spill_count: 0
    .symbol:         _ZN9rocsparseL32bsr2csr_block_per_row_2_7_kernelILj256ELj2ElilEEv20rocsparse_direction_T3_S2_21rocsparse_index_base_PKT1_PKT2_PKS2_S2_S3_PS4_PS7_PS2_.kd
    .uniform_work_group_size: 1
    .uses_dynamic_stack: false
    .vgpr_count:     21
    .vgpr_spill_count: 0
    .wavefront_size: 32
    .workgroup_processor_mode: 1
  - .args:
      - .offset:         0
        .size:           4
        .value_kind:     by_value
      - .offset:         8
        .size:           8
        .value_kind:     by_value
      - .offset:         16
        .size:           8
        .value_kind:     by_value
      - .offset:         24
        .size:           4
        .value_kind:     by_value
      - .actual_access:  read_only
        .address_space:  global
        .offset:         32
        .size:           8
        .value_kind:     global_buffer
      - .actual_access:  read_only
        .address_space:  global
        .offset:         40
        .size:           8
        .value_kind:     global_buffer
      - .actual_access:  read_only
        .address_space:  global
        .offset:         48
        .size:           8
        .value_kind:     global_buffer
      - .offset:         56
        .size:           8
        .value_kind:     by_value
      - .offset:         64
        .size:           4
        .value_kind:     by_value
      - .actual_access:  write_only
        .address_space:  global
        .offset:         72
        .size:           8
        .value_kind:     global_buffer
      - .actual_access:  write_only
        .address_space:  global
        .offset:         80
        .size:           8
        .value_kind:     global_buffer
      - .actual_access:  write_only
        .address_space:  global
        .offset:         88
        .size:           8
        .value_kind:     global_buffer
    .group_segment_fixed_size: 0
    .kernarg_segment_align: 8
    .kernarg_segment_size: 96
    .language:       OpenCL C
    .language_version:
      - 2
      - 0
    .max_flat_workgroup_size: 256
    .name:           _ZN9rocsparseL32bsr2csr_block_per_row_2_7_kernelILj256ELj3ElilEEv20rocsparse_direction_T3_S2_21rocsparse_index_base_PKT1_PKT2_PKS2_S2_S3_PS4_PS7_PS2_
    .private_segment_fixed_size: 0
    .sgpr_count:     16
    .sgpr_spill_count: 0
    .symbol:         _ZN9rocsparseL32bsr2csr_block_per_row_2_7_kernelILj256ELj3ElilEEv20rocsparse_direction_T3_S2_21rocsparse_index_base_PKT1_PKT2_PKS2_S2_S3_PS4_PS7_PS2_.kd
    .uniform_work_group_size: 1
    .uses_dynamic_stack: false
    .vgpr_count:     26
    .vgpr_spill_count: 0
    .wavefront_size: 32
    .workgroup_processor_mode: 1
  - .args:
      - .offset:         0
        .size:           4
        .value_kind:     by_value
      - .offset:         8
        .size:           8
        .value_kind:     by_value
      - .offset:         16
        .size:           8
        .value_kind:     by_value
      - .offset:         24
        .size:           4
        .value_kind:     by_value
      - .actual_access:  read_only
        .address_space:  global
        .offset:         32
        .size:           8
        .value_kind:     global_buffer
      - .actual_access:  read_only
        .address_space:  global
        .offset:         40
        .size:           8
        .value_kind:     global_buffer
      - .actual_access:  read_only
        .address_space:  global
        .offset:         48
        .size:           8
        .value_kind:     global_buffer
      - .offset:         56
        .size:           8
        .value_kind:     by_value
      - .offset:         64
        .size:           4
        .value_kind:     by_value
      - .actual_access:  write_only
        .address_space:  global
        .offset:         72
        .size:           8
        .value_kind:     global_buffer
      - .actual_access:  write_only
        .address_space:  global
        .offset:         80
        .size:           8
        .value_kind:     global_buffer
      - .actual_access:  write_only
        .address_space:  global
        .offset:         88
        .size:           8
        .value_kind:     global_buffer
    .group_segment_fixed_size: 0
    .kernarg_segment_align: 8
    .kernarg_segment_size: 96
    .language:       OpenCL C
    .language_version:
      - 2
      - 0
    .max_flat_workgroup_size: 256
    .name:           _ZN9rocsparseL32bsr2csr_block_per_row_2_7_kernelILj256ELj4ElilEEv20rocsparse_direction_T3_S2_21rocsparse_index_base_PKT1_PKT2_PKS2_S2_S3_PS4_PS7_PS2_
    .private_segment_fixed_size: 0
    .sgpr_count:     16
    .sgpr_spill_count: 0
    .symbol:         _ZN9rocsparseL32bsr2csr_block_per_row_2_7_kernelILj256ELj4ElilEEv20rocsparse_direction_T3_S2_21rocsparse_index_base_PKT1_PKT2_PKS2_S2_S3_PS4_PS7_PS2_.kd
    .uniform_work_group_size: 1
    .uses_dynamic_stack: false
    .vgpr_count:     31
    .vgpr_spill_count: 0
    .wavefront_size: 32
    .workgroup_processor_mode: 1
  - .args:
      - .offset:         0
        .size:           4
        .value_kind:     by_value
      - .offset:         8
        .size:           8
        .value_kind:     by_value
      - .offset:         16
        .size:           8
        .value_kind:     by_value
      - .offset:         24
        .size:           4
        .value_kind:     by_value
      - .actual_access:  read_only
        .address_space:  global
        .offset:         32
        .size:           8
        .value_kind:     global_buffer
      - .actual_access:  read_only
        .address_space:  global
        .offset:         40
        .size:           8
        .value_kind:     global_buffer
      - .actual_access:  read_only
        .address_space:  global
        .offset:         48
        .size:           8
        .value_kind:     global_buffer
      - .offset:         56
        .size:           8
        .value_kind:     by_value
      - .offset:         64
        .size:           4
        .value_kind:     by_value
      - .actual_access:  write_only
        .address_space:  global
        .offset:         72
        .size:           8
        .value_kind:     global_buffer
      - .actual_access:  write_only
        .address_space:  global
        .offset:         80
        .size:           8
        .value_kind:     global_buffer
      - .actual_access:  write_only
        .address_space:  global
        .offset:         88
        .size:           8
        .value_kind:     global_buffer
    .group_segment_fixed_size: 0
    .kernarg_segment_align: 8
    .kernarg_segment_size: 96
    .language:       OpenCL C
    .language_version:
      - 2
      - 0
    .max_flat_workgroup_size: 256
    .name:           _ZN9rocsparseL32bsr2csr_block_per_row_2_7_kernelILj256ELj5ElilEEv20rocsparse_direction_T3_S2_21rocsparse_index_base_PKT1_PKT2_PKS2_S2_S3_PS4_PS7_PS2_
    .private_segment_fixed_size: 0
    .sgpr_count:     17
    .sgpr_spill_count: 0
    .symbol:         _ZN9rocsparseL32bsr2csr_block_per_row_2_7_kernelILj256ELj5ElilEEv20rocsparse_direction_T3_S2_21rocsparse_index_base_PKT1_PKT2_PKS2_S2_S3_PS4_PS7_PS2_.kd
    .uniform_work_group_size: 1
    .uses_dynamic_stack: false
    .vgpr_count:     32
    .vgpr_spill_count: 0
    .wavefront_size: 32
    .workgroup_processor_mode: 1
  - .args:
      - .offset:         0
        .size:           4
        .value_kind:     by_value
      - .offset:         8
        .size:           8
        .value_kind:     by_value
      - .offset:         16
        .size:           8
        .value_kind:     by_value
      - .offset:         24
        .size:           4
        .value_kind:     by_value
      - .actual_access:  read_only
        .address_space:  global
        .offset:         32
        .size:           8
        .value_kind:     global_buffer
      - .actual_access:  read_only
        .address_space:  global
        .offset:         40
        .size:           8
        .value_kind:     global_buffer
      - .actual_access:  read_only
        .address_space:  global
        .offset:         48
        .size:           8
        .value_kind:     global_buffer
      - .offset:         56
        .size:           8
        .value_kind:     by_value
      - .offset:         64
        .size:           4
        .value_kind:     by_value
      - .actual_access:  write_only
        .address_space:  global
        .offset:         72
        .size:           8
        .value_kind:     global_buffer
      - .actual_access:  write_only
        .address_space:  global
        .offset:         80
        .size:           8
        .value_kind:     global_buffer
      - .actual_access:  write_only
        .address_space:  global
        .offset:         88
        .size:           8
        .value_kind:     global_buffer
    .group_segment_fixed_size: 0
    .kernarg_segment_align: 8
    .kernarg_segment_size: 96
    .language:       OpenCL C
    .language_version:
      - 2
      - 0
    .max_flat_workgroup_size: 256
    .name:           _ZN9rocsparseL32bsr2csr_block_per_row_2_7_kernelILj256ELj6ElilEEv20rocsparse_direction_T3_S2_21rocsparse_index_base_PKT1_PKT2_PKS2_S2_S3_PS4_PS7_PS2_
    .private_segment_fixed_size: 0
    .sgpr_count:     18
    .sgpr_spill_count: 0
    .symbol:         _ZN9rocsparseL32bsr2csr_block_per_row_2_7_kernelILj256ELj6ElilEEv20rocsparse_direction_T3_S2_21rocsparse_index_base_PKT1_PKT2_PKS2_S2_S3_PS4_PS7_PS2_.kd
    .uniform_work_group_size: 1
    .uses_dynamic_stack: false
    .vgpr_count:     37
    .vgpr_spill_count: 0
    .wavefront_size: 32
    .workgroup_processor_mode: 1
  - .args:
      - .offset:         0
        .size:           4
        .value_kind:     by_value
      - .offset:         8
        .size:           8
        .value_kind:     by_value
      - .offset:         16
        .size:           8
        .value_kind:     by_value
      - .offset:         24
        .size:           4
        .value_kind:     by_value
      - .actual_access:  read_only
        .address_space:  global
        .offset:         32
        .size:           8
        .value_kind:     global_buffer
      - .actual_access:  read_only
        .address_space:  global
        .offset:         40
        .size:           8
        .value_kind:     global_buffer
      - .actual_access:  read_only
        .address_space:  global
        .offset:         48
        .size:           8
        .value_kind:     global_buffer
      - .offset:         56
        .size:           8
        .value_kind:     by_value
      - .offset:         64
        .size:           4
        .value_kind:     by_value
      - .actual_access:  write_only
        .address_space:  global
        .offset:         72
        .size:           8
        .value_kind:     global_buffer
      - .actual_access:  write_only
        .address_space:  global
        .offset:         80
        .size:           8
        .value_kind:     global_buffer
      - .actual_access:  write_only
        .address_space:  global
        .offset:         88
        .size:           8
        .value_kind:     global_buffer
    .group_segment_fixed_size: 0
    .kernarg_segment_align: 8
    .kernarg_segment_size: 96
    .language:       OpenCL C
    .language_version:
      - 2
      - 0
    .max_flat_workgroup_size: 256
    .name:           _ZN9rocsparseL32bsr2csr_block_per_row_2_7_kernelILj256ELj7ElilEEv20rocsparse_direction_T3_S2_21rocsparse_index_base_PKT1_PKT2_PKS2_S2_S3_PS4_PS7_PS2_
    .private_segment_fixed_size: 0
    .sgpr_count:     19
    .sgpr_spill_count: 0
    .symbol:         _ZN9rocsparseL32bsr2csr_block_per_row_2_7_kernelILj256ELj7ElilEEv20rocsparse_direction_T3_S2_21rocsparse_index_base_PKT1_PKT2_PKS2_S2_S3_PS4_PS7_PS2_.kd
    .uniform_work_group_size: 1
    .uses_dynamic_stack: false
    .vgpr_count:     41
    .vgpr_spill_count: 0
    .wavefront_size: 32
    .workgroup_processor_mode: 1
  - .args:
      - .offset:         0
        .size:           4
        .value_kind:     by_value
      - .offset:         8
        .size:           8
        .value_kind:     by_value
      - .offset:         16
        .size:           8
        .value_kind:     by_value
      - .offset:         24
        .size:           4
        .value_kind:     by_value
      - .actual_access:  read_only
        .address_space:  global
        .offset:         32
        .size:           8
        .value_kind:     global_buffer
      - .actual_access:  read_only
        .address_space:  global
        .offset:         40
        .size:           8
        .value_kind:     global_buffer
      - .actual_access:  read_only
        .address_space:  global
        .offset:         48
        .size:           8
        .value_kind:     global_buffer
      - .offset:         56
        .size:           8
        .value_kind:     by_value
      - .offset:         64
        .size:           4
        .value_kind:     by_value
      - .actual_access:  write_only
        .address_space:  global
        .offset:         72
        .size:           8
        .value_kind:     global_buffer
      - .actual_access:  write_only
        .address_space:  global
        .offset:         80
        .size:           8
        .value_kind:     global_buffer
      - .actual_access:  write_only
        .address_space:  global
        .offset:         88
        .size:           8
        .value_kind:     global_buffer
    .group_segment_fixed_size: 0
    .kernarg_segment_align: 8
    .kernarg_segment_size: 96
    .language:       OpenCL C
    .language_version:
      - 2
      - 0
    .max_flat_workgroup_size: 1024
    .name:           _ZN9rocsparseL33bsr2csr_block_per_row_8_32_kernelILj1024ELj8ElilEEv20rocsparse_direction_T3_S2_21rocsparse_index_base_PKT1_PKT2_PKS2_S2_S3_PS4_PS7_PS2_
    .private_segment_fixed_size: 0
    .sgpr_count:     22
    .sgpr_spill_count: 0
    .symbol:         _ZN9rocsparseL33bsr2csr_block_per_row_8_32_kernelILj1024ELj8ElilEEv20rocsparse_direction_T3_S2_21rocsparse_index_base_PKT1_PKT2_PKS2_S2_S3_PS4_PS7_PS2_.kd
    .uniform_work_group_size: 1
    .uses_dynamic_stack: false
    .vgpr_count:     18
    .vgpr_spill_count: 0
    .wavefront_size: 32
    .workgroup_processor_mode: 1
  - .args:
      - .offset:         0
        .size:           4
        .value_kind:     by_value
      - .offset:         8
        .size:           8
        .value_kind:     by_value
      - .offset:         16
        .size:           8
        .value_kind:     by_value
      - .offset:         24
        .size:           4
        .value_kind:     by_value
      - .actual_access:  read_only
        .address_space:  global
        .offset:         32
        .size:           8
        .value_kind:     global_buffer
      - .actual_access:  read_only
        .address_space:  global
        .offset:         40
        .size:           8
        .value_kind:     global_buffer
      - .actual_access:  read_only
        .address_space:  global
        .offset:         48
        .size:           8
        .value_kind:     global_buffer
      - .offset:         56
        .size:           8
        .value_kind:     by_value
      - .offset:         64
        .size:           4
        .value_kind:     by_value
      - .actual_access:  write_only
        .address_space:  global
        .offset:         72
        .size:           8
        .value_kind:     global_buffer
      - .actual_access:  write_only
        .address_space:  global
        .offset:         80
        .size:           8
        .value_kind:     global_buffer
      - .actual_access:  write_only
        .address_space:  global
        .offset:         88
        .size:           8
        .value_kind:     global_buffer
    .group_segment_fixed_size: 0
    .kernarg_segment_align: 8
    .kernarg_segment_size: 96
    .language:       OpenCL C
    .language_version:
      - 2
      - 0
    .max_flat_workgroup_size: 1024
    .name:           _ZN9rocsparseL33bsr2csr_block_per_row_8_32_kernelILj1024ELj16ElilEEv20rocsparse_direction_T3_S2_21rocsparse_index_base_PKT1_PKT2_PKS2_S2_S3_PS4_PS7_PS2_
    .private_segment_fixed_size: 0
    .sgpr_count:     22
    .sgpr_spill_count: 0
    .symbol:         _ZN9rocsparseL33bsr2csr_block_per_row_8_32_kernelILj1024ELj16ElilEEv20rocsparse_direction_T3_S2_21rocsparse_index_base_PKT1_PKT2_PKS2_S2_S3_PS4_PS7_PS2_.kd
    .uniform_work_group_size: 1
    .uses_dynamic_stack: false
    .vgpr_count:     18
    .vgpr_spill_count: 0
    .wavefront_size: 32
    .workgroup_processor_mode: 1
  - .args:
      - .offset:         0
        .size:           4
        .value_kind:     by_value
      - .offset:         8
        .size:           8
        .value_kind:     by_value
      - .offset:         16
        .size:           8
        .value_kind:     by_value
      - .offset:         24
        .size:           4
        .value_kind:     by_value
      - .actual_access:  read_only
        .address_space:  global
        .offset:         32
        .size:           8
        .value_kind:     global_buffer
      - .actual_access:  read_only
        .address_space:  global
        .offset:         40
        .size:           8
        .value_kind:     global_buffer
      - .actual_access:  read_only
        .address_space:  global
        .offset:         48
        .size:           8
        .value_kind:     global_buffer
      - .offset:         56
        .size:           8
        .value_kind:     by_value
      - .offset:         64
        .size:           4
        .value_kind:     by_value
      - .actual_access:  write_only
        .address_space:  global
        .offset:         72
        .size:           8
        .value_kind:     global_buffer
      - .actual_access:  write_only
        .address_space:  global
        .offset:         80
        .size:           8
        .value_kind:     global_buffer
      - .actual_access:  write_only
        .address_space:  global
        .offset:         88
        .size:           8
        .value_kind:     global_buffer
    .group_segment_fixed_size: 0
    .kernarg_segment_align: 8
    .kernarg_segment_size: 96
    .language:       OpenCL C
    .language_version:
      - 2
      - 0
    .max_flat_workgroup_size: 1024
    .name:           _ZN9rocsparseL33bsr2csr_block_per_row_8_32_kernelILj1024ELj32ElilEEv20rocsparse_direction_T3_S2_21rocsparse_index_base_PKT1_PKT2_PKS2_S2_S3_PS4_PS7_PS2_
    .private_segment_fixed_size: 0
    .sgpr_count:     21
    .sgpr_spill_count: 0
    .symbol:         _ZN9rocsparseL33bsr2csr_block_per_row_8_32_kernelILj1024ELj32ElilEEv20rocsparse_direction_T3_S2_21rocsparse_index_base_PKT1_PKT2_PKS2_S2_S3_PS4_PS7_PS2_.kd
    .uniform_work_group_size: 1
    .uses_dynamic_stack: false
    .vgpr_count:     15
    .vgpr_spill_count: 0
    .wavefront_size: 32
    .workgroup_processor_mode: 1
  - .args:
      - .offset:         0
        .size:           4
        .value_kind:     by_value
      - .offset:         8
        .size:           8
        .value_kind:     by_value
      - .offset:         16
        .size:           8
        .value_kind:     by_value
      - .offset:         24
        .size:           4
        .value_kind:     by_value
      - .actual_access:  read_only
        .address_space:  global
        .offset:         32
        .size:           8
        .value_kind:     global_buffer
      - .actual_access:  read_only
        .address_space:  global
        .offset:         40
        .size:           8
        .value_kind:     global_buffer
      - .actual_access:  read_only
        .address_space:  global
        .offset:         48
        .size:           8
        .value_kind:     global_buffer
      - .offset:         56
        .size:           8
        .value_kind:     by_value
      - .offset:         64
        .size:           4
        .value_kind:     by_value
      - .actual_access:  write_only
        .address_space:  global
        .offset:         72
        .size:           8
        .value_kind:     global_buffer
      - .actual_access:  write_only
        .address_space:  global
        .offset:         80
        .size:           8
        .value_kind:     global_buffer
      - .actual_access:  write_only
        .address_space:  global
        .offset:         88
        .size:           8
        .value_kind:     global_buffer
    .group_segment_fixed_size: 0
    .kernarg_segment_align: 8
    .kernarg_segment_size: 96
    .language:       OpenCL C
    .language_version:
      - 2
      - 0
    .max_flat_workgroup_size: 1024
    .name:           _ZN9rocsparseL35bsr2csr_block_per_row_33_256_kernelILj1024ELj64ELj32ElilEEv20rocsparse_direction_T4_S2_21rocsparse_index_base_PKT2_PKT3_PKS2_S2_S3_PS4_PS7_PS2_
    .private_segment_fixed_size: 0
    .sgpr_count:     28
    .sgpr_spill_count: 0
    .symbol:         _ZN9rocsparseL35bsr2csr_block_per_row_33_256_kernelILj1024ELj64ELj32ElilEEv20rocsparse_direction_T4_S2_21rocsparse_index_base_PKT2_PKT3_PKS2_S2_S3_PS4_PS7_PS2_.kd
    .uniform_work_group_size: 1
    .uses_dynamic_stack: false
    .vgpr_count:     22
    .vgpr_spill_count: 0
    .wavefront_size: 32
    .workgroup_processor_mode: 1
  - .args:
      - .offset:         0
        .size:           4
        .value_kind:     by_value
      - .offset:         8
        .size:           8
        .value_kind:     by_value
      - .offset:         16
        .size:           8
        .value_kind:     by_value
      - .offset:         24
        .size:           4
        .value_kind:     by_value
      - .actual_access:  read_only
        .address_space:  global
        .offset:         32
        .size:           8
        .value_kind:     global_buffer
      - .actual_access:  read_only
        .address_space:  global
        .offset:         40
        .size:           8
        .value_kind:     global_buffer
      - .actual_access:  read_only
        .address_space:  global
        .offset:         48
        .size:           8
        .value_kind:     global_buffer
      - .offset:         56
        .size:           8
        .value_kind:     by_value
      - .offset:         64
        .size:           4
        .value_kind:     by_value
      - .actual_access:  write_only
        .address_space:  global
        .offset:         72
        .size:           8
        .value_kind:     global_buffer
      - .actual_access:  write_only
        .address_space:  global
        .offset:         80
        .size:           8
        .value_kind:     global_buffer
      - .actual_access:  write_only
        .address_space:  global
        .offset:         88
        .size:           8
        .value_kind:     global_buffer
    .group_segment_fixed_size: 0
    .kernarg_segment_align: 8
    .kernarg_segment_size: 96
    .language:       OpenCL C
    .language_version:
      - 2
      - 0
    .max_flat_workgroup_size: 1024
    .name:           _ZN9rocsparseL35bsr2csr_block_per_row_33_256_kernelILj1024ELj128ELj32ElilEEv20rocsparse_direction_T4_S2_21rocsparse_index_base_PKT2_PKT3_PKS2_S2_S3_PS4_PS7_PS2_
    .private_segment_fixed_size: 0
    .sgpr_count:     44
    .sgpr_spill_count: 0
    .symbol:         _ZN9rocsparseL35bsr2csr_block_per_row_33_256_kernelILj1024ELj128ELj32ElilEEv20rocsparse_direction_T4_S2_21rocsparse_index_base_PKT2_PKT3_PKS2_S2_S3_PS4_PS7_PS2_.kd
    .uniform_work_group_size: 1
    .uses_dynamic_stack: false
    .vgpr_count:     46
    .vgpr_spill_count: 0
    .wavefront_size: 32
    .workgroup_processor_mode: 1
  - .args:
      - .offset:         0
        .size:           4
        .value_kind:     by_value
      - .offset:         8
        .size:           8
        .value_kind:     by_value
      - .offset:         16
        .size:           8
        .value_kind:     by_value
      - .offset:         24
        .size:           4
        .value_kind:     by_value
      - .actual_access:  read_only
        .address_space:  global
        .offset:         32
        .size:           8
        .value_kind:     global_buffer
      - .actual_access:  read_only
        .address_space:  global
        .offset:         40
        .size:           8
        .value_kind:     global_buffer
      - .actual_access:  read_only
        .address_space:  global
        .offset:         48
        .size:           8
        .value_kind:     global_buffer
      - .offset:         56
        .size:           8
        .value_kind:     by_value
      - .offset:         64
        .size:           4
        .value_kind:     by_value
      - .actual_access:  write_only
        .address_space:  global
        .offset:         72
        .size:           8
        .value_kind:     global_buffer
      - .actual_access:  write_only
        .address_space:  global
        .offset:         80
        .size:           8
        .value_kind:     global_buffer
      - .actual_access:  write_only
        .address_space:  global
        .offset:         88
        .size:           8
        .value_kind:     global_buffer
    .group_segment_fixed_size: 0
    .kernarg_segment_align: 8
    .kernarg_segment_size: 96
    .language:       OpenCL C
    .language_version:
      - 2
      - 0
    .max_flat_workgroup_size: 1024
    .name:           _ZN9rocsparseL35bsr2csr_block_per_row_33_256_kernelILj1024ELj256ELj32ElilEEv20rocsparse_direction_T4_S2_21rocsparse_index_base_PKT2_PKT3_PKS2_S2_S3_PS4_PS7_PS2_
    .private_segment_fixed_size: 0
    .sgpr_count:     91
    .sgpr_spill_count: 0
    .symbol:         _ZN9rocsparseL35bsr2csr_block_per_row_33_256_kernelILj1024ELj256ELj32ElilEEv20rocsparse_direction_T4_S2_21rocsparse_index_base_PKT2_PKT3_PKS2_S2_S3_PS4_PS7_PS2_.kd
    .uniform_work_group_size: 1
    .uses_dynamic_stack: false
    .vgpr_count:     79
    .vgpr_spill_count: 0
    .wavefront_size: 32
    .workgroup_processor_mode: 1
  - .args:
      - .offset:         0
        .size:           8
        .value_kind:     by_value
      - .offset:         8
        .size:           8
        .value_kind:     by_value
      - .offset:         16
        .size:           4
        .value_kind:     by_value
      - .actual_access:  read_only
        .address_space:  global
        .offset:         24
        .size:           8
        .value_kind:     global_buffer
      - .actual_access:  read_only
        .address_space:  global
        .offset:         32
        .size:           8
        .value_kind:     global_buffer
      - .actual_access:  read_only
        .address_space:  global
        .offset:         40
        .size:           8
        .value_kind:     global_buffer
      - .offset:         48
        .size:           4
        .value_kind:     by_value
      - .actual_access:  write_only
        .address_space:  global
        .offset:         56
        .size:           8
        .value_kind:     global_buffer
      - .actual_access:  write_only
        .address_space:  global
        .offset:         64
        .size:           8
        .value_kind:     global_buffer
      - .actual_access:  write_only
        .address_space:  global
        .offset:         72
        .size:           8
        .value_kind:     global_buffer
      - .offset:         80
        .size:           4
        .value_kind:     hidden_block_count_x
      - .offset:         84
        .size:           4
        .value_kind:     hidden_block_count_y
      - .offset:         88
        .size:           4
        .value_kind:     hidden_block_count_z
      - .offset:         92
        .size:           2
        .value_kind:     hidden_group_size_x
      - .offset:         94
        .size:           2
        .value_kind:     hidden_group_size_y
      - .offset:         96
        .size:           2
        .value_kind:     hidden_group_size_z
      - .offset:         98
        .size:           2
        .value_kind:     hidden_remainder_x
      - .offset:         100
        .size:           2
        .value_kind:     hidden_remainder_y
      - .offset:         102
        .size:           2
        .value_kind:     hidden_remainder_z
      - .offset:         120
        .size:           8
        .value_kind:     hidden_global_offset_x
      - .offset:         128
        .size:           8
        .value_kind:     hidden_global_offset_y
      - .offset:         136
        .size:           8
        .value_kind:     hidden_global_offset_z
      - .offset:         144
        .size:           2
        .value_kind:     hidden_grid_dims
    .group_segment_fixed_size: 0
    .kernarg_segment_align: 8
    .kernarg_segment_size: 336
    .language:       OpenCL C
    .language_version:
      - 2
      - 0
    .max_flat_workgroup_size: 1024
    .name:           _ZN9rocsparseL35bsr2csr_block_dim_equals_one_kernelILj1024ElllEEvT2_S1_21rocsparse_index_base_PKT0_PKT1_PKS1_S2_PS3_PS6_PS1_
    .private_segment_fixed_size: 0
    .sgpr_count:     26
    .sgpr_spill_count: 0
    .symbol:         _ZN9rocsparseL35bsr2csr_block_dim_equals_one_kernelILj1024ElllEEvT2_S1_21rocsparse_index_base_PKT0_PKT1_PKS1_S2_PS3_PS6_PS1_.kd
    .uniform_work_group_size: 1
    .uses_dynamic_stack: false
    .vgpr_count:     12
    .vgpr_spill_count: 0
    .wavefront_size: 32
    .workgroup_processor_mode: 1
  - .args:
      - .offset:         0
        .size:           4
        .value_kind:     by_value
      - .offset:         8
        .size:           8
        .value_kind:     by_value
      - .offset:         16
        .size:           8
        .value_kind:     by_value
      - .offset:         24
        .size:           4
        .value_kind:     by_value
      - .actual_access:  read_only
        .address_space:  global
        .offset:         32
        .size:           8
        .value_kind:     global_buffer
      - .actual_access:  read_only
        .address_space:  global
        .offset:         40
        .size:           8
        .value_kind:     global_buffer
      - .actual_access:  read_only
        .address_space:  global
        .offset:         48
        .size:           8
        .value_kind:     global_buffer
      - .offset:         56
        .size:           8
        .value_kind:     by_value
      - .offset:         64
        .size:           4
        .value_kind:     by_value
      - .actual_access:  write_only
        .address_space:  global
        .offset:         72
        .size:           8
        .value_kind:     global_buffer
      - .actual_access:  write_only
        .address_space:  global
        .offset:         80
        .size:           8
        .value_kind:     global_buffer
      - .actual_access:  write_only
        .address_space:  global
        .offset:         88
        .size:           8
        .value_kind:     global_buffer
    .group_segment_fixed_size: 0
    .kernarg_segment_align: 8
    .kernarg_segment_size: 96
    .language:       OpenCL C
    .language_version:
      - 2
      - 0
    .max_flat_workgroup_size: 256
    .name:           _ZN9rocsparseL32bsr2csr_block_per_row_2_7_kernelILj256ELj2ElllEEv20rocsparse_direction_T3_S2_21rocsparse_index_base_PKT1_PKT2_PKS2_S2_S3_PS4_PS7_PS2_
    .private_segment_fixed_size: 0
    .sgpr_count:     22
    .sgpr_spill_count: 0
    .symbol:         _ZN9rocsparseL32bsr2csr_block_per_row_2_7_kernelILj256ELj2ElllEEv20rocsparse_direction_T3_S2_21rocsparse_index_base_PKT1_PKT2_PKS2_S2_S3_PS4_PS7_PS2_.kd
    .uniform_work_group_size: 1
    .uses_dynamic_stack: false
    .vgpr_count:     22
    .vgpr_spill_count: 0
    .wavefront_size: 32
    .workgroup_processor_mode: 1
  - .args:
      - .offset:         0
        .size:           4
        .value_kind:     by_value
      - .offset:         8
        .size:           8
        .value_kind:     by_value
      - .offset:         16
        .size:           8
        .value_kind:     by_value
      - .offset:         24
        .size:           4
        .value_kind:     by_value
      - .actual_access:  read_only
        .address_space:  global
        .offset:         32
        .size:           8
        .value_kind:     global_buffer
      - .actual_access:  read_only
        .address_space:  global
        .offset:         40
        .size:           8
        .value_kind:     global_buffer
      - .actual_access:  read_only
        .address_space:  global
        .offset:         48
        .size:           8
        .value_kind:     global_buffer
      - .offset:         56
        .size:           8
        .value_kind:     by_value
      - .offset:         64
        .size:           4
        .value_kind:     by_value
      - .actual_access:  write_only
        .address_space:  global
        .offset:         72
        .size:           8
        .value_kind:     global_buffer
      - .actual_access:  write_only
        .address_space:  global
        .offset:         80
        .size:           8
        .value_kind:     global_buffer
      - .actual_access:  write_only
        .address_space:  global
        .offset:         88
        .size:           8
        .value_kind:     global_buffer
    .group_segment_fixed_size: 0
    .kernarg_segment_align: 8
    .kernarg_segment_size: 96
    .language:       OpenCL C
    .language_version:
      - 2
      - 0
    .max_flat_workgroup_size: 256
    .name:           _ZN9rocsparseL32bsr2csr_block_per_row_2_7_kernelILj256ELj3ElllEEv20rocsparse_direction_T3_S2_21rocsparse_index_base_PKT1_PKT2_PKS2_S2_S3_PS4_PS7_PS2_
    .private_segment_fixed_size: 0
    .sgpr_count:     21
    .sgpr_spill_count: 0
    .symbol:         _ZN9rocsparseL32bsr2csr_block_per_row_2_7_kernelILj256ELj3ElllEEv20rocsparse_direction_T3_S2_21rocsparse_index_base_PKT1_PKT2_PKS2_S2_S3_PS4_PS7_PS2_.kd
    .uniform_work_group_size: 1
    .uses_dynamic_stack: false
    .vgpr_count:     27
    .vgpr_spill_count: 0
    .wavefront_size: 32
    .workgroup_processor_mode: 1
  - .args:
      - .offset:         0
        .size:           4
        .value_kind:     by_value
      - .offset:         8
        .size:           8
        .value_kind:     by_value
      - .offset:         16
        .size:           8
        .value_kind:     by_value
      - .offset:         24
        .size:           4
        .value_kind:     by_value
      - .actual_access:  read_only
        .address_space:  global
        .offset:         32
        .size:           8
        .value_kind:     global_buffer
      - .actual_access:  read_only
        .address_space:  global
        .offset:         40
        .size:           8
        .value_kind:     global_buffer
      - .actual_access:  read_only
        .address_space:  global
        .offset:         48
        .size:           8
        .value_kind:     global_buffer
      - .offset:         56
        .size:           8
        .value_kind:     by_value
      - .offset:         64
        .size:           4
        .value_kind:     by_value
      - .actual_access:  write_only
        .address_space:  global
        .offset:         72
        .size:           8
        .value_kind:     global_buffer
      - .actual_access:  write_only
        .address_space:  global
        .offset:         80
        .size:           8
        .value_kind:     global_buffer
      - .actual_access:  write_only
        .address_space:  global
        .offset:         88
        .size:           8
        .value_kind:     global_buffer
    .group_segment_fixed_size: 0
    .kernarg_segment_align: 8
    .kernarg_segment_size: 96
    .language:       OpenCL C
    .language_version:
      - 2
      - 0
    .max_flat_workgroup_size: 256
    .name:           _ZN9rocsparseL32bsr2csr_block_per_row_2_7_kernelILj256ELj4ElllEEv20rocsparse_direction_T3_S2_21rocsparse_index_base_PKT1_PKT2_PKS2_S2_S3_PS4_PS7_PS2_
    .private_segment_fixed_size: 0
    .sgpr_count:     24
    .sgpr_spill_count: 0
    .symbol:         _ZN9rocsparseL32bsr2csr_block_per_row_2_7_kernelILj256ELj4ElllEEv20rocsparse_direction_T3_S2_21rocsparse_index_base_PKT1_PKT2_PKS2_S2_S3_PS4_PS7_PS2_.kd
    .uniform_work_group_size: 1
    .uses_dynamic_stack: false
    .vgpr_count:     30
    .vgpr_spill_count: 0
    .wavefront_size: 32
    .workgroup_processor_mode: 1
  - .args:
      - .offset:         0
        .size:           4
        .value_kind:     by_value
      - .offset:         8
        .size:           8
        .value_kind:     by_value
      - .offset:         16
        .size:           8
        .value_kind:     by_value
      - .offset:         24
        .size:           4
        .value_kind:     by_value
      - .actual_access:  read_only
        .address_space:  global
        .offset:         32
        .size:           8
        .value_kind:     global_buffer
      - .actual_access:  read_only
        .address_space:  global
        .offset:         40
        .size:           8
        .value_kind:     global_buffer
      - .actual_access:  read_only
        .address_space:  global
        .offset:         48
        .size:           8
        .value_kind:     global_buffer
      - .offset:         56
        .size:           8
        .value_kind:     by_value
      - .offset:         64
        .size:           4
        .value_kind:     by_value
      - .actual_access:  write_only
        .address_space:  global
        .offset:         72
        .size:           8
        .value_kind:     global_buffer
      - .actual_access:  write_only
        .address_space:  global
        .offset:         80
        .size:           8
        .value_kind:     global_buffer
      - .actual_access:  write_only
        .address_space:  global
        .offset:         88
        .size:           8
        .value_kind:     global_buffer
    .group_segment_fixed_size: 0
    .kernarg_segment_align: 8
    .kernarg_segment_size: 96
    .language:       OpenCL C
    .language_version:
      - 2
      - 0
    .max_flat_workgroup_size: 256
    .name:           _ZN9rocsparseL32bsr2csr_block_per_row_2_7_kernelILj256ELj5ElllEEv20rocsparse_direction_T3_S2_21rocsparse_index_base_PKT1_PKT2_PKS2_S2_S3_PS4_PS7_PS2_
    .private_segment_fixed_size: 0
    .sgpr_count:     21
    .sgpr_spill_count: 0
    .symbol:         _ZN9rocsparseL32bsr2csr_block_per_row_2_7_kernelILj256ELj5ElllEEv20rocsparse_direction_T3_S2_21rocsparse_index_base_PKT1_PKT2_PKS2_S2_S3_PS4_PS7_PS2_.kd
    .uniform_work_group_size: 1
    .uses_dynamic_stack: false
    .vgpr_count:     37
    .vgpr_spill_count: 0
    .wavefront_size: 32
    .workgroup_processor_mode: 1
  - .args:
      - .offset:         0
        .size:           4
        .value_kind:     by_value
      - .offset:         8
        .size:           8
        .value_kind:     by_value
      - .offset:         16
        .size:           8
        .value_kind:     by_value
      - .offset:         24
        .size:           4
        .value_kind:     by_value
      - .actual_access:  read_only
        .address_space:  global
        .offset:         32
        .size:           8
        .value_kind:     global_buffer
      - .actual_access:  read_only
        .address_space:  global
        .offset:         40
        .size:           8
        .value_kind:     global_buffer
      - .actual_access:  read_only
        .address_space:  global
        .offset:         48
        .size:           8
        .value_kind:     global_buffer
      - .offset:         56
        .size:           8
        .value_kind:     by_value
      - .offset:         64
        .size:           4
        .value_kind:     by_value
      - .actual_access:  write_only
        .address_space:  global
        .offset:         72
        .size:           8
        .value_kind:     global_buffer
      - .actual_access:  write_only
        .address_space:  global
        .offset:         80
        .size:           8
        .value_kind:     global_buffer
      - .actual_access:  write_only
        .address_space:  global
        .offset:         88
        .size:           8
        .value_kind:     global_buffer
    .group_segment_fixed_size: 0
    .kernarg_segment_align: 8
    .kernarg_segment_size: 96
    .language:       OpenCL C
    .language_version:
      - 2
      - 0
    .max_flat_workgroup_size: 256
    .name:           _ZN9rocsparseL32bsr2csr_block_per_row_2_7_kernelILj256ELj6ElllEEv20rocsparse_direction_T3_S2_21rocsparse_index_base_PKT1_PKT2_PKS2_S2_S3_PS4_PS7_PS2_
    .private_segment_fixed_size: 0
    .sgpr_count:     21
    .sgpr_spill_count: 0
    .symbol:         _ZN9rocsparseL32bsr2csr_block_per_row_2_7_kernelILj256ELj6ElllEEv20rocsparse_direction_T3_S2_21rocsparse_index_base_PKT1_PKT2_PKS2_S2_S3_PS4_PS7_PS2_.kd
    .uniform_work_group_size: 1
    .uses_dynamic_stack: false
    .vgpr_count:     38
    .vgpr_spill_count: 0
    .wavefront_size: 32
    .workgroup_processor_mode: 1
  - .args:
      - .offset:         0
        .size:           4
        .value_kind:     by_value
      - .offset:         8
        .size:           8
        .value_kind:     by_value
      - .offset:         16
        .size:           8
        .value_kind:     by_value
      - .offset:         24
        .size:           4
        .value_kind:     by_value
      - .actual_access:  read_only
        .address_space:  global
        .offset:         32
        .size:           8
        .value_kind:     global_buffer
      - .actual_access:  read_only
        .address_space:  global
        .offset:         40
        .size:           8
        .value_kind:     global_buffer
      - .actual_access:  read_only
        .address_space:  global
        .offset:         48
        .size:           8
        .value_kind:     global_buffer
      - .offset:         56
        .size:           8
        .value_kind:     by_value
      - .offset:         64
        .size:           4
        .value_kind:     by_value
      - .actual_access:  write_only
        .address_space:  global
        .offset:         72
        .size:           8
        .value_kind:     global_buffer
      - .actual_access:  write_only
        .address_space:  global
        .offset:         80
        .size:           8
        .value_kind:     global_buffer
      - .actual_access:  write_only
        .address_space:  global
        .offset:         88
        .size:           8
        .value_kind:     global_buffer
    .group_segment_fixed_size: 0
    .kernarg_segment_align: 8
    .kernarg_segment_size: 96
    .language:       OpenCL C
    .language_version:
      - 2
      - 0
    .max_flat_workgroup_size: 256
    .name:           _ZN9rocsparseL32bsr2csr_block_per_row_2_7_kernelILj256ELj7ElllEEv20rocsparse_direction_T3_S2_21rocsparse_index_base_PKT1_PKT2_PKS2_S2_S3_PS4_PS7_PS2_
    .private_segment_fixed_size: 0
    .sgpr_count:     21
    .sgpr_spill_count: 0
    .symbol:         _ZN9rocsparseL32bsr2csr_block_per_row_2_7_kernelILj256ELj7ElllEEv20rocsparse_direction_T3_S2_21rocsparse_index_base_PKT1_PKT2_PKS2_S2_S3_PS4_PS7_PS2_.kd
    .uniform_work_group_size: 1
    .uses_dynamic_stack: false
    .vgpr_count:     42
    .vgpr_spill_count: 0
    .wavefront_size: 32
    .workgroup_processor_mode: 1
  - .args:
      - .offset:         0
        .size:           4
        .value_kind:     by_value
      - .offset:         8
        .size:           8
        .value_kind:     by_value
      - .offset:         16
        .size:           8
        .value_kind:     by_value
      - .offset:         24
        .size:           4
        .value_kind:     by_value
      - .actual_access:  read_only
        .address_space:  global
        .offset:         32
        .size:           8
        .value_kind:     global_buffer
      - .actual_access:  read_only
        .address_space:  global
        .offset:         40
        .size:           8
        .value_kind:     global_buffer
      - .actual_access:  read_only
        .address_space:  global
        .offset:         48
        .size:           8
        .value_kind:     global_buffer
      - .offset:         56
        .size:           8
        .value_kind:     by_value
      - .offset:         64
        .size:           4
        .value_kind:     by_value
      - .actual_access:  write_only
        .address_space:  global
        .offset:         72
        .size:           8
        .value_kind:     global_buffer
      - .actual_access:  write_only
        .address_space:  global
        .offset:         80
        .size:           8
        .value_kind:     global_buffer
      - .actual_access:  write_only
        .address_space:  global
        .offset:         88
        .size:           8
        .value_kind:     global_buffer
    .group_segment_fixed_size: 0
    .kernarg_segment_align: 8
    .kernarg_segment_size: 96
    .language:       OpenCL C
    .language_version:
      - 2
      - 0
    .max_flat_workgroup_size: 1024
    .name:           _ZN9rocsparseL33bsr2csr_block_per_row_8_32_kernelILj1024ELj8ElllEEv20rocsparse_direction_T3_S2_21rocsparse_index_base_PKT1_PKT2_PKS2_S2_S3_PS4_PS7_PS2_
    .private_segment_fixed_size: 0
    .sgpr_count:     25
    .sgpr_spill_count: 0
    .symbol:         _ZN9rocsparseL33bsr2csr_block_per_row_8_32_kernelILj1024ELj8ElllEEv20rocsparse_direction_T3_S2_21rocsparse_index_base_PKT1_PKT2_PKS2_S2_S3_PS4_PS7_PS2_.kd
    .uniform_work_group_size: 1
    .uses_dynamic_stack: false
    .vgpr_count:     20
    .vgpr_spill_count: 0
    .wavefront_size: 32
    .workgroup_processor_mode: 1
  - .args:
      - .offset:         0
        .size:           4
        .value_kind:     by_value
      - .offset:         8
        .size:           8
        .value_kind:     by_value
      - .offset:         16
        .size:           8
        .value_kind:     by_value
      - .offset:         24
        .size:           4
        .value_kind:     by_value
      - .actual_access:  read_only
        .address_space:  global
        .offset:         32
        .size:           8
        .value_kind:     global_buffer
      - .actual_access:  read_only
        .address_space:  global
        .offset:         40
        .size:           8
        .value_kind:     global_buffer
      - .actual_access:  read_only
        .address_space:  global
        .offset:         48
        .size:           8
        .value_kind:     global_buffer
      - .offset:         56
        .size:           8
        .value_kind:     by_value
      - .offset:         64
        .size:           4
        .value_kind:     by_value
      - .actual_access:  write_only
        .address_space:  global
        .offset:         72
        .size:           8
        .value_kind:     global_buffer
      - .actual_access:  write_only
        .address_space:  global
        .offset:         80
        .size:           8
        .value_kind:     global_buffer
      - .actual_access:  write_only
        .address_space:  global
        .offset:         88
        .size:           8
        .value_kind:     global_buffer
    .group_segment_fixed_size: 0
    .kernarg_segment_align: 8
    .kernarg_segment_size: 96
    .language:       OpenCL C
    .language_version:
      - 2
      - 0
    .max_flat_workgroup_size: 1024
    .name:           _ZN9rocsparseL33bsr2csr_block_per_row_8_32_kernelILj1024ELj16ElllEEv20rocsparse_direction_T3_S2_21rocsparse_index_base_PKT1_PKT2_PKS2_S2_S3_PS4_PS7_PS2_
    .private_segment_fixed_size: 0
    .sgpr_count:     25
    .sgpr_spill_count: 0
    .symbol:         _ZN9rocsparseL33bsr2csr_block_per_row_8_32_kernelILj1024ELj16ElllEEv20rocsparse_direction_T3_S2_21rocsparse_index_base_PKT1_PKT2_PKS2_S2_S3_PS4_PS7_PS2_.kd
    .uniform_work_group_size: 1
    .uses_dynamic_stack: false
    .vgpr_count:     20
    .vgpr_spill_count: 0
    .wavefront_size: 32
    .workgroup_processor_mode: 1
  - .args:
      - .offset:         0
        .size:           4
        .value_kind:     by_value
      - .offset:         8
        .size:           8
        .value_kind:     by_value
      - .offset:         16
        .size:           8
        .value_kind:     by_value
      - .offset:         24
        .size:           4
        .value_kind:     by_value
      - .actual_access:  read_only
        .address_space:  global
        .offset:         32
        .size:           8
        .value_kind:     global_buffer
      - .actual_access:  read_only
        .address_space:  global
        .offset:         40
        .size:           8
        .value_kind:     global_buffer
      - .actual_access:  read_only
        .address_space:  global
        .offset:         48
        .size:           8
        .value_kind:     global_buffer
      - .offset:         56
        .size:           8
        .value_kind:     by_value
      - .offset:         64
        .size:           4
        .value_kind:     by_value
      - .actual_access:  write_only
        .address_space:  global
        .offset:         72
        .size:           8
        .value_kind:     global_buffer
      - .actual_access:  write_only
        .address_space:  global
        .offset:         80
        .size:           8
        .value_kind:     global_buffer
      - .actual_access:  write_only
        .address_space:  global
        .offset:         88
        .size:           8
        .value_kind:     global_buffer
    .group_segment_fixed_size: 0
    .kernarg_segment_align: 8
    .kernarg_segment_size: 96
    .language:       OpenCL C
    .language_version:
      - 2
      - 0
    .max_flat_workgroup_size: 1024
    .name:           _ZN9rocsparseL33bsr2csr_block_per_row_8_32_kernelILj1024ELj32ElllEEv20rocsparse_direction_T3_S2_21rocsparse_index_base_PKT1_PKT2_PKS2_S2_S3_PS4_PS7_PS2_
    .private_segment_fixed_size: 0
    .sgpr_count:     30
    .sgpr_spill_count: 0
    .symbol:         _ZN9rocsparseL33bsr2csr_block_per_row_8_32_kernelILj1024ELj32ElllEEv20rocsparse_direction_T3_S2_21rocsparse_index_base_PKT1_PKT2_PKS2_S2_S3_PS4_PS7_PS2_.kd
    .uniform_work_group_size: 1
    .uses_dynamic_stack: false
    .vgpr_count:     14
    .vgpr_spill_count: 0
    .wavefront_size: 32
    .workgroup_processor_mode: 1
  - .args:
      - .offset:         0
        .size:           4
        .value_kind:     by_value
      - .offset:         8
        .size:           8
        .value_kind:     by_value
      - .offset:         16
        .size:           8
        .value_kind:     by_value
      - .offset:         24
        .size:           4
        .value_kind:     by_value
      - .actual_access:  read_only
        .address_space:  global
        .offset:         32
        .size:           8
        .value_kind:     global_buffer
      - .actual_access:  read_only
        .address_space:  global
        .offset:         40
        .size:           8
        .value_kind:     global_buffer
      - .actual_access:  read_only
        .address_space:  global
        .offset:         48
        .size:           8
        .value_kind:     global_buffer
      - .offset:         56
        .size:           8
        .value_kind:     by_value
      - .offset:         64
        .size:           4
        .value_kind:     by_value
      - .actual_access:  write_only
        .address_space:  global
        .offset:         72
        .size:           8
        .value_kind:     global_buffer
      - .actual_access:  write_only
        .address_space:  global
        .offset:         80
        .size:           8
        .value_kind:     global_buffer
      - .actual_access:  write_only
        .address_space:  global
        .offset:         88
        .size:           8
        .value_kind:     global_buffer
    .group_segment_fixed_size: 0
    .kernarg_segment_align: 8
    .kernarg_segment_size: 96
    .language:       OpenCL C
    .language_version:
      - 2
      - 0
    .max_flat_workgroup_size: 1024
    .name:           _ZN9rocsparseL35bsr2csr_block_per_row_33_256_kernelILj1024ELj64ELj32ElllEEv20rocsparse_direction_T4_S2_21rocsparse_index_base_PKT2_PKT3_PKS2_S2_S3_PS4_PS7_PS2_
    .private_segment_fixed_size: 0
    .sgpr_count:     40
    .sgpr_spill_count: 0
    .symbol:         _ZN9rocsparseL35bsr2csr_block_per_row_33_256_kernelILj1024ELj64ELj32ElllEEv20rocsparse_direction_T4_S2_21rocsparse_index_base_PKT2_PKT3_PKS2_S2_S3_PS4_PS7_PS2_.kd
    .uniform_work_group_size: 1
    .uses_dynamic_stack: false
    .vgpr_count:     28
    .vgpr_spill_count: 0
    .wavefront_size: 32
    .workgroup_processor_mode: 1
  - .args:
      - .offset:         0
        .size:           4
        .value_kind:     by_value
      - .offset:         8
        .size:           8
        .value_kind:     by_value
      - .offset:         16
        .size:           8
        .value_kind:     by_value
      - .offset:         24
        .size:           4
        .value_kind:     by_value
      - .actual_access:  read_only
        .address_space:  global
        .offset:         32
        .size:           8
        .value_kind:     global_buffer
      - .actual_access:  read_only
        .address_space:  global
        .offset:         40
        .size:           8
        .value_kind:     global_buffer
      - .actual_access:  read_only
        .address_space:  global
        .offset:         48
        .size:           8
        .value_kind:     global_buffer
      - .offset:         56
        .size:           8
        .value_kind:     by_value
      - .offset:         64
        .size:           4
        .value_kind:     by_value
      - .actual_access:  write_only
        .address_space:  global
        .offset:         72
        .size:           8
        .value_kind:     global_buffer
      - .actual_access:  write_only
        .address_space:  global
        .offset:         80
        .size:           8
        .value_kind:     global_buffer
      - .actual_access:  write_only
        .address_space:  global
        .offset:         88
        .size:           8
        .value_kind:     global_buffer
    .group_segment_fixed_size: 0
    .kernarg_segment_align: 8
    .kernarg_segment_size: 96
    .language:       OpenCL C
    .language_version:
      - 2
      - 0
    .max_flat_workgroup_size: 1024
    .name:           _ZN9rocsparseL35bsr2csr_block_per_row_33_256_kernelILj1024ELj128ELj32ElllEEv20rocsparse_direction_T4_S2_21rocsparse_index_base_PKT2_PKT3_PKS2_S2_S3_PS4_PS7_PS2_
    .private_segment_fixed_size: 0
    .sgpr_count:     51
    .sgpr_spill_count: 0
    .symbol:         _ZN9rocsparseL35bsr2csr_block_per_row_33_256_kernelILj1024ELj128ELj32ElllEEv20rocsparse_direction_T4_S2_21rocsparse_index_base_PKT2_PKT3_PKS2_S2_S3_PS4_PS7_PS2_.kd
    .uniform_work_group_size: 1
    .uses_dynamic_stack: false
    .vgpr_count:     45
    .vgpr_spill_count: 0
    .wavefront_size: 32
    .workgroup_processor_mode: 1
  - .args:
      - .offset:         0
        .size:           4
        .value_kind:     by_value
      - .offset:         8
        .size:           8
        .value_kind:     by_value
      - .offset:         16
        .size:           8
        .value_kind:     by_value
      - .offset:         24
        .size:           4
        .value_kind:     by_value
      - .actual_access:  read_only
        .address_space:  global
        .offset:         32
        .size:           8
        .value_kind:     global_buffer
      - .actual_access:  read_only
        .address_space:  global
        .offset:         40
        .size:           8
        .value_kind:     global_buffer
      - .actual_access:  read_only
        .address_space:  global
        .offset:         48
        .size:           8
        .value_kind:     global_buffer
      - .offset:         56
        .size:           8
        .value_kind:     by_value
      - .offset:         64
        .size:           4
        .value_kind:     by_value
      - .actual_access:  write_only
        .address_space:  global
        .offset:         72
        .size:           8
        .value_kind:     global_buffer
      - .actual_access:  write_only
        .address_space:  global
        .offset:         80
        .size:           8
        .value_kind:     global_buffer
      - .actual_access:  write_only
        .address_space:  global
        .offset:         88
        .size:           8
        .value_kind:     global_buffer
    .group_segment_fixed_size: 0
    .kernarg_segment_align: 8
    .kernarg_segment_size: 96
    .language:       OpenCL C
    .language_version:
      - 2
      - 0
    .max_flat_workgroup_size: 1024
    .name:           _ZN9rocsparseL35bsr2csr_block_per_row_33_256_kernelILj1024ELj256ELj32ElllEEv20rocsparse_direction_T4_S2_21rocsparse_index_base_PKT2_PKT3_PKS2_S2_S3_PS4_PS7_PS2_
    .private_segment_fixed_size: 0
    .sgpr_count:     102
    .sgpr_spill_count: 0
    .symbol:         _ZN9rocsparseL35bsr2csr_block_per_row_33_256_kernelILj1024ELj256ELj32ElllEEv20rocsparse_direction_T4_S2_21rocsparse_index_base_PKT2_PKT3_PKS2_S2_S3_PS4_PS7_PS2_.kd
    .uniform_work_group_size: 1
    .uses_dynamic_stack: false
    .vgpr_count:     72
    .vgpr_spill_count: 0
    .wavefront_size: 32
    .workgroup_processor_mode: 1
  - .args:
      - .offset:         0
        .size:           4
        .value_kind:     by_value
      - .offset:         4
        .size:           4
        .value_kind:     by_value
      - .offset:         8
        .size:           4
        .value_kind:     by_value
      - .actual_access:  read_only
        .address_space:  global
        .offset:         16
        .size:           8
        .value_kind:     global_buffer
      - .actual_access:  read_only
        .address_space:  global
        .offset:         24
        .size:           8
        .value_kind:     global_buffer
      - .actual_access:  read_only
        .address_space:  global
        .offset:         32
        .size:           8
        .value_kind:     global_buffer
      - .offset:         40
        .size:           4
        .value_kind:     by_value
      - .actual_access:  write_only
        .address_space:  global
        .offset:         48
        .size:           8
        .value_kind:     global_buffer
      - .actual_access:  write_only
        .address_space:  global
        .offset:         56
        .size:           8
        .value_kind:     global_buffer
      - .actual_access:  write_only
        .address_space:  global
        .offset:         64
        .size:           8
        .value_kind:     global_buffer
      - .offset:         72
        .size:           4
        .value_kind:     hidden_block_count_x
      - .offset:         76
        .size:           4
        .value_kind:     hidden_block_count_y
      - .offset:         80
        .size:           4
        .value_kind:     hidden_block_count_z
      - .offset:         84
        .size:           2
        .value_kind:     hidden_group_size_x
      - .offset:         86
        .size:           2
        .value_kind:     hidden_group_size_y
      - .offset:         88
        .size:           2
        .value_kind:     hidden_group_size_z
      - .offset:         90
        .size:           2
        .value_kind:     hidden_remainder_x
      - .offset:         92
        .size:           2
        .value_kind:     hidden_remainder_y
      - .offset:         94
        .size:           2
        .value_kind:     hidden_remainder_z
      - .offset:         112
        .size:           8
        .value_kind:     hidden_global_offset_x
      - .offset:         120
        .size:           8
        .value_kind:     hidden_global_offset_y
      - .offset:         128
        .size:           8
        .value_kind:     hidden_global_offset_z
      - .offset:         136
        .size:           2
        .value_kind:     hidden_grid_dims
    .group_segment_fixed_size: 0
    .kernarg_segment_align: 8
    .kernarg_segment_size: 328
    .language:       OpenCL C
    .language_version:
      - 2
      - 0
    .max_flat_workgroup_size: 1024
    .name:           _ZN9rocsparseL35bsr2csr_block_dim_equals_one_kernelILj1024EfiiEEvT2_S1_21rocsparse_index_base_PKT0_PKT1_PKS1_S2_PS3_PS6_PS1_
    .private_segment_fixed_size: 0
    .sgpr_count:     23
    .sgpr_spill_count: 0
    .symbol:         _ZN9rocsparseL35bsr2csr_block_dim_equals_one_kernelILj1024EfiiEEvT2_S1_21rocsparse_index_base_PKT0_PKT1_PKS1_S2_PS3_PS6_PS1_.kd
    .uniform_work_group_size: 1
    .uses_dynamic_stack: false
    .vgpr_count:     7
    .vgpr_spill_count: 0
    .wavefront_size: 32
    .workgroup_processor_mode: 1
  - .args:
      - .offset:         0
        .size:           4
        .value_kind:     by_value
      - .offset:         4
        .size:           4
        .value_kind:     by_value
      - .offset:         8
        .size:           4
        .value_kind:     by_value
      - .offset:         12
        .size:           4
        .value_kind:     by_value
      - .actual_access:  read_only
        .address_space:  global
        .offset:         16
        .size:           8
        .value_kind:     global_buffer
      - .actual_access:  read_only
        .address_space:  global
        .offset:         24
        .size:           8
        .value_kind:     global_buffer
      - .actual_access:  read_only
        .address_space:  global
        .offset:         32
        .size:           8
        .value_kind:     global_buffer
      - .offset:         40
        .size:           4
        .value_kind:     by_value
      - .offset:         44
        .size:           4
        .value_kind:     by_value
      - .actual_access:  write_only
        .address_space:  global
        .offset:         48
        .size:           8
        .value_kind:     global_buffer
      - .actual_access:  write_only
        .address_space:  global
        .offset:         56
        .size:           8
        .value_kind:     global_buffer
      - .actual_access:  write_only
        .address_space:  global
        .offset:         64
        .size:           8
        .value_kind:     global_buffer
    .group_segment_fixed_size: 0
    .kernarg_segment_align: 8
    .kernarg_segment_size: 72
    .language:       OpenCL C
    .language_version:
      - 2
      - 0
    .max_flat_workgroup_size: 256
    .name:           _ZN9rocsparseL32bsr2csr_block_per_row_2_7_kernelILj256ELj2EfiiEEv20rocsparse_direction_T3_S2_21rocsparse_index_base_PKT1_PKT2_PKS2_S2_S3_PS4_PS7_PS2_
    .private_segment_fixed_size: 0
    .sgpr_count:     16
    .sgpr_spill_count: 0
    .symbol:         _ZN9rocsparseL32bsr2csr_block_per_row_2_7_kernelILj256ELj2EfiiEEv20rocsparse_direction_T3_S2_21rocsparse_index_base_PKT1_PKT2_PKS2_S2_S3_PS4_PS7_PS2_.kd
    .uniform_work_group_size: 1
    .uses_dynamic_stack: false
    .vgpr_count:     15
    .vgpr_spill_count: 0
    .wavefront_size: 32
    .workgroup_processor_mode: 1
  - .args:
      - .offset:         0
        .size:           4
        .value_kind:     by_value
      - .offset:         4
        .size:           4
        .value_kind:     by_value
      - .offset:         8
        .size:           4
        .value_kind:     by_value
      - .offset:         12
        .size:           4
        .value_kind:     by_value
      - .actual_access:  read_only
        .address_space:  global
        .offset:         16
        .size:           8
        .value_kind:     global_buffer
      - .actual_access:  read_only
        .address_space:  global
        .offset:         24
        .size:           8
        .value_kind:     global_buffer
      - .actual_access:  read_only
        .address_space:  global
        .offset:         32
        .size:           8
        .value_kind:     global_buffer
      - .offset:         40
        .size:           4
        .value_kind:     by_value
      - .offset:         44
        .size:           4
        .value_kind:     by_value
      - .actual_access:  write_only
        .address_space:  global
        .offset:         48
        .size:           8
        .value_kind:     global_buffer
      - .actual_access:  write_only
        .address_space:  global
        .offset:         56
        .size:           8
        .value_kind:     global_buffer
      - .actual_access:  write_only
        .address_space:  global
        .offset:         64
        .size:           8
        .value_kind:     global_buffer
    .group_segment_fixed_size: 0
    .kernarg_segment_align: 8
    .kernarg_segment_size: 72
    .language:       OpenCL C
    .language_version:
      - 2
      - 0
    .max_flat_workgroup_size: 256
    .name:           _ZN9rocsparseL32bsr2csr_block_per_row_2_7_kernelILj256ELj3EfiiEEv20rocsparse_direction_T3_S2_21rocsparse_index_base_PKT1_PKT2_PKS2_S2_S3_PS4_PS7_PS2_
    .private_segment_fixed_size: 0
    .sgpr_count:     17
    .sgpr_spill_count: 0
    .symbol:         _ZN9rocsparseL32bsr2csr_block_per_row_2_7_kernelILj256ELj3EfiiEEv20rocsparse_direction_T3_S2_21rocsparse_index_base_PKT1_PKT2_PKS2_S2_S3_PS4_PS7_PS2_.kd
    .uniform_work_group_size: 1
    .uses_dynamic_stack: false
    .vgpr_count:     18
    .vgpr_spill_count: 0
    .wavefront_size: 32
    .workgroup_processor_mode: 1
  - .args:
      - .offset:         0
        .size:           4
        .value_kind:     by_value
      - .offset:         4
        .size:           4
        .value_kind:     by_value
      - .offset:         8
        .size:           4
        .value_kind:     by_value
      - .offset:         12
        .size:           4
        .value_kind:     by_value
      - .actual_access:  read_only
        .address_space:  global
        .offset:         16
        .size:           8
        .value_kind:     global_buffer
      - .actual_access:  read_only
        .address_space:  global
        .offset:         24
        .size:           8
        .value_kind:     global_buffer
      - .actual_access:  read_only
        .address_space:  global
        .offset:         32
        .size:           8
        .value_kind:     global_buffer
      - .offset:         40
        .size:           4
        .value_kind:     by_value
      - .offset:         44
        .size:           4
        .value_kind:     by_value
      - .actual_access:  write_only
        .address_space:  global
        .offset:         48
        .size:           8
        .value_kind:     global_buffer
      - .actual_access:  write_only
        .address_space:  global
        .offset:         56
        .size:           8
        .value_kind:     global_buffer
      - .actual_access:  write_only
        .address_space:  global
        .offset:         64
        .size:           8
        .value_kind:     global_buffer
    .group_segment_fixed_size: 0
    .kernarg_segment_align: 8
    .kernarg_segment_size: 72
    .language:       OpenCL C
    .language_version:
      - 2
      - 0
    .max_flat_workgroup_size: 256
    .name:           _ZN9rocsparseL32bsr2csr_block_per_row_2_7_kernelILj256ELj4EfiiEEv20rocsparse_direction_T3_S2_21rocsparse_index_base_PKT1_PKT2_PKS2_S2_S3_PS4_PS7_PS2_
    .private_segment_fixed_size: 0
    .sgpr_count:     16
    .sgpr_spill_count: 0
    .symbol:         _ZN9rocsparseL32bsr2csr_block_per_row_2_7_kernelILj256ELj4EfiiEEv20rocsparse_direction_T3_S2_21rocsparse_index_base_PKT1_PKT2_PKS2_S2_S3_PS4_PS7_PS2_.kd
    .uniform_work_group_size: 1
    .uses_dynamic_stack: false
    .vgpr_count:     20
    .vgpr_spill_count: 0
    .wavefront_size: 32
    .workgroup_processor_mode: 1
  - .args:
      - .offset:         0
        .size:           4
        .value_kind:     by_value
      - .offset:         4
        .size:           4
        .value_kind:     by_value
      - .offset:         8
        .size:           4
        .value_kind:     by_value
      - .offset:         12
        .size:           4
        .value_kind:     by_value
      - .actual_access:  read_only
        .address_space:  global
        .offset:         16
        .size:           8
        .value_kind:     global_buffer
      - .actual_access:  read_only
        .address_space:  global
        .offset:         24
        .size:           8
        .value_kind:     global_buffer
      - .actual_access:  read_only
        .address_space:  global
        .offset:         32
        .size:           8
        .value_kind:     global_buffer
      - .offset:         40
        .size:           4
        .value_kind:     by_value
      - .offset:         44
        .size:           4
        .value_kind:     by_value
      - .actual_access:  write_only
        .address_space:  global
        .offset:         48
        .size:           8
        .value_kind:     global_buffer
      - .actual_access:  write_only
        .address_space:  global
        .offset:         56
        .size:           8
        .value_kind:     global_buffer
      - .actual_access:  write_only
        .address_space:  global
        .offset:         64
        .size:           8
        .value_kind:     global_buffer
    .group_segment_fixed_size: 0
    .kernarg_segment_align: 8
    .kernarg_segment_size: 72
    .language:       OpenCL C
    .language_version:
      - 2
      - 0
    .max_flat_workgroup_size: 256
    .name:           _ZN9rocsparseL32bsr2csr_block_per_row_2_7_kernelILj256ELj5EfiiEEv20rocsparse_direction_T3_S2_21rocsparse_index_base_PKT1_PKT2_PKS2_S2_S3_PS4_PS7_PS2_
    .private_segment_fixed_size: 0
    .sgpr_count:     17
    .sgpr_spill_count: 0
    .symbol:         _ZN9rocsparseL32bsr2csr_block_per_row_2_7_kernelILj256ELj5EfiiEEv20rocsparse_direction_T3_S2_21rocsparse_index_base_PKT1_PKT2_PKS2_S2_S3_PS4_PS7_PS2_.kd
    .uniform_work_group_size: 1
    .uses_dynamic_stack: false
    .vgpr_count:     19
    .vgpr_spill_count: 0
    .wavefront_size: 32
    .workgroup_processor_mode: 1
  - .args:
      - .offset:         0
        .size:           4
        .value_kind:     by_value
      - .offset:         4
        .size:           4
        .value_kind:     by_value
      - .offset:         8
        .size:           4
        .value_kind:     by_value
      - .offset:         12
        .size:           4
        .value_kind:     by_value
      - .actual_access:  read_only
        .address_space:  global
        .offset:         16
        .size:           8
        .value_kind:     global_buffer
      - .actual_access:  read_only
        .address_space:  global
        .offset:         24
        .size:           8
        .value_kind:     global_buffer
      - .actual_access:  read_only
        .address_space:  global
        .offset:         32
        .size:           8
        .value_kind:     global_buffer
      - .offset:         40
        .size:           4
        .value_kind:     by_value
      - .offset:         44
        .size:           4
        .value_kind:     by_value
      - .actual_access:  write_only
        .address_space:  global
        .offset:         48
        .size:           8
        .value_kind:     global_buffer
      - .actual_access:  write_only
        .address_space:  global
        .offset:         56
        .size:           8
        .value_kind:     global_buffer
      - .actual_access:  write_only
        .address_space:  global
        .offset:         64
        .size:           8
        .value_kind:     global_buffer
    .group_segment_fixed_size: 0
    .kernarg_segment_align: 8
    .kernarg_segment_size: 72
    .language:       OpenCL C
    .language_version:
      - 2
      - 0
    .max_flat_workgroup_size: 256
    .name:           _ZN9rocsparseL32bsr2csr_block_per_row_2_7_kernelILj256ELj6EfiiEEv20rocsparse_direction_T3_S2_21rocsparse_index_base_PKT1_PKT2_PKS2_S2_S3_PS4_PS7_PS2_
    .private_segment_fixed_size: 0
    .sgpr_count:     16
    .sgpr_spill_count: 0
    .symbol:         _ZN9rocsparseL32bsr2csr_block_per_row_2_7_kernelILj256ELj6EfiiEEv20rocsparse_direction_T3_S2_21rocsparse_index_base_PKT1_PKT2_PKS2_S2_S3_PS4_PS7_PS2_.kd
    .uniform_work_group_size: 1
    .uses_dynamic_stack: false
    .vgpr_count:     23
    .vgpr_spill_count: 0
    .wavefront_size: 32
    .workgroup_processor_mode: 1
  - .args:
      - .offset:         0
        .size:           4
        .value_kind:     by_value
      - .offset:         4
        .size:           4
        .value_kind:     by_value
      - .offset:         8
        .size:           4
        .value_kind:     by_value
      - .offset:         12
        .size:           4
        .value_kind:     by_value
      - .actual_access:  read_only
        .address_space:  global
        .offset:         16
        .size:           8
        .value_kind:     global_buffer
      - .actual_access:  read_only
        .address_space:  global
        .offset:         24
        .size:           8
        .value_kind:     global_buffer
      - .actual_access:  read_only
        .address_space:  global
        .offset:         32
        .size:           8
        .value_kind:     global_buffer
      - .offset:         40
        .size:           4
        .value_kind:     by_value
      - .offset:         44
        .size:           4
        .value_kind:     by_value
      - .actual_access:  write_only
        .address_space:  global
        .offset:         48
        .size:           8
        .value_kind:     global_buffer
      - .actual_access:  write_only
        .address_space:  global
        .offset:         56
        .size:           8
        .value_kind:     global_buffer
      - .actual_access:  write_only
        .address_space:  global
        .offset:         64
        .size:           8
        .value_kind:     global_buffer
    .group_segment_fixed_size: 0
    .kernarg_segment_align: 8
    .kernarg_segment_size: 72
    .language:       OpenCL C
    .language_version:
      - 2
      - 0
    .max_flat_workgroup_size: 256
    .name:           _ZN9rocsparseL32bsr2csr_block_per_row_2_7_kernelILj256ELj7EfiiEEv20rocsparse_direction_T3_S2_21rocsparse_index_base_PKT1_PKT2_PKS2_S2_S3_PS4_PS7_PS2_
    .private_segment_fixed_size: 0
    .sgpr_count:     16
    .sgpr_spill_count: 0
    .symbol:         _ZN9rocsparseL32bsr2csr_block_per_row_2_7_kernelILj256ELj7EfiiEEv20rocsparse_direction_T3_S2_21rocsparse_index_base_PKT1_PKT2_PKS2_S2_S3_PS4_PS7_PS2_.kd
    .uniform_work_group_size: 1
    .uses_dynamic_stack: false
    .vgpr_count:     26
    .vgpr_spill_count: 0
    .wavefront_size: 32
    .workgroup_processor_mode: 1
  - .args:
      - .offset:         0
        .size:           4
        .value_kind:     by_value
      - .offset:         4
        .size:           4
        .value_kind:     by_value
      - .offset:         8
        .size:           4
        .value_kind:     by_value
      - .offset:         12
        .size:           4
        .value_kind:     by_value
      - .actual_access:  read_only
        .address_space:  global
        .offset:         16
        .size:           8
        .value_kind:     global_buffer
      - .actual_access:  read_only
        .address_space:  global
        .offset:         24
        .size:           8
        .value_kind:     global_buffer
      - .actual_access:  read_only
        .address_space:  global
        .offset:         32
        .size:           8
        .value_kind:     global_buffer
      - .offset:         40
        .size:           4
        .value_kind:     by_value
      - .offset:         44
        .size:           4
        .value_kind:     by_value
      - .actual_access:  write_only
        .address_space:  global
        .offset:         48
        .size:           8
        .value_kind:     global_buffer
      - .actual_access:  write_only
        .address_space:  global
        .offset:         56
        .size:           8
        .value_kind:     global_buffer
      - .actual_access:  write_only
        .address_space:  global
        .offset:         64
        .size:           8
        .value_kind:     global_buffer
    .group_segment_fixed_size: 0
    .kernarg_segment_align: 8
    .kernarg_segment_size: 72
    .language:       OpenCL C
    .language_version:
      - 2
      - 0
    .max_flat_workgroup_size: 1024
    .name:           _ZN9rocsparseL33bsr2csr_block_per_row_8_32_kernelILj1024ELj8EfiiEEv20rocsparse_direction_T3_S2_21rocsparse_index_base_PKT1_PKT2_PKS2_S2_S3_PS4_PS7_PS2_
    .private_segment_fixed_size: 0
    .sgpr_count:     19
    .sgpr_spill_count: 0
    .symbol:         _ZN9rocsparseL33bsr2csr_block_per_row_8_32_kernelILj1024ELj8EfiiEEv20rocsparse_direction_T3_S2_21rocsparse_index_base_PKT1_PKT2_PKS2_S2_S3_PS4_PS7_PS2_.kd
    .uniform_work_group_size: 1
    .uses_dynamic_stack: false
    .vgpr_count:     13
    .vgpr_spill_count: 0
    .wavefront_size: 32
    .workgroup_processor_mode: 1
  - .args:
      - .offset:         0
        .size:           4
        .value_kind:     by_value
      - .offset:         4
        .size:           4
        .value_kind:     by_value
      - .offset:         8
        .size:           4
        .value_kind:     by_value
      - .offset:         12
        .size:           4
        .value_kind:     by_value
      - .actual_access:  read_only
        .address_space:  global
        .offset:         16
        .size:           8
        .value_kind:     global_buffer
      - .actual_access:  read_only
        .address_space:  global
        .offset:         24
        .size:           8
        .value_kind:     global_buffer
      - .actual_access:  read_only
        .address_space:  global
        .offset:         32
        .size:           8
        .value_kind:     global_buffer
      - .offset:         40
        .size:           4
        .value_kind:     by_value
      - .offset:         44
        .size:           4
        .value_kind:     by_value
      - .actual_access:  write_only
        .address_space:  global
        .offset:         48
        .size:           8
        .value_kind:     global_buffer
      - .actual_access:  write_only
        .address_space:  global
        .offset:         56
        .size:           8
        .value_kind:     global_buffer
      - .actual_access:  write_only
        .address_space:  global
        .offset:         64
        .size:           8
        .value_kind:     global_buffer
    .group_segment_fixed_size: 0
    .kernarg_segment_align: 8
    .kernarg_segment_size: 72
    .language:       OpenCL C
    .language_version:
      - 2
      - 0
    .max_flat_workgroup_size: 1024
    .name:           _ZN9rocsparseL33bsr2csr_block_per_row_8_32_kernelILj1024ELj16EfiiEEv20rocsparse_direction_T3_S2_21rocsparse_index_base_PKT1_PKT2_PKS2_S2_S3_PS4_PS7_PS2_
    .private_segment_fixed_size: 0
    .sgpr_count:     19
    .sgpr_spill_count: 0
    .symbol:         _ZN9rocsparseL33bsr2csr_block_per_row_8_32_kernelILj1024ELj16EfiiEEv20rocsparse_direction_T3_S2_21rocsparse_index_base_PKT1_PKT2_PKS2_S2_S3_PS4_PS7_PS2_.kd
    .uniform_work_group_size: 1
    .uses_dynamic_stack: false
    .vgpr_count:     13
    .vgpr_spill_count: 0
    .wavefront_size: 32
    .workgroup_processor_mode: 1
  - .args:
      - .offset:         0
        .size:           4
        .value_kind:     by_value
      - .offset:         4
        .size:           4
        .value_kind:     by_value
      - .offset:         8
        .size:           4
        .value_kind:     by_value
      - .offset:         12
        .size:           4
        .value_kind:     by_value
      - .actual_access:  read_only
        .address_space:  global
        .offset:         16
        .size:           8
        .value_kind:     global_buffer
      - .actual_access:  read_only
        .address_space:  global
        .offset:         24
        .size:           8
        .value_kind:     global_buffer
      - .actual_access:  read_only
        .address_space:  global
        .offset:         32
        .size:           8
        .value_kind:     global_buffer
      - .offset:         40
        .size:           4
        .value_kind:     by_value
      - .offset:         44
        .size:           4
        .value_kind:     by_value
      - .actual_access:  write_only
        .address_space:  global
        .offset:         48
        .size:           8
        .value_kind:     global_buffer
      - .actual_access:  write_only
        .address_space:  global
        .offset:         56
        .size:           8
        .value_kind:     global_buffer
      - .actual_access:  write_only
        .address_space:  global
        .offset:         64
        .size:           8
        .value_kind:     global_buffer
    .group_segment_fixed_size: 0
    .kernarg_segment_align: 8
    .kernarg_segment_size: 72
    .language:       OpenCL C
    .language_version:
      - 2
      - 0
    .max_flat_workgroup_size: 1024
    .name:           _ZN9rocsparseL33bsr2csr_block_per_row_8_32_kernelILj1024ELj32EfiiEEv20rocsparse_direction_T3_S2_21rocsparse_index_base_PKT1_PKT2_PKS2_S2_S3_PS4_PS7_PS2_
    .private_segment_fixed_size: 0
    .sgpr_count:     20
    .sgpr_spill_count: 0
    .symbol:         _ZN9rocsparseL33bsr2csr_block_per_row_8_32_kernelILj1024ELj32EfiiEEv20rocsparse_direction_T3_S2_21rocsparse_index_base_PKT1_PKT2_PKS2_S2_S3_PS4_PS7_PS2_.kd
    .uniform_work_group_size: 1
    .uses_dynamic_stack: false
    .vgpr_count:     11
    .vgpr_spill_count: 0
    .wavefront_size: 32
    .workgroup_processor_mode: 1
  - .args:
      - .offset:         0
        .size:           4
        .value_kind:     by_value
      - .offset:         4
        .size:           4
        .value_kind:     by_value
      - .offset:         8
        .size:           4
        .value_kind:     by_value
      - .offset:         12
        .size:           4
        .value_kind:     by_value
      - .actual_access:  read_only
        .address_space:  global
        .offset:         16
        .size:           8
        .value_kind:     global_buffer
      - .actual_access:  read_only
        .address_space:  global
        .offset:         24
        .size:           8
        .value_kind:     global_buffer
      - .actual_access:  read_only
        .address_space:  global
        .offset:         32
        .size:           8
        .value_kind:     global_buffer
      - .offset:         40
        .size:           4
        .value_kind:     by_value
      - .offset:         44
        .size:           4
        .value_kind:     by_value
      - .actual_access:  write_only
        .address_space:  global
        .offset:         48
        .size:           8
        .value_kind:     global_buffer
      - .actual_access:  write_only
        .address_space:  global
        .offset:         56
        .size:           8
        .value_kind:     global_buffer
      - .actual_access:  write_only
        .address_space:  global
        .offset:         64
        .size:           8
        .value_kind:     global_buffer
    .group_segment_fixed_size: 0
    .kernarg_segment_align: 8
    .kernarg_segment_size: 72
    .language:       OpenCL C
    .language_version:
      - 2
      - 0
    .max_flat_workgroup_size: 1024
    .name:           _ZN9rocsparseL35bsr2csr_block_per_row_33_256_kernelILj1024ELj64ELj32EfiiEEv20rocsparse_direction_T4_S2_21rocsparse_index_base_PKT2_PKT3_PKS2_S2_S3_PS4_PS7_PS2_
    .private_segment_fixed_size: 0
    .sgpr_count:     26
    .sgpr_spill_count: 0
    .symbol:         _ZN9rocsparseL35bsr2csr_block_per_row_33_256_kernelILj1024ELj64ELj32EfiiEEv20rocsparse_direction_T4_S2_21rocsparse_index_base_PKT2_PKT3_PKS2_S2_S3_PS4_PS7_PS2_.kd
    .uniform_work_group_size: 1
    .uses_dynamic_stack: false
    .vgpr_count:     18
    .vgpr_spill_count: 0
    .wavefront_size: 32
    .workgroup_processor_mode: 1
  - .args:
      - .offset:         0
        .size:           4
        .value_kind:     by_value
      - .offset:         4
        .size:           4
        .value_kind:     by_value
      - .offset:         8
        .size:           4
        .value_kind:     by_value
      - .offset:         12
        .size:           4
        .value_kind:     by_value
      - .actual_access:  read_only
        .address_space:  global
        .offset:         16
        .size:           8
        .value_kind:     global_buffer
      - .actual_access:  read_only
        .address_space:  global
        .offset:         24
        .size:           8
        .value_kind:     global_buffer
      - .actual_access:  read_only
        .address_space:  global
        .offset:         32
        .size:           8
        .value_kind:     global_buffer
      - .offset:         40
        .size:           4
        .value_kind:     by_value
      - .offset:         44
        .size:           4
        .value_kind:     by_value
      - .actual_access:  write_only
        .address_space:  global
        .offset:         48
        .size:           8
        .value_kind:     global_buffer
      - .actual_access:  write_only
        .address_space:  global
        .offset:         56
        .size:           8
        .value_kind:     global_buffer
      - .actual_access:  write_only
        .address_space:  global
        .offset:         64
        .size:           8
        .value_kind:     global_buffer
    .group_segment_fixed_size: 0
    .kernarg_segment_align: 8
    .kernarg_segment_size: 72
    .language:       OpenCL C
    .language_version:
      - 2
      - 0
    .max_flat_workgroup_size: 1024
    .name:           _ZN9rocsparseL35bsr2csr_block_per_row_33_256_kernelILj1024ELj128ELj32EfiiEEv20rocsparse_direction_T4_S2_21rocsparse_index_base_PKT2_PKT3_PKS2_S2_S3_PS4_PS7_PS2_
    .private_segment_fixed_size: 0
    .sgpr_count:     42
    .sgpr_spill_count: 0
    .symbol:         _ZN9rocsparseL35bsr2csr_block_per_row_33_256_kernelILj1024ELj128ELj32EfiiEEv20rocsparse_direction_T4_S2_21rocsparse_index_base_PKT2_PKT3_PKS2_S2_S3_PS4_PS7_PS2_.kd
    .uniform_work_group_size: 1
    .uses_dynamic_stack: false
    .vgpr_count:     29
    .vgpr_spill_count: 0
    .wavefront_size: 32
    .workgroup_processor_mode: 1
  - .args:
      - .offset:         0
        .size:           4
        .value_kind:     by_value
      - .offset:         4
        .size:           4
        .value_kind:     by_value
      - .offset:         8
        .size:           4
        .value_kind:     by_value
      - .offset:         12
        .size:           4
        .value_kind:     by_value
      - .actual_access:  read_only
        .address_space:  global
        .offset:         16
        .size:           8
        .value_kind:     global_buffer
      - .actual_access:  read_only
        .address_space:  global
        .offset:         24
        .size:           8
        .value_kind:     global_buffer
      - .actual_access:  read_only
        .address_space:  global
        .offset:         32
        .size:           8
        .value_kind:     global_buffer
      - .offset:         40
        .size:           4
        .value_kind:     by_value
      - .offset:         44
        .size:           4
        .value_kind:     by_value
      - .actual_access:  write_only
        .address_space:  global
        .offset:         48
        .size:           8
        .value_kind:     global_buffer
      - .actual_access:  write_only
        .address_space:  global
        .offset:         56
        .size:           8
        .value_kind:     global_buffer
      - .actual_access:  write_only
        .address_space:  global
        .offset:         64
        .size:           8
        .value_kind:     global_buffer
    .group_segment_fixed_size: 0
    .kernarg_segment_align: 8
    .kernarg_segment_size: 72
    .language:       OpenCL C
    .language_version:
      - 2
      - 0
    .max_flat_workgroup_size: 1024
    .name:           _ZN9rocsparseL35bsr2csr_block_per_row_33_256_kernelILj1024ELj256ELj32EfiiEEv20rocsparse_direction_T4_S2_21rocsparse_index_base_PKT2_PKT3_PKS2_S2_S3_PS4_PS7_PS2_
    .private_segment_fixed_size: 0
    .sgpr_count:     89
    .sgpr_spill_count: 0
    .symbol:         _ZN9rocsparseL35bsr2csr_block_per_row_33_256_kernelILj1024ELj256ELj32EfiiEEv20rocsparse_direction_T4_S2_21rocsparse_index_base_PKT2_PKT3_PKS2_S2_S3_PS4_PS7_PS2_.kd
    .uniform_work_group_size: 1
    .uses_dynamic_stack: false
    .vgpr_count:     46
    .vgpr_spill_count: 0
    .wavefront_size: 32
    .workgroup_processor_mode: 1
  - .args:
      - .offset:         0
        .size:           4
        .value_kind:     by_value
      - .offset:         4
        .size:           4
        .value_kind:     by_value
      - .offset:         8
        .size:           4
        .value_kind:     by_value
      - .actual_access:  read_only
        .address_space:  global
        .offset:         16
        .size:           8
        .value_kind:     global_buffer
      - .actual_access:  read_only
        .address_space:  global
        .offset:         24
        .size:           8
        .value_kind:     global_buffer
      - .actual_access:  read_only
        .address_space:  global
        .offset:         32
        .size:           8
        .value_kind:     global_buffer
      - .offset:         40
        .size:           4
        .value_kind:     by_value
      - .actual_access:  write_only
        .address_space:  global
        .offset:         48
        .size:           8
        .value_kind:     global_buffer
      - .actual_access:  write_only
        .address_space:  global
        .offset:         56
        .size:           8
        .value_kind:     global_buffer
      - .actual_access:  write_only
        .address_space:  global
        .offset:         64
        .size:           8
        .value_kind:     global_buffer
      - .offset:         72
        .size:           4
        .value_kind:     hidden_block_count_x
      - .offset:         76
        .size:           4
        .value_kind:     hidden_block_count_y
      - .offset:         80
        .size:           4
        .value_kind:     hidden_block_count_z
      - .offset:         84
        .size:           2
        .value_kind:     hidden_group_size_x
      - .offset:         86
        .size:           2
        .value_kind:     hidden_group_size_y
      - .offset:         88
        .size:           2
        .value_kind:     hidden_group_size_z
      - .offset:         90
        .size:           2
        .value_kind:     hidden_remainder_x
      - .offset:         92
        .size:           2
        .value_kind:     hidden_remainder_y
      - .offset:         94
        .size:           2
        .value_kind:     hidden_remainder_z
      - .offset:         112
        .size:           8
        .value_kind:     hidden_global_offset_x
      - .offset:         120
        .size:           8
        .value_kind:     hidden_global_offset_y
      - .offset:         128
        .size:           8
        .value_kind:     hidden_global_offset_z
      - .offset:         136
        .size:           2
        .value_kind:     hidden_grid_dims
    .group_segment_fixed_size: 0
    .kernarg_segment_align: 8
    .kernarg_segment_size: 328
    .language:       OpenCL C
    .language_version:
      - 2
      - 0
    .max_flat_workgroup_size: 1024
    .name:           _ZN9rocsparseL35bsr2csr_block_dim_equals_one_kernelILj1024EfliEEvT2_S1_21rocsparse_index_base_PKT0_PKT1_PKS1_S2_PS3_PS6_PS1_
    .private_segment_fixed_size: 0
    .sgpr_count:     26
    .sgpr_spill_count: 0
    .symbol:         _ZN9rocsparseL35bsr2csr_block_dim_equals_one_kernelILj1024EfliEEvT2_S1_21rocsparse_index_base_PKT0_PKT1_PKS1_S2_PS3_PS6_PS1_.kd
    .uniform_work_group_size: 1
    .uses_dynamic_stack: false
    .vgpr_count:     10
    .vgpr_spill_count: 0
    .wavefront_size: 32
    .workgroup_processor_mode: 1
  - .args:
      - .offset:         0
        .size:           4
        .value_kind:     by_value
      - .offset:         4
        .size:           4
        .value_kind:     by_value
      - .offset:         8
        .size:           4
        .value_kind:     by_value
      - .offset:         12
        .size:           4
        .value_kind:     by_value
      - .actual_access:  read_only
        .address_space:  global
        .offset:         16
        .size:           8
        .value_kind:     global_buffer
      - .actual_access:  read_only
        .address_space:  global
        .offset:         24
        .size:           8
        .value_kind:     global_buffer
      - .actual_access:  read_only
        .address_space:  global
        .offset:         32
        .size:           8
        .value_kind:     global_buffer
      - .offset:         40
        .size:           4
        .value_kind:     by_value
      - .offset:         44
        .size:           4
        .value_kind:     by_value
      - .actual_access:  write_only
        .address_space:  global
        .offset:         48
        .size:           8
        .value_kind:     global_buffer
      - .actual_access:  write_only
        .address_space:  global
        .offset:         56
        .size:           8
        .value_kind:     global_buffer
      - .actual_access:  write_only
        .address_space:  global
        .offset:         64
        .size:           8
        .value_kind:     global_buffer
    .group_segment_fixed_size: 0
    .kernarg_segment_align: 8
    .kernarg_segment_size: 72
    .language:       OpenCL C
    .language_version:
      - 2
      - 0
    .max_flat_workgroup_size: 256
    .name:           _ZN9rocsparseL32bsr2csr_block_per_row_2_7_kernelILj256ELj2EfliEEv20rocsparse_direction_T3_S2_21rocsparse_index_base_PKT1_PKT2_PKS2_S2_S3_PS4_PS7_PS2_
    .private_segment_fixed_size: 0
    .sgpr_count:     20
    .sgpr_spill_count: 0
    .symbol:         _ZN9rocsparseL32bsr2csr_block_per_row_2_7_kernelILj256ELj2EfliEEv20rocsparse_direction_T3_S2_21rocsparse_index_base_PKT1_PKT2_PKS2_S2_S3_PS4_PS7_PS2_.kd
    .uniform_work_group_size: 1
    .uses_dynamic_stack: false
    .vgpr_count:     21
    .vgpr_spill_count: 0
    .wavefront_size: 32
    .workgroup_processor_mode: 1
  - .args:
      - .offset:         0
        .size:           4
        .value_kind:     by_value
      - .offset:         4
        .size:           4
        .value_kind:     by_value
      - .offset:         8
        .size:           4
        .value_kind:     by_value
      - .offset:         12
        .size:           4
        .value_kind:     by_value
      - .actual_access:  read_only
        .address_space:  global
        .offset:         16
        .size:           8
        .value_kind:     global_buffer
      - .actual_access:  read_only
        .address_space:  global
        .offset:         24
        .size:           8
        .value_kind:     global_buffer
      - .actual_access:  read_only
        .address_space:  global
        .offset:         32
        .size:           8
        .value_kind:     global_buffer
      - .offset:         40
        .size:           4
        .value_kind:     by_value
      - .offset:         44
        .size:           4
        .value_kind:     by_value
      - .actual_access:  write_only
        .address_space:  global
        .offset:         48
        .size:           8
        .value_kind:     global_buffer
      - .actual_access:  write_only
        .address_space:  global
        .offset:         56
        .size:           8
        .value_kind:     global_buffer
      - .actual_access:  write_only
        .address_space:  global
        .offset:         64
        .size:           8
        .value_kind:     global_buffer
    .group_segment_fixed_size: 0
    .kernarg_segment_align: 8
    .kernarg_segment_size: 72
    .language:       OpenCL C
    .language_version:
      - 2
      - 0
    .max_flat_workgroup_size: 256
    .name:           _ZN9rocsparseL32bsr2csr_block_per_row_2_7_kernelILj256ELj3EfliEEv20rocsparse_direction_T3_S2_21rocsparse_index_base_PKT1_PKT2_PKS2_S2_S3_PS4_PS7_PS2_
    .private_segment_fixed_size: 0
    .sgpr_count:     17
    .sgpr_spill_count: 0
    .symbol:         _ZN9rocsparseL32bsr2csr_block_per_row_2_7_kernelILj256ELj3EfliEEv20rocsparse_direction_T3_S2_21rocsparse_index_base_PKT1_PKT2_PKS2_S2_S3_PS4_PS7_PS2_.kd
    .uniform_work_group_size: 1
    .uses_dynamic_stack: false
    .vgpr_count:     25
    .vgpr_spill_count: 0
    .wavefront_size: 32
    .workgroup_processor_mode: 1
  - .args:
      - .offset:         0
        .size:           4
        .value_kind:     by_value
      - .offset:         4
        .size:           4
        .value_kind:     by_value
      - .offset:         8
        .size:           4
        .value_kind:     by_value
      - .offset:         12
        .size:           4
        .value_kind:     by_value
      - .actual_access:  read_only
        .address_space:  global
        .offset:         16
        .size:           8
        .value_kind:     global_buffer
      - .actual_access:  read_only
        .address_space:  global
        .offset:         24
        .size:           8
        .value_kind:     global_buffer
      - .actual_access:  read_only
        .address_space:  global
        .offset:         32
        .size:           8
        .value_kind:     global_buffer
      - .offset:         40
        .size:           4
        .value_kind:     by_value
      - .offset:         44
        .size:           4
        .value_kind:     by_value
      - .actual_access:  write_only
        .address_space:  global
        .offset:         48
        .size:           8
        .value_kind:     global_buffer
      - .actual_access:  write_only
        .address_space:  global
        .offset:         56
        .size:           8
        .value_kind:     global_buffer
      - .actual_access:  write_only
        .address_space:  global
        .offset:         64
        .size:           8
        .value_kind:     global_buffer
    .group_segment_fixed_size: 0
    .kernarg_segment_align: 8
    .kernarg_segment_size: 72
    .language:       OpenCL C
    .language_version:
      - 2
      - 0
    .max_flat_workgroup_size: 256
    .name:           _ZN9rocsparseL32bsr2csr_block_per_row_2_7_kernelILj256ELj4EfliEEv20rocsparse_direction_T3_S2_21rocsparse_index_base_PKT1_PKT2_PKS2_S2_S3_PS4_PS7_PS2_
    .private_segment_fixed_size: 0
    .sgpr_count:     22
    .sgpr_spill_count: 0
    .symbol:         _ZN9rocsparseL32bsr2csr_block_per_row_2_7_kernelILj256ELj4EfliEEv20rocsparse_direction_T3_S2_21rocsparse_index_base_PKT1_PKT2_PKS2_S2_S3_PS4_PS7_PS2_.kd
    .uniform_work_group_size: 1
    .uses_dynamic_stack: false
    .vgpr_count:     31
    .vgpr_spill_count: 0
    .wavefront_size: 32
    .workgroup_processor_mode: 1
  - .args:
      - .offset:         0
        .size:           4
        .value_kind:     by_value
      - .offset:         4
        .size:           4
        .value_kind:     by_value
      - .offset:         8
        .size:           4
        .value_kind:     by_value
      - .offset:         12
        .size:           4
        .value_kind:     by_value
      - .actual_access:  read_only
        .address_space:  global
        .offset:         16
        .size:           8
        .value_kind:     global_buffer
      - .actual_access:  read_only
        .address_space:  global
        .offset:         24
        .size:           8
        .value_kind:     global_buffer
      - .actual_access:  read_only
        .address_space:  global
        .offset:         32
        .size:           8
        .value_kind:     global_buffer
      - .offset:         40
        .size:           4
        .value_kind:     by_value
      - .offset:         44
        .size:           4
        .value_kind:     by_value
      - .actual_access:  write_only
        .address_space:  global
        .offset:         48
        .size:           8
        .value_kind:     global_buffer
      - .actual_access:  write_only
        .address_space:  global
        .offset:         56
        .size:           8
        .value_kind:     global_buffer
      - .actual_access:  write_only
        .address_space:  global
        .offset:         64
        .size:           8
        .value_kind:     global_buffer
    .group_segment_fixed_size: 0
    .kernarg_segment_align: 8
    .kernarg_segment_size: 72
    .language:       OpenCL C
    .language_version:
      - 2
      - 0
    .max_flat_workgroup_size: 256
    .name:           _ZN9rocsparseL32bsr2csr_block_per_row_2_7_kernelILj256ELj5EfliEEv20rocsparse_direction_T3_S2_21rocsparse_index_base_PKT1_PKT2_PKS2_S2_S3_PS4_PS7_PS2_
    .private_segment_fixed_size: 0
    .sgpr_count:     17
    .sgpr_spill_count: 0
    .symbol:         _ZN9rocsparseL32bsr2csr_block_per_row_2_7_kernelILj256ELj5EfliEEv20rocsparse_direction_T3_S2_21rocsparse_index_base_PKT1_PKT2_PKS2_S2_S3_PS4_PS7_PS2_.kd
    .uniform_work_group_size: 1
    .uses_dynamic_stack: false
    .vgpr_count:     35
    .vgpr_spill_count: 0
    .wavefront_size: 32
    .workgroup_processor_mode: 1
  - .args:
      - .offset:         0
        .size:           4
        .value_kind:     by_value
      - .offset:         4
        .size:           4
        .value_kind:     by_value
      - .offset:         8
        .size:           4
        .value_kind:     by_value
      - .offset:         12
        .size:           4
        .value_kind:     by_value
      - .actual_access:  read_only
        .address_space:  global
        .offset:         16
        .size:           8
        .value_kind:     global_buffer
      - .actual_access:  read_only
        .address_space:  global
        .offset:         24
        .size:           8
        .value_kind:     global_buffer
      - .actual_access:  read_only
        .address_space:  global
        .offset:         32
        .size:           8
        .value_kind:     global_buffer
      - .offset:         40
        .size:           4
        .value_kind:     by_value
      - .offset:         44
        .size:           4
        .value_kind:     by_value
      - .actual_access:  write_only
        .address_space:  global
        .offset:         48
        .size:           8
        .value_kind:     global_buffer
      - .actual_access:  write_only
        .address_space:  global
        .offset:         56
        .size:           8
        .value_kind:     global_buffer
      - .actual_access:  write_only
        .address_space:  global
        .offset:         64
        .size:           8
        .value_kind:     global_buffer
    .group_segment_fixed_size: 0
    .kernarg_segment_align: 8
    .kernarg_segment_size: 72
    .language:       OpenCL C
    .language_version:
      - 2
      - 0
    .max_flat_workgroup_size: 256
    .name:           _ZN9rocsparseL32bsr2csr_block_per_row_2_7_kernelILj256ELj6EfliEEv20rocsparse_direction_T3_S2_21rocsparse_index_base_PKT1_PKT2_PKS2_S2_S3_PS4_PS7_PS2_
    .private_segment_fixed_size: 0
    .sgpr_count:     17
    .sgpr_spill_count: 0
    .symbol:         _ZN9rocsparseL32bsr2csr_block_per_row_2_7_kernelILj256ELj6EfliEEv20rocsparse_direction_T3_S2_21rocsparse_index_base_PKT1_PKT2_PKS2_S2_S3_PS4_PS7_PS2_.kd
    .uniform_work_group_size: 1
    .uses_dynamic_stack: false
    .vgpr_count:     39
    .vgpr_spill_count: 0
    .wavefront_size: 32
    .workgroup_processor_mode: 1
  - .args:
      - .offset:         0
        .size:           4
        .value_kind:     by_value
      - .offset:         4
        .size:           4
        .value_kind:     by_value
      - .offset:         8
        .size:           4
        .value_kind:     by_value
      - .offset:         12
        .size:           4
        .value_kind:     by_value
      - .actual_access:  read_only
        .address_space:  global
        .offset:         16
        .size:           8
        .value_kind:     global_buffer
      - .actual_access:  read_only
        .address_space:  global
        .offset:         24
        .size:           8
        .value_kind:     global_buffer
      - .actual_access:  read_only
        .address_space:  global
        .offset:         32
        .size:           8
        .value_kind:     global_buffer
      - .offset:         40
        .size:           4
        .value_kind:     by_value
      - .offset:         44
        .size:           4
        .value_kind:     by_value
      - .actual_access:  write_only
        .address_space:  global
        .offset:         48
        .size:           8
        .value_kind:     global_buffer
      - .actual_access:  write_only
        .address_space:  global
        .offset:         56
        .size:           8
        .value_kind:     global_buffer
      - .actual_access:  write_only
        .address_space:  global
        .offset:         64
        .size:           8
        .value_kind:     global_buffer
    .group_segment_fixed_size: 0
    .kernarg_segment_align: 8
    .kernarg_segment_size: 72
    .language:       OpenCL C
    .language_version:
      - 2
      - 0
    .max_flat_workgroup_size: 256
    .name:           _ZN9rocsparseL32bsr2csr_block_per_row_2_7_kernelILj256ELj7EfliEEv20rocsparse_direction_T3_S2_21rocsparse_index_base_PKT1_PKT2_PKS2_S2_S3_PS4_PS7_PS2_
    .private_segment_fixed_size: 0
    .sgpr_count:     17
    .sgpr_spill_count: 0
    .symbol:         _ZN9rocsparseL32bsr2csr_block_per_row_2_7_kernelILj256ELj7EfliEEv20rocsparse_direction_T3_S2_21rocsparse_index_base_PKT1_PKT2_PKS2_S2_S3_PS4_PS7_PS2_.kd
    .uniform_work_group_size: 1
    .uses_dynamic_stack: false
    .vgpr_count:     43
    .vgpr_spill_count: 0
    .wavefront_size: 32
    .workgroup_processor_mode: 1
  - .args:
      - .offset:         0
        .size:           4
        .value_kind:     by_value
      - .offset:         4
        .size:           4
        .value_kind:     by_value
      - .offset:         8
        .size:           4
        .value_kind:     by_value
      - .offset:         12
        .size:           4
        .value_kind:     by_value
      - .actual_access:  read_only
        .address_space:  global
        .offset:         16
        .size:           8
        .value_kind:     global_buffer
      - .actual_access:  read_only
        .address_space:  global
        .offset:         24
        .size:           8
        .value_kind:     global_buffer
      - .actual_access:  read_only
        .address_space:  global
        .offset:         32
        .size:           8
        .value_kind:     global_buffer
      - .offset:         40
        .size:           4
        .value_kind:     by_value
      - .offset:         44
        .size:           4
        .value_kind:     by_value
      - .actual_access:  write_only
        .address_space:  global
        .offset:         48
        .size:           8
        .value_kind:     global_buffer
      - .actual_access:  write_only
        .address_space:  global
        .offset:         56
        .size:           8
        .value_kind:     global_buffer
      - .actual_access:  write_only
        .address_space:  global
        .offset:         64
        .size:           8
        .value_kind:     global_buffer
    .group_segment_fixed_size: 0
    .kernarg_segment_align: 8
    .kernarg_segment_size: 72
    .language:       OpenCL C
    .language_version:
      - 2
      - 0
    .max_flat_workgroup_size: 1024
    .name:           _ZN9rocsparseL33bsr2csr_block_per_row_8_32_kernelILj1024ELj8EfliEEv20rocsparse_direction_T3_S2_21rocsparse_index_base_PKT1_PKT2_PKS2_S2_S3_PS4_PS7_PS2_
    .private_segment_fixed_size: 0
    .sgpr_count:     24
    .sgpr_spill_count: 0
    .symbol:         _ZN9rocsparseL33bsr2csr_block_per_row_8_32_kernelILj1024ELj8EfliEEv20rocsparse_direction_T3_S2_21rocsparse_index_base_PKT1_PKT2_PKS2_S2_S3_PS4_PS7_PS2_.kd
    .uniform_work_group_size: 1
    .uses_dynamic_stack: false
    .vgpr_count:     17
    .vgpr_spill_count: 0
    .wavefront_size: 32
    .workgroup_processor_mode: 1
  - .args:
      - .offset:         0
        .size:           4
        .value_kind:     by_value
      - .offset:         4
        .size:           4
        .value_kind:     by_value
      - .offset:         8
        .size:           4
        .value_kind:     by_value
      - .offset:         12
        .size:           4
        .value_kind:     by_value
      - .actual_access:  read_only
        .address_space:  global
        .offset:         16
        .size:           8
        .value_kind:     global_buffer
      - .actual_access:  read_only
        .address_space:  global
        .offset:         24
        .size:           8
        .value_kind:     global_buffer
      - .actual_access:  read_only
        .address_space:  global
        .offset:         32
        .size:           8
        .value_kind:     global_buffer
      - .offset:         40
        .size:           4
        .value_kind:     by_value
      - .offset:         44
        .size:           4
        .value_kind:     by_value
      - .actual_access:  write_only
        .address_space:  global
        .offset:         48
        .size:           8
        .value_kind:     global_buffer
      - .actual_access:  write_only
        .address_space:  global
        .offset:         56
        .size:           8
        .value_kind:     global_buffer
      - .actual_access:  write_only
        .address_space:  global
        .offset:         64
        .size:           8
        .value_kind:     global_buffer
    .group_segment_fixed_size: 0
    .kernarg_segment_align: 8
    .kernarg_segment_size: 72
    .language:       OpenCL C
    .language_version:
      - 2
      - 0
    .max_flat_workgroup_size: 1024
    .name:           _ZN9rocsparseL33bsr2csr_block_per_row_8_32_kernelILj1024ELj16EfliEEv20rocsparse_direction_T3_S2_21rocsparse_index_base_PKT1_PKT2_PKS2_S2_S3_PS4_PS7_PS2_
    .private_segment_fixed_size: 0
    .sgpr_count:     24
    .sgpr_spill_count: 0
    .symbol:         _ZN9rocsparseL33bsr2csr_block_per_row_8_32_kernelILj1024ELj16EfliEEv20rocsparse_direction_T3_S2_21rocsparse_index_base_PKT1_PKT2_PKS2_S2_S3_PS4_PS7_PS2_.kd
    .uniform_work_group_size: 1
    .uses_dynamic_stack: false
    .vgpr_count:     17
    .vgpr_spill_count: 0
    .wavefront_size: 32
    .workgroup_processor_mode: 1
  - .args:
      - .offset:         0
        .size:           4
        .value_kind:     by_value
      - .offset:         4
        .size:           4
        .value_kind:     by_value
      - .offset:         8
        .size:           4
        .value_kind:     by_value
      - .offset:         12
        .size:           4
        .value_kind:     by_value
      - .actual_access:  read_only
        .address_space:  global
        .offset:         16
        .size:           8
        .value_kind:     global_buffer
      - .actual_access:  read_only
        .address_space:  global
        .offset:         24
        .size:           8
        .value_kind:     global_buffer
      - .actual_access:  read_only
        .address_space:  global
        .offset:         32
        .size:           8
        .value_kind:     global_buffer
      - .offset:         40
        .size:           4
        .value_kind:     by_value
      - .offset:         44
        .size:           4
        .value_kind:     by_value
      - .actual_access:  write_only
        .address_space:  global
        .offset:         48
        .size:           8
        .value_kind:     global_buffer
      - .actual_access:  write_only
        .address_space:  global
        .offset:         56
        .size:           8
        .value_kind:     global_buffer
      - .actual_access:  write_only
        .address_space:  global
        .offset:         64
        .size:           8
        .value_kind:     global_buffer
    .group_segment_fixed_size: 0
    .kernarg_segment_align: 8
    .kernarg_segment_size: 72
    .language:       OpenCL C
    .language_version:
      - 2
      - 0
    .max_flat_workgroup_size: 1024
    .name:           _ZN9rocsparseL33bsr2csr_block_per_row_8_32_kernelILj1024ELj32EfliEEv20rocsparse_direction_T3_S2_21rocsparse_index_base_PKT1_PKT2_PKS2_S2_S3_PS4_PS7_PS2_
    .private_segment_fixed_size: 0
    .sgpr_count:     28
    .sgpr_spill_count: 0
    .symbol:         _ZN9rocsparseL33bsr2csr_block_per_row_8_32_kernelILj1024ELj32EfliEEv20rocsparse_direction_T3_S2_21rocsparse_index_base_PKT1_PKT2_PKS2_S2_S3_PS4_PS7_PS2_.kd
    .uniform_work_group_size: 1
    .uses_dynamic_stack: false
    .vgpr_count:     12
    .vgpr_spill_count: 0
    .wavefront_size: 32
    .workgroup_processor_mode: 1
  - .args:
      - .offset:         0
        .size:           4
        .value_kind:     by_value
      - .offset:         4
        .size:           4
        .value_kind:     by_value
      - .offset:         8
        .size:           4
        .value_kind:     by_value
      - .offset:         12
        .size:           4
        .value_kind:     by_value
      - .actual_access:  read_only
        .address_space:  global
        .offset:         16
        .size:           8
        .value_kind:     global_buffer
      - .actual_access:  read_only
        .address_space:  global
        .offset:         24
        .size:           8
        .value_kind:     global_buffer
      - .actual_access:  read_only
        .address_space:  global
        .offset:         32
        .size:           8
        .value_kind:     global_buffer
      - .offset:         40
        .size:           4
        .value_kind:     by_value
      - .offset:         44
        .size:           4
        .value_kind:     by_value
      - .actual_access:  write_only
        .address_space:  global
        .offset:         48
        .size:           8
        .value_kind:     global_buffer
      - .actual_access:  write_only
        .address_space:  global
        .offset:         56
        .size:           8
        .value_kind:     global_buffer
      - .actual_access:  write_only
        .address_space:  global
        .offset:         64
        .size:           8
        .value_kind:     global_buffer
    .group_segment_fixed_size: 0
    .kernarg_segment_align: 8
    .kernarg_segment_size: 72
    .language:       OpenCL C
    .language_version:
      - 2
      - 0
    .max_flat_workgroup_size: 1024
    .name:           _ZN9rocsparseL35bsr2csr_block_per_row_33_256_kernelILj1024ELj64ELj32EfliEEv20rocsparse_direction_T4_S2_21rocsparse_index_base_PKT2_PKT3_PKS2_S2_S3_PS4_PS7_PS2_
    .private_segment_fixed_size: 0
    .sgpr_count:     40
    .sgpr_spill_count: 0
    .symbol:         _ZN9rocsparseL35bsr2csr_block_per_row_33_256_kernelILj1024ELj64ELj32EfliEEv20rocsparse_direction_T4_S2_21rocsparse_index_base_PKT2_PKT3_PKS2_S2_S3_PS4_PS7_PS2_.kd
    .uniform_work_group_size: 1
    .uses_dynamic_stack: false
    .vgpr_count:     27
    .vgpr_spill_count: 0
    .wavefront_size: 32
    .workgroup_processor_mode: 1
  - .args:
      - .offset:         0
        .size:           4
        .value_kind:     by_value
      - .offset:         4
        .size:           4
        .value_kind:     by_value
      - .offset:         8
        .size:           4
        .value_kind:     by_value
      - .offset:         12
        .size:           4
        .value_kind:     by_value
      - .actual_access:  read_only
        .address_space:  global
        .offset:         16
        .size:           8
        .value_kind:     global_buffer
      - .actual_access:  read_only
        .address_space:  global
        .offset:         24
        .size:           8
        .value_kind:     global_buffer
      - .actual_access:  read_only
        .address_space:  global
        .offset:         32
        .size:           8
        .value_kind:     global_buffer
      - .offset:         40
        .size:           4
        .value_kind:     by_value
      - .offset:         44
        .size:           4
        .value_kind:     by_value
      - .actual_access:  write_only
        .address_space:  global
        .offset:         48
        .size:           8
        .value_kind:     global_buffer
      - .actual_access:  write_only
        .address_space:  global
        .offset:         56
        .size:           8
        .value_kind:     global_buffer
      - .actual_access:  write_only
        .address_space:  global
        .offset:         64
        .size:           8
        .value_kind:     global_buffer
    .group_segment_fixed_size: 0
    .kernarg_segment_align: 8
    .kernarg_segment_size: 72
    .language:       OpenCL C
    .language_version:
      - 2
      - 0
    .max_flat_workgroup_size: 1024
    .name:           _ZN9rocsparseL35bsr2csr_block_per_row_33_256_kernelILj1024ELj128ELj32EfliEEv20rocsparse_direction_T4_S2_21rocsparse_index_base_PKT2_PKT3_PKS2_S2_S3_PS4_PS7_PS2_
    .private_segment_fixed_size: 0
    .sgpr_count:     52
    .sgpr_spill_count: 0
    .symbol:         _ZN9rocsparseL35bsr2csr_block_per_row_33_256_kernelILj1024ELj128ELj32EfliEEv20rocsparse_direction_T4_S2_21rocsparse_index_base_PKT2_PKT3_PKS2_S2_S3_PS4_PS7_PS2_.kd
    .uniform_work_group_size: 1
    .uses_dynamic_stack: false
    .vgpr_count:     45
    .vgpr_spill_count: 0
    .wavefront_size: 32
    .workgroup_processor_mode: 1
  - .args:
      - .offset:         0
        .size:           4
        .value_kind:     by_value
      - .offset:         4
        .size:           4
        .value_kind:     by_value
      - .offset:         8
        .size:           4
        .value_kind:     by_value
      - .offset:         12
        .size:           4
        .value_kind:     by_value
      - .actual_access:  read_only
        .address_space:  global
        .offset:         16
        .size:           8
        .value_kind:     global_buffer
      - .actual_access:  read_only
        .address_space:  global
        .offset:         24
        .size:           8
        .value_kind:     global_buffer
      - .actual_access:  read_only
        .address_space:  global
        .offset:         32
        .size:           8
        .value_kind:     global_buffer
      - .offset:         40
        .size:           4
        .value_kind:     by_value
      - .offset:         44
        .size:           4
        .value_kind:     by_value
      - .actual_access:  write_only
        .address_space:  global
        .offset:         48
        .size:           8
        .value_kind:     global_buffer
      - .actual_access:  write_only
        .address_space:  global
        .offset:         56
        .size:           8
        .value_kind:     global_buffer
      - .actual_access:  write_only
        .address_space:  global
        .offset:         64
        .size:           8
        .value_kind:     global_buffer
    .group_segment_fixed_size: 0
    .kernarg_segment_align: 8
    .kernarg_segment_size: 72
    .language:       OpenCL C
    .language_version:
      - 2
      - 0
    .max_flat_workgroup_size: 1024
    .name:           _ZN9rocsparseL35bsr2csr_block_per_row_33_256_kernelILj1024ELj256ELj32EfliEEv20rocsparse_direction_T4_S2_21rocsparse_index_base_PKT2_PKT3_PKS2_S2_S3_PS4_PS7_PS2_
    .private_segment_fixed_size: 0
    .sgpr_count:     94
    .sgpr_spill_count: 0
    .symbol:         _ZN9rocsparseL35bsr2csr_block_per_row_33_256_kernelILj1024ELj256ELj32EfliEEv20rocsparse_direction_T4_S2_21rocsparse_index_base_PKT2_PKT3_PKS2_S2_S3_PS4_PS7_PS2_.kd
    .uniform_work_group_size: 1
    .uses_dynamic_stack: false
    .vgpr_count:     77
    .vgpr_spill_count: 0
    .wavefront_size: 32
    .workgroup_processor_mode: 1
  - .args:
      - .offset:         0
        .size:           8
        .value_kind:     by_value
      - .offset:         8
        .size:           8
        .value_kind:     by_value
      - .offset:         16
        .size:           4
        .value_kind:     by_value
      - .actual_access:  read_only
        .address_space:  global
        .offset:         24
        .size:           8
        .value_kind:     global_buffer
      - .actual_access:  read_only
        .address_space:  global
        .offset:         32
        .size:           8
        .value_kind:     global_buffer
      - .actual_access:  read_only
        .address_space:  global
        .offset:         40
        .size:           8
        .value_kind:     global_buffer
      - .offset:         48
        .size:           4
        .value_kind:     by_value
      - .actual_access:  write_only
        .address_space:  global
        .offset:         56
        .size:           8
        .value_kind:     global_buffer
      - .actual_access:  write_only
        .address_space:  global
        .offset:         64
        .size:           8
        .value_kind:     global_buffer
      - .actual_access:  write_only
        .address_space:  global
        .offset:         72
        .size:           8
        .value_kind:     global_buffer
      - .offset:         80
        .size:           4
        .value_kind:     hidden_block_count_x
      - .offset:         84
        .size:           4
        .value_kind:     hidden_block_count_y
      - .offset:         88
        .size:           4
        .value_kind:     hidden_block_count_z
      - .offset:         92
        .size:           2
        .value_kind:     hidden_group_size_x
      - .offset:         94
        .size:           2
        .value_kind:     hidden_group_size_y
      - .offset:         96
        .size:           2
        .value_kind:     hidden_group_size_z
      - .offset:         98
        .size:           2
        .value_kind:     hidden_remainder_x
      - .offset:         100
        .size:           2
        .value_kind:     hidden_remainder_y
      - .offset:         102
        .size:           2
        .value_kind:     hidden_remainder_z
      - .offset:         120
        .size:           8
        .value_kind:     hidden_global_offset_x
      - .offset:         128
        .size:           8
        .value_kind:     hidden_global_offset_y
      - .offset:         136
        .size:           8
        .value_kind:     hidden_global_offset_z
      - .offset:         144
        .size:           2
        .value_kind:     hidden_grid_dims
    .group_segment_fixed_size: 0
    .kernarg_segment_align: 8
    .kernarg_segment_size: 336
    .language:       OpenCL C
    .language_version:
      - 2
      - 0
    .max_flat_workgroup_size: 1024
    .name:           _ZN9rocsparseL35bsr2csr_block_dim_equals_one_kernelILj1024EfilEEvT2_S1_21rocsparse_index_base_PKT0_PKT1_PKS1_S2_PS3_PS6_PS1_
    .private_segment_fixed_size: 0
    .sgpr_count:     24
    .sgpr_spill_count: 0
    .symbol:         _ZN9rocsparseL35bsr2csr_block_dim_equals_one_kernelILj1024EfilEEvT2_S1_21rocsparse_index_base_PKT0_PKT1_PKS1_S2_PS3_PS6_PS1_.kd
    .uniform_work_group_size: 1
    .uses_dynamic_stack: false
    .vgpr_count:     13
    .vgpr_spill_count: 0
    .wavefront_size: 32
    .workgroup_processor_mode: 1
  - .args:
      - .offset:         0
        .size:           4
        .value_kind:     by_value
      - .offset:         8
        .size:           8
        .value_kind:     by_value
      - .offset:         16
        .size:           8
        .value_kind:     by_value
      - .offset:         24
        .size:           4
        .value_kind:     by_value
      - .actual_access:  read_only
        .address_space:  global
        .offset:         32
        .size:           8
        .value_kind:     global_buffer
      - .actual_access:  read_only
        .address_space:  global
        .offset:         40
        .size:           8
        .value_kind:     global_buffer
      - .actual_access:  read_only
        .address_space:  global
        .offset:         48
        .size:           8
        .value_kind:     global_buffer
      - .offset:         56
        .size:           8
        .value_kind:     by_value
      - .offset:         64
        .size:           4
        .value_kind:     by_value
      - .actual_access:  write_only
        .address_space:  global
        .offset:         72
        .size:           8
        .value_kind:     global_buffer
      - .actual_access:  write_only
        .address_space:  global
        .offset:         80
        .size:           8
        .value_kind:     global_buffer
      - .actual_access:  write_only
        .address_space:  global
        .offset:         88
        .size:           8
        .value_kind:     global_buffer
    .group_segment_fixed_size: 0
    .kernarg_segment_align: 8
    .kernarg_segment_size: 96
    .language:       OpenCL C
    .language_version:
      - 2
      - 0
    .max_flat_workgroup_size: 256
    .name:           _ZN9rocsparseL32bsr2csr_block_per_row_2_7_kernelILj256ELj2EfilEEv20rocsparse_direction_T3_S2_21rocsparse_index_base_PKT1_PKT2_PKS2_S2_S3_PS4_PS7_PS2_
    .private_segment_fixed_size: 0
    .sgpr_count:     17
    .sgpr_spill_count: 0
    .symbol:         _ZN9rocsparseL32bsr2csr_block_per_row_2_7_kernelILj256ELj2EfilEEv20rocsparse_direction_T3_S2_21rocsparse_index_base_PKT1_PKT2_PKS2_S2_S3_PS4_PS7_PS2_.kd
    .uniform_work_group_size: 1
    .uses_dynamic_stack: false
    .vgpr_count:     19
    .vgpr_spill_count: 0
    .wavefront_size: 32
    .workgroup_processor_mode: 1
  - .args:
      - .offset:         0
        .size:           4
        .value_kind:     by_value
      - .offset:         8
        .size:           8
        .value_kind:     by_value
      - .offset:         16
        .size:           8
        .value_kind:     by_value
      - .offset:         24
        .size:           4
        .value_kind:     by_value
      - .actual_access:  read_only
        .address_space:  global
        .offset:         32
        .size:           8
        .value_kind:     global_buffer
      - .actual_access:  read_only
        .address_space:  global
        .offset:         40
        .size:           8
        .value_kind:     global_buffer
      - .actual_access:  read_only
        .address_space:  global
        .offset:         48
        .size:           8
        .value_kind:     global_buffer
      - .offset:         56
        .size:           8
        .value_kind:     by_value
      - .offset:         64
        .size:           4
        .value_kind:     by_value
      - .actual_access:  write_only
        .address_space:  global
        .offset:         72
        .size:           8
        .value_kind:     global_buffer
      - .actual_access:  write_only
        .address_space:  global
        .offset:         80
        .size:           8
        .value_kind:     global_buffer
      - .actual_access:  write_only
        .address_space:  global
        .offset:         88
        .size:           8
        .value_kind:     global_buffer
    .group_segment_fixed_size: 0
    .kernarg_segment_align: 8
    .kernarg_segment_size: 96
    .language:       OpenCL C
    .language_version:
      - 2
      - 0
    .max_flat_workgroup_size: 256
    .name:           _ZN9rocsparseL32bsr2csr_block_per_row_2_7_kernelILj256ELj3EfilEEv20rocsparse_direction_T3_S2_21rocsparse_index_base_PKT1_PKT2_PKS2_S2_S3_PS4_PS7_PS2_
    .private_segment_fixed_size: 0
    .sgpr_count:     16
    .sgpr_spill_count: 0
    .symbol:         _ZN9rocsparseL32bsr2csr_block_per_row_2_7_kernelILj256ELj3EfilEEv20rocsparse_direction_T3_S2_21rocsparse_index_base_PKT1_PKT2_PKS2_S2_S3_PS4_PS7_PS2_.kd
    .uniform_work_group_size: 1
    .uses_dynamic_stack: false
    .vgpr_count:     23
    .vgpr_spill_count: 0
    .wavefront_size: 32
    .workgroup_processor_mode: 1
  - .args:
      - .offset:         0
        .size:           4
        .value_kind:     by_value
      - .offset:         8
        .size:           8
        .value_kind:     by_value
      - .offset:         16
        .size:           8
        .value_kind:     by_value
      - .offset:         24
        .size:           4
        .value_kind:     by_value
      - .actual_access:  read_only
        .address_space:  global
        .offset:         32
        .size:           8
        .value_kind:     global_buffer
      - .actual_access:  read_only
        .address_space:  global
        .offset:         40
        .size:           8
        .value_kind:     global_buffer
      - .actual_access:  read_only
        .address_space:  global
        .offset:         48
        .size:           8
        .value_kind:     global_buffer
      - .offset:         56
        .size:           8
        .value_kind:     by_value
      - .offset:         64
        .size:           4
        .value_kind:     by_value
      - .actual_access:  write_only
        .address_space:  global
        .offset:         72
        .size:           8
        .value_kind:     global_buffer
      - .actual_access:  write_only
        .address_space:  global
        .offset:         80
        .size:           8
        .value_kind:     global_buffer
      - .actual_access:  write_only
        .address_space:  global
        .offset:         88
        .size:           8
        .value_kind:     global_buffer
    .group_segment_fixed_size: 0
    .kernarg_segment_align: 8
    .kernarg_segment_size: 96
    .language:       OpenCL C
    .language_version:
      - 2
      - 0
    .max_flat_workgroup_size: 256
    .name:           _ZN9rocsparseL32bsr2csr_block_per_row_2_7_kernelILj256ELj4EfilEEv20rocsparse_direction_T3_S2_21rocsparse_index_base_PKT1_PKT2_PKS2_S2_S3_PS4_PS7_PS2_
    .private_segment_fixed_size: 0
    .sgpr_count:     16
    .sgpr_spill_count: 0
    .symbol:         _ZN9rocsparseL32bsr2csr_block_per_row_2_7_kernelILj256ELj4EfilEEv20rocsparse_direction_T3_S2_21rocsparse_index_base_PKT1_PKT2_PKS2_S2_S3_PS4_PS7_PS2_.kd
    .uniform_work_group_size: 1
    .uses_dynamic_stack: false
    .vgpr_count:     27
    .vgpr_spill_count: 0
    .wavefront_size: 32
    .workgroup_processor_mode: 1
  - .args:
      - .offset:         0
        .size:           4
        .value_kind:     by_value
      - .offset:         8
        .size:           8
        .value_kind:     by_value
      - .offset:         16
        .size:           8
        .value_kind:     by_value
      - .offset:         24
        .size:           4
        .value_kind:     by_value
      - .actual_access:  read_only
        .address_space:  global
        .offset:         32
        .size:           8
        .value_kind:     global_buffer
      - .actual_access:  read_only
        .address_space:  global
        .offset:         40
        .size:           8
        .value_kind:     global_buffer
      - .actual_access:  read_only
        .address_space:  global
        .offset:         48
        .size:           8
        .value_kind:     global_buffer
      - .offset:         56
        .size:           8
        .value_kind:     by_value
      - .offset:         64
        .size:           4
        .value_kind:     by_value
      - .actual_access:  write_only
        .address_space:  global
        .offset:         72
        .size:           8
        .value_kind:     global_buffer
      - .actual_access:  write_only
        .address_space:  global
        .offset:         80
        .size:           8
        .value_kind:     global_buffer
      - .actual_access:  write_only
        .address_space:  global
        .offset:         88
        .size:           8
        .value_kind:     global_buffer
    .group_segment_fixed_size: 0
    .kernarg_segment_align: 8
    .kernarg_segment_size: 96
    .language:       OpenCL C
    .language_version:
      - 2
      - 0
    .max_flat_workgroup_size: 256
    .name:           _ZN9rocsparseL32bsr2csr_block_per_row_2_7_kernelILj256ELj5EfilEEv20rocsparse_direction_T3_S2_21rocsparse_index_base_PKT1_PKT2_PKS2_S2_S3_PS4_PS7_PS2_
    .private_segment_fixed_size: 0
    .sgpr_count:     17
    .sgpr_spill_count: 0
    .symbol:         _ZN9rocsparseL32bsr2csr_block_per_row_2_7_kernelILj256ELj5EfilEEv20rocsparse_direction_T3_S2_21rocsparse_index_base_PKT1_PKT2_PKS2_S2_S3_PS4_PS7_PS2_.kd
    .uniform_work_group_size: 1
    .uses_dynamic_stack: false
    .vgpr_count:     30
    .vgpr_spill_count: 0
    .wavefront_size: 32
    .workgroup_processor_mode: 1
  - .args:
      - .offset:         0
        .size:           4
        .value_kind:     by_value
      - .offset:         8
        .size:           8
        .value_kind:     by_value
      - .offset:         16
        .size:           8
        .value_kind:     by_value
      - .offset:         24
        .size:           4
        .value_kind:     by_value
      - .actual_access:  read_only
        .address_space:  global
        .offset:         32
        .size:           8
        .value_kind:     global_buffer
      - .actual_access:  read_only
        .address_space:  global
        .offset:         40
        .size:           8
        .value_kind:     global_buffer
      - .actual_access:  read_only
        .address_space:  global
        .offset:         48
        .size:           8
        .value_kind:     global_buffer
      - .offset:         56
        .size:           8
        .value_kind:     by_value
      - .offset:         64
        .size:           4
        .value_kind:     by_value
      - .actual_access:  write_only
        .address_space:  global
        .offset:         72
        .size:           8
        .value_kind:     global_buffer
      - .actual_access:  write_only
        .address_space:  global
        .offset:         80
        .size:           8
        .value_kind:     global_buffer
      - .actual_access:  write_only
        .address_space:  global
        .offset:         88
        .size:           8
        .value_kind:     global_buffer
    .group_segment_fixed_size: 0
    .kernarg_segment_align: 8
    .kernarg_segment_size: 96
    .language:       OpenCL C
    .language_version:
      - 2
      - 0
    .max_flat_workgroup_size: 256
    .name:           _ZN9rocsparseL32bsr2csr_block_per_row_2_7_kernelILj256ELj6EfilEEv20rocsparse_direction_T3_S2_21rocsparse_index_base_PKT1_PKT2_PKS2_S2_S3_PS4_PS7_PS2_
    .private_segment_fixed_size: 0
    .sgpr_count:     18
    .sgpr_spill_count: 0
    .symbol:         _ZN9rocsparseL32bsr2csr_block_per_row_2_7_kernelILj256ELj6EfilEEv20rocsparse_direction_T3_S2_21rocsparse_index_base_PKT1_PKT2_PKS2_S2_S3_PS4_PS7_PS2_.kd
    .uniform_work_group_size: 1
    .uses_dynamic_stack: false
    .vgpr_count:     35
    .vgpr_spill_count: 0
    .wavefront_size: 32
    .workgroup_processor_mode: 1
  - .args:
      - .offset:         0
        .size:           4
        .value_kind:     by_value
      - .offset:         8
        .size:           8
        .value_kind:     by_value
      - .offset:         16
        .size:           8
        .value_kind:     by_value
      - .offset:         24
        .size:           4
        .value_kind:     by_value
      - .actual_access:  read_only
        .address_space:  global
        .offset:         32
        .size:           8
        .value_kind:     global_buffer
      - .actual_access:  read_only
        .address_space:  global
        .offset:         40
        .size:           8
        .value_kind:     global_buffer
      - .actual_access:  read_only
        .address_space:  global
        .offset:         48
        .size:           8
        .value_kind:     global_buffer
      - .offset:         56
        .size:           8
        .value_kind:     by_value
      - .offset:         64
        .size:           4
        .value_kind:     by_value
      - .actual_access:  write_only
        .address_space:  global
        .offset:         72
        .size:           8
        .value_kind:     global_buffer
      - .actual_access:  write_only
        .address_space:  global
        .offset:         80
        .size:           8
        .value_kind:     global_buffer
      - .actual_access:  write_only
        .address_space:  global
        .offset:         88
        .size:           8
        .value_kind:     global_buffer
    .group_segment_fixed_size: 0
    .kernarg_segment_align: 8
    .kernarg_segment_size: 96
    .language:       OpenCL C
    .language_version:
      - 2
      - 0
    .max_flat_workgroup_size: 256
    .name:           _ZN9rocsparseL32bsr2csr_block_per_row_2_7_kernelILj256ELj7EfilEEv20rocsparse_direction_T3_S2_21rocsparse_index_base_PKT1_PKT2_PKS2_S2_S3_PS4_PS7_PS2_
    .private_segment_fixed_size: 0
    .sgpr_count:     19
    .sgpr_spill_count: 0
    .symbol:         _ZN9rocsparseL32bsr2csr_block_per_row_2_7_kernelILj256ELj7EfilEEv20rocsparse_direction_T3_S2_21rocsparse_index_base_PKT1_PKT2_PKS2_S2_S3_PS4_PS7_PS2_.kd
    .uniform_work_group_size: 1
    .uses_dynamic_stack: false
    .vgpr_count:     38
    .vgpr_spill_count: 0
    .wavefront_size: 32
    .workgroup_processor_mode: 1
  - .args:
      - .offset:         0
        .size:           4
        .value_kind:     by_value
      - .offset:         8
        .size:           8
        .value_kind:     by_value
      - .offset:         16
        .size:           8
        .value_kind:     by_value
      - .offset:         24
        .size:           4
        .value_kind:     by_value
      - .actual_access:  read_only
        .address_space:  global
        .offset:         32
        .size:           8
        .value_kind:     global_buffer
      - .actual_access:  read_only
        .address_space:  global
        .offset:         40
        .size:           8
        .value_kind:     global_buffer
      - .actual_access:  read_only
        .address_space:  global
        .offset:         48
        .size:           8
        .value_kind:     global_buffer
      - .offset:         56
        .size:           8
        .value_kind:     by_value
      - .offset:         64
        .size:           4
        .value_kind:     by_value
      - .actual_access:  write_only
        .address_space:  global
        .offset:         72
        .size:           8
        .value_kind:     global_buffer
      - .actual_access:  write_only
        .address_space:  global
        .offset:         80
        .size:           8
        .value_kind:     global_buffer
      - .actual_access:  write_only
        .address_space:  global
        .offset:         88
        .size:           8
        .value_kind:     global_buffer
    .group_segment_fixed_size: 0
    .kernarg_segment_align: 8
    .kernarg_segment_size: 96
    .language:       OpenCL C
    .language_version:
      - 2
      - 0
    .max_flat_workgroup_size: 1024
    .name:           _ZN9rocsparseL33bsr2csr_block_per_row_8_32_kernelILj1024ELj8EfilEEv20rocsparse_direction_T3_S2_21rocsparse_index_base_PKT1_PKT2_PKS2_S2_S3_PS4_PS7_PS2_
    .private_segment_fixed_size: 0
    .sgpr_count:     22
    .sgpr_spill_count: 0
    .symbol:         _ZN9rocsparseL33bsr2csr_block_per_row_8_32_kernelILj1024ELj8EfilEEv20rocsparse_direction_T3_S2_21rocsparse_index_base_PKT1_PKT2_PKS2_S2_S3_PS4_PS7_PS2_.kd
    .uniform_work_group_size: 1
    .uses_dynamic_stack: false
    .vgpr_count:     16
    .vgpr_spill_count: 0
    .wavefront_size: 32
    .workgroup_processor_mode: 1
  - .args:
      - .offset:         0
        .size:           4
        .value_kind:     by_value
      - .offset:         8
        .size:           8
        .value_kind:     by_value
      - .offset:         16
        .size:           8
        .value_kind:     by_value
      - .offset:         24
        .size:           4
        .value_kind:     by_value
      - .actual_access:  read_only
        .address_space:  global
        .offset:         32
        .size:           8
        .value_kind:     global_buffer
      - .actual_access:  read_only
        .address_space:  global
        .offset:         40
        .size:           8
        .value_kind:     global_buffer
      - .actual_access:  read_only
        .address_space:  global
        .offset:         48
        .size:           8
        .value_kind:     global_buffer
      - .offset:         56
        .size:           8
        .value_kind:     by_value
      - .offset:         64
        .size:           4
        .value_kind:     by_value
      - .actual_access:  write_only
        .address_space:  global
        .offset:         72
        .size:           8
        .value_kind:     global_buffer
      - .actual_access:  write_only
        .address_space:  global
        .offset:         80
        .size:           8
        .value_kind:     global_buffer
      - .actual_access:  write_only
        .address_space:  global
        .offset:         88
        .size:           8
        .value_kind:     global_buffer
    .group_segment_fixed_size: 0
    .kernarg_segment_align: 8
    .kernarg_segment_size: 96
    .language:       OpenCL C
    .language_version:
      - 2
      - 0
    .max_flat_workgroup_size: 1024
    .name:           _ZN9rocsparseL33bsr2csr_block_per_row_8_32_kernelILj1024ELj16EfilEEv20rocsparse_direction_T3_S2_21rocsparse_index_base_PKT1_PKT2_PKS2_S2_S3_PS4_PS7_PS2_
    .private_segment_fixed_size: 0
    .sgpr_count:     22
    .sgpr_spill_count: 0
    .symbol:         _ZN9rocsparseL33bsr2csr_block_per_row_8_32_kernelILj1024ELj16EfilEEv20rocsparse_direction_T3_S2_21rocsparse_index_base_PKT1_PKT2_PKS2_S2_S3_PS4_PS7_PS2_.kd
    .uniform_work_group_size: 1
    .uses_dynamic_stack: false
    .vgpr_count:     16
    .vgpr_spill_count: 0
    .wavefront_size: 32
    .workgroup_processor_mode: 1
  - .args:
      - .offset:         0
        .size:           4
        .value_kind:     by_value
      - .offset:         8
        .size:           8
        .value_kind:     by_value
      - .offset:         16
        .size:           8
        .value_kind:     by_value
      - .offset:         24
        .size:           4
        .value_kind:     by_value
      - .actual_access:  read_only
        .address_space:  global
        .offset:         32
        .size:           8
        .value_kind:     global_buffer
      - .actual_access:  read_only
        .address_space:  global
        .offset:         40
        .size:           8
        .value_kind:     global_buffer
      - .actual_access:  read_only
        .address_space:  global
        .offset:         48
        .size:           8
        .value_kind:     global_buffer
      - .offset:         56
        .size:           8
        .value_kind:     by_value
      - .offset:         64
        .size:           4
        .value_kind:     by_value
      - .actual_access:  write_only
        .address_space:  global
        .offset:         72
        .size:           8
        .value_kind:     global_buffer
      - .actual_access:  write_only
        .address_space:  global
        .offset:         80
        .size:           8
        .value_kind:     global_buffer
      - .actual_access:  write_only
        .address_space:  global
        .offset:         88
        .size:           8
        .value_kind:     global_buffer
    .group_segment_fixed_size: 0
    .kernarg_segment_align: 8
    .kernarg_segment_size: 96
    .language:       OpenCL C
    .language_version:
      - 2
      - 0
    .max_flat_workgroup_size: 1024
    .name:           _ZN9rocsparseL33bsr2csr_block_per_row_8_32_kernelILj1024ELj32EfilEEv20rocsparse_direction_T3_S2_21rocsparse_index_base_PKT1_PKT2_PKS2_S2_S3_PS4_PS7_PS2_
    .private_segment_fixed_size: 0
    .sgpr_count:     21
    .sgpr_spill_count: 0
    .symbol:         _ZN9rocsparseL33bsr2csr_block_per_row_8_32_kernelILj1024ELj32EfilEEv20rocsparse_direction_T3_S2_21rocsparse_index_base_PKT1_PKT2_PKS2_S2_S3_PS4_PS7_PS2_.kd
    .uniform_work_group_size: 1
    .uses_dynamic_stack: false
    .vgpr_count:     13
    .vgpr_spill_count: 0
    .wavefront_size: 32
    .workgroup_processor_mode: 1
  - .args:
      - .offset:         0
        .size:           4
        .value_kind:     by_value
      - .offset:         8
        .size:           8
        .value_kind:     by_value
      - .offset:         16
        .size:           8
        .value_kind:     by_value
      - .offset:         24
        .size:           4
        .value_kind:     by_value
      - .actual_access:  read_only
        .address_space:  global
        .offset:         32
        .size:           8
        .value_kind:     global_buffer
      - .actual_access:  read_only
        .address_space:  global
        .offset:         40
        .size:           8
        .value_kind:     global_buffer
      - .actual_access:  read_only
        .address_space:  global
        .offset:         48
        .size:           8
        .value_kind:     global_buffer
      - .offset:         56
        .size:           8
        .value_kind:     by_value
      - .offset:         64
        .size:           4
        .value_kind:     by_value
      - .actual_access:  write_only
        .address_space:  global
        .offset:         72
        .size:           8
        .value_kind:     global_buffer
      - .actual_access:  write_only
        .address_space:  global
        .offset:         80
        .size:           8
        .value_kind:     global_buffer
      - .actual_access:  write_only
        .address_space:  global
        .offset:         88
        .size:           8
        .value_kind:     global_buffer
    .group_segment_fixed_size: 0
    .kernarg_segment_align: 8
    .kernarg_segment_size: 96
    .language:       OpenCL C
    .language_version:
      - 2
      - 0
    .max_flat_workgroup_size: 1024
    .name:           _ZN9rocsparseL35bsr2csr_block_per_row_33_256_kernelILj1024ELj64ELj32EfilEEv20rocsparse_direction_T4_S2_21rocsparse_index_base_PKT2_PKT3_PKS2_S2_S3_PS4_PS7_PS2_
    .private_segment_fixed_size: 0
    .sgpr_count:     28
    .sgpr_spill_count: 0
    .symbol:         _ZN9rocsparseL35bsr2csr_block_per_row_33_256_kernelILj1024ELj64ELj32EfilEEv20rocsparse_direction_T4_S2_21rocsparse_index_base_PKT2_PKT3_PKS2_S2_S3_PS4_PS7_PS2_.kd
    .uniform_work_group_size: 1
    .uses_dynamic_stack: false
    .vgpr_count:     22
    .vgpr_spill_count: 0
    .wavefront_size: 32
    .workgroup_processor_mode: 1
  - .args:
      - .offset:         0
        .size:           4
        .value_kind:     by_value
      - .offset:         8
        .size:           8
        .value_kind:     by_value
      - .offset:         16
        .size:           8
        .value_kind:     by_value
      - .offset:         24
        .size:           4
        .value_kind:     by_value
      - .actual_access:  read_only
        .address_space:  global
        .offset:         32
        .size:           8
        .value_kind:     global_buffer
      - .actual_access:  read_only
        .address_space:  global
        .offset:         40
        .size:           8
        .value_kind:     global_buffer
      - .actual_access:  read_only
        .address_space:  global
        .offset:         48
        .size:           8
        .value_kind:     global_buffer
      - .offset:         56
        .size:           8
        .value_kind:     by_value
      - .offset:         64
        .size:           4
        .value_kind:     by_value
      - .actual_access:  write_only
        .address_space:  global
        .offset:         72
        .size:           8
        .value_kind:     global_buffer
      - .actual_access:  write_only
        .address_space:  global
        .offset:         80
        .size:           8
        .value_kind:     global_buffer
      - .actual_access:  write_only
        .address_space:  global
        .offset:         88
        .size:           8
        .value_kind:     global_buffer
    .group_segment_fixed_size: 0
    .kernarg_segment_align: 8
    .kernarg_segment_size: 96
    .language:       OpenCL C
    .language_version:
      - 2
      - 0
    .max_flat_workgroup_size: 1024
    .name:           _ZN9rocsparseL35bsr2csr_block_per_row_33_256_kernelILj1024ELj128ELj32EfilEEv20rocsparse_direction_T4_S2_21rocsparse_index_base_PKT2_PKT3_PKS2_S2_S3_PS4_PS7_PS2_
    .private_segment_fixed_size: 0
    .sgpr_count:     44
    .sgpr_spill_count: 0
    .symbol:         _ZN9rocsparseL35bsr2csr_block_per_row_33_256_kernelILj1024ELj128ELj32EfilEEv20rocsparse_direction_T4_S2_21rocsparse_index_base_PKT2_PKT3_PKS2_S2_S3_PS4_PS7_PS2_.kd
    .uniform_work_group_size: 1
    .uses_dynamic_stack: false
    .vgpr_count:     46
    .vgpr_spill_count: 0
    .wavefront_size: 32
    .workgroup_processor_mode: 1
  - .args:
      - .offset:         0
        .size:           4
        .value_kind:     by_value
      - .offset:         8
        .size:           8
        .value_kind:     by_value
      - .offset:         16
        .size:           8
        .value_kind:     by_value
      - .offset:         24
        .size:           4
        .value_kind:     by_value
      - .actual_access:  read_only
        .address_space:  global
        .offset:         32
        .size:           8
        .value_kind:     global_buffer
      - .actual_access:  read_only
        .address_space:  global
        .offset:         40
        .size:           8
        .value_kind:     global_buffer
      - .actual_access:  read_only
        .address_space:  global
        .offset:         48
        .size:           8
        .value_kind:     global_buffer
      - .offset:         56
        .size:           8
        .value_kind:     by_value
      - .offset:         64
        .size:           4
        .value_kind:     by_value
      - .actual_access:  write_only
        .address_space:  global
        .offset:         72
        .size:           8
        .value_kind:     global_buffer
      - .actual_access:  write_only
        .address_space:  global
        .offset:         80
        .size:           8
        .value_kind:     global_buffer
      - .actual_access:  write_only
        .address_space:  global
        .offset:         88
        .size:           8
        .value_kind:     global_buffer
    .group_segment_fixed_size: 0
    .kernarg_segment_align: 8
    .kernarg_segment_size: 96
    .language:       OpenCL C
    .language_version:
      - 2
      - 0
    .max_flat_workgroup_size: 1024
    .name:           _ZN9rocsparseL35bsr2csr_block_per_row_33_256_kernelILj1024ELj256ELj32EfilEEv20rocsparse_direction_T4_S2_21rocsparse_index_base_PKT2_PKT3_PKS2_S2_S3_PS4_PS7_PS2_
    .private_segment_fixed_size: 0
    .sgpr_count:     91
    .sgpr_spill_count: 0
    .symbol:         _ZN9rocsparseL35bsr2csr_block_per_row_33_256_kernelILj1024ELj256ELj32EfilEEv20rocsparse_direction_T4_S2_21rocsparse_index_base_PKT2_PKT3_PKS2_S2_S3_PS4_PS7_PS2_.kd
    .uniform_work_group_size: 1
    .uses_dynamic_stack: false
    .vgpr_count:     78
    .vgpr_spill_count: 0
    .wavefront_size: 32
    .workgroup_processor_mode: 1
  - .args:
      - .offset:         0
        .size:           8
        .value_kind:     by_value
      - .offset:         8
        .size:           8
        .value_kind:     by_value
      - .offset:         16
        .size:           4
        .value_kind:     by_value
      - .actual_access:  read_only
        .address_space:  global
        .offset:         24
        .size:           8
        .value_kind:     global_buffer
      - .actual_access:  read_only
        .address_space:  global
        .offset:         32
        .size:           8
        .value_kind:     global_buffer
      - .actual_access:  read_only
        .address_space:  global
        .offset:         40
        .size:           8
        .value_kind:     global_buffer
      - .offset:         48
        .size:           4
        .value_kind:     by_value
      - .actual_access:  write_only
        .address_space:  global
        .offset:         56
        .size:           8
        .value_kind:     global_buffer
      - .actual_access:  write_only
        .address_space:  global
        .offset:         64
        .size:           8
        .value_kind:     global_buffer
      - .actual_access:  write_only
        .address_space:  global
        .offset:         72
        .size:           8
        .value_kind:     global_buffer
      - .offset:         80
        .size:           4
        .value_kind:     hidden_block_count_x
      - .offset:         84
        .size:           4
        .value_kind:     hidden_block_count_y
      - .offset:         88
        .size:           4
        .value_kind:     hidden_block_count_z
      - .offset:         92
        .size:           2
        .value_kind:     hidden_group_size_x
      - .offset:         94
        .size:           2
        .value_kind:     hidden_group_size_y
      - .offset:         96
        .size:           2
        .value_kind:     hidden_group_size_z
      - .offset:         98
        .size:           2
        .value_kind:     hidden_remainder_x
      - .offset:         100
        .size:           2
        .value_kind:     hidden_remainder_y
      - .offset:         102
        .size:           2
        .value_kind:     hidden_remainder_z
      - .offset:         120
        .size:           8
        .value_kind:     hidden_global_offset_x
      - .offset:         128
        .size:           8
        .value_kind:     hidden_global_offset_y
      - .offset:         136
        .size:           8
        .value_kind:     hidden_global_offset_z
      - .offset:         144
        .size:           2
        .value_kind:     hidden_grid_dims
    .group_segment_fixed_size: 0
    .kernarg_segment_align: 8
    .kernarg_segment_size: 336
    .language:       OpenCL C
    .language_version:
      - 2
      - 0
    .max_flat_workgroup_size: 1024
    .name:           _ZN9rocsparseL35bsr2csr_block_dim_equals_one_kernelILj1024EfllEEvT2_S1_21rocsparse_index_base_PKT0_PKT1_PKS1_S2_PS3_PS6_PS1_
    .private_segment_fixed_size: 0
    .sgpr_count:     26
    .sgpr_spill_count: 0
    .symbol:         _ZN9rocsparseL35bsr2csr_block_dim_equals_one_kernelILj1024EfllEEvT2_S1_21rocsparse_index_base_PKT0_PKT1_PKS1_S2_PS3_PS6_PS1_.kd
    .uniform_work_group_size: 1
    .uses_dynamic_stack: false
    .vgpr_count:     13
    .vgpr_spill_count: 0
    .wavefront_size: 32
    .workgroup_processor_mode: 1
  - .args:
      - .offset:         0
        .size:           4
        .value_kind:     by_value
      - .offset:         8
        .size:           8
        .value_kind:     by_value
      - .offset:         16
        .size:           8
        .value_kind:     by_value
      - .offset:         24
        .size:           4
        .value_kind:     by_value
      - .actual_access:  read_only
        .address_space:  global
        .offset:         32
        .size:           8
        .value_kind:     global_buffer
      - .actual_access:  read_only
        .address_space:  global
        .offset:         40
        .size:           8
        .value_kind:     global_buffer
      - .actual_access:  read_only
        .address_space:  global
        .offset:         48
        .size:           8
        .value_kind:     global_buffer
      - .offset:         56
        .size:           8
        .value_kind:     by_value
      - .offset:         64
        .size:           4
        .value_kind:     by_value
      - .actual_access:  write_only
        .address_space:  global
        .offset:         72
        .size:           8
        .value_kind:     global_buffer
      - .actual_access:  write_only
        .address_space:  global
        .offset:         80
        .size:           8
        .value_kind:     global_buffer
      - .actual_access:  write_only
        .address_space:  global
        .offset:         88
        .size:           8
        .value_kind:     global_buffer
    .group_segment_fixed_size: 0
    .kernarg_segment_align: 8
    .kernarg_segment_size: 96
    .language:       OpenCL C
    .language_version:
      - 2
      - 0
    .max_flat_workgroup_size: 256
    .name:           _ZN9rocsparseL32bsr2csr_block_per_row_2_7_kernelILj256ELj2EfllEEv20rocsparse_direction_T3_S2_21rocsparse_index_base_PKT1_PKT2_PKS2_S2_S3_PS4_PS7_PS2_
    .private_segment_fixed_size: 0
    .sgpr_count:     22
    .sgpr_spill_count: 0
    .symbol:         _ZN9rocsparseL32bsr2csr_block_per_row_2_7_kernelILj256ELj2EfllEEv20rocsparse_direction_T3_S2_21rocsparse_index_base_PKT1_PKT2_PKS2_S2_S3_PS4_PS7_PS2_.kd
    .uniform_work_group_size: 1
    .uses_dynamic_stack: false
    .vgpr_count:     22
    .vgpr_spill_count: 0
    .wavefront_size: 32
    .workgroup_processor_mode: 1
  - .args:
      - .offset:         0
        .size:           4
        .value_kind:     by_value
      - .offset:         8
        .size:           8
        .value_kind:     by_value
      - .offset:         16
        .size:           8
        .value_kind:     by_value
      - .offset:         24
        .size:           4
        .value_kind:     by_value
      - .actual_access:  read_only
        .address_space:  global
        .offset:         32
        .size:           8
        .value_kind:     global_buffer
      - .actual_access:  read_only
        .address_space:  global
        .offset:         40
        .size:           8
        .value_kind:     global_buffer
      - .actual_access:  read_only
        .address_space:  global
        .offset:         48
        .size:           8
        .value_kind:     global_buffer
      - .offset:         56
        .size:           8
        .value_kind:     by_value
      - .offset:         64
        .size:           4
        .value_kind:     by_value
      - .actual_access:  write_only
        .address_space:  global
        .offset:         72
        .size:           8
        .value_kind:     global_buffer
      - .actual_access:  write_only
        .address_space:  global
        .offset:         80
        .size:           8
        .value_kind:     global_buffer
      - .actual_access:  write_only
        .address_space:  global
        .offset:         88
        .size:           8
        .value_kind:     global_buffer
    .group_segment_fixed_size: 0
    .kernarg_segment_align: 8
    .kernarg_segment_size: 96
    .language:       OpenCL C
    .language_version:
      - 2
      - 0
    .max_flat_workgroup_size: 256
    .name:           _ZN9rocsparseL32bsr2csr_block_per_row_2_7_kernelILj256ELj3EfllEEv20rocsparse_direction_T3_S2_21rocsparse_index_base_PKT1_PKT2_PKS2_S2_S3_PS4_PS7_PS2_
    .private_segment_fixed_size: 0
    .sgpr_count:     21
    .sgpr_spill_count: 0
    .symbol:         _ZN9rocsparseL32bsr2csr_block_per_row_2_7_kernelILj256ELj3EfllEEv20rocsparse_direction_T3_S2_21rocsparse_index_base_PKT1_PKT2_PKS2_S2_S3_PS4_PS7_PS2_.kd
    .uniform_work_group_size: 1
    .uses_dynamic_stack: false
    .vgpr_count:     27
    .vgpr_spill_count: 0
    .wavefront_size: 32
    .workgroup_processor_mode: 1
  - .args:
      - .offset:         0
        .size:           4
        .value_kind:     by_value
      - .offset:         8
        .size:           8
        .value_kind:     by_value
      - .offset:         16
        .size:           8
        .value_kind:     by_value
      - .offset:         24
        .size:           4
        .value_kind:     by_value
      - .actual_access:  read_only
        .address_space:  global
        .offset:         32
        .size:           8
        .value_kind:     global_buffer
      - .actual_access:  read_only
        .address_space:  global
        .offset:         40
        .size:           8
        .value_kind:     global_buffer
      - .actual_access:  read_only
        .address_space:  global
        .offset:         48
        .size:           8
        .value_kind:     global_buffer
      - .offset:         56
        .size:           8
        .value_kind:     by_value
      - .offset:         64
        .size:           4
        .value_kind:     by_value
      - .actual_access:  write_only
        .address_space:  global
        .offset:         72
        .size:           8
        .value_kind:     global_buffer
      - .actual_access:  write_only
        .address_space:  global
        .offset:         80
        .size:           8
        .value_kind:     global_buffer
      - .actual_access:  write_only
        .address_space:  global
        .offset:         88
        .size:           8
        .value_kind:     global_buffer
    .group_segment_fixed_size: 0
    .kernarg_segment_align: 8
    .kernarg_segment_size: 96
    .language:       OpenCL C
    .language_version:
      - 2
      - 0
    .max_flat_workgroup_size: 256
    .name:           _ZN9rocsparseL32bsr2csr_block_per_row_2_7_kernelILj256ELj4EfllEEv20rocsparse_direction_T3_S2_21rocsparse_index_base_PKT1_PKT2_PKS2_S2_S3_PS4_PS7_PS2_
    .private_segment_fixed_size: 0
    .sgpr_count:     24
    .sgpr_spill_count: 0
    .symbol:         _ZN9rocsparseL32bsr2csr_block_per_row_2_7_kernelILj256ELj4EfllEEv20rocsparse_direction_T3_S2_21rocsparse_index_base_PKT1_PKT2_PKS2_S2_S3_PS4_PS7_PS2_.kd
    .uniform_work_group_size: 1
    .uses_dynamic_stack: false
    .vgpr_count:     30
    .vgpr_spill_count: 0
    .wavefront_size: 32
    .workgroup_processor_mode: 1
  - .args:
      - .offset:         0
        .size:           4
        .value_kind:     by_value
      - .offset:         8
        .size:           8
        .value_kind:     by_value
      - .offset:         16
        .size:           8
        .value_kind:     by_value
      - .offset:         24
        .size:           4
        .value_kind:     by_value
      - .actual_access:  read_only
        .address_space:  global
        .offset:         32
        .size:           8
        .value_kind:     global_buffer
      - .actual_access:  read_only
        .address_space:  global
        .offset:         40
        .size:           8
        .value_kind:     global_buffer
      - .actual_access:  read_only
        .address_space:  global
        .offset:         48
        .size:           8
        .value_kind:     global_buffer
      - .offset:         56
        .size:           8
        .value_kind:     by_value
      - .offset:         64
        .size:           4
        .value_kind:     by_value
      - .actual_access:  write_only
        .address_space:  global
        .offset:         72
        .size:           8
        .value_kind:     global_buffer
      - .actual_access:  write_only
        .address_space:  global
        .offset:         80
        .size:           8
        .value_kind:     global_buffer
      - .actual_access:  write_only
        .address_space:  global
        .offset:         88
        .size:           8
        .value_kind:     global_buffer
    .group_segment_fixed_size: 0
    .kernarg_segment_align: 8
    .kernarg_segment_size: 96
    .language:       OpenCL C
    .language_version:
      - 2
      - 0
    .max_flat_workgroup_size: 256
    .name:           _ZN9rocsparseL32bsr2csr_block_per_row_2_7_kernelILj256ELj5EfllEEv20rocsparse_direction_T3_S2_21rocsparse_index_base_PKT1_PKT2_PKS2_S2_S3_PS4_PS7_PS2_
    .private_segment_fixed_size: 0
    .sgpr_count:     21
    .sgpr_spill_count: 0
    .symbol:         _ZN9rocsparseL32bsr2csr_block_per_row_2_7_kernelILj256ELj5EfllEEv20rocsparse_direction_T3_S2_21rocsparse_index_base_PKT1_PKT2_PKS2_S2_S3_PS4_PS7_PS2_.kd
    .uniform_work_group_size: 1
    .uses_dynamic_stack: false
    .vgpr_count:     37
    .vgpr_spill_count: 0
    .wavefront_size: 32
    .workgroup_processor_mode: 1
  - .args:
      - .offset:         0
        .size:           4
        .value_kind:     by_value
      - .offset:         8
        .size:           8
        .value_kind:     by_value
      - .offset:         16
        .size:           8
        .value_kind:     by_value
      - .offset:         24
        .size:           4
        .value_kind:     by_value
      - .actual_access:  read_only
        .address_space:  global
        .offset:         32
        .size:           8
        .value_kind:     global_buffer
      - .actual_access:  read_only
        .address_space:  global
        .offset:         40
        .size:           8
        .value_kind:     global_buffer
      - .actual_access:  read_only
        .address_space:  global
        .offset:         48
        .size:           8
        .value_kind:     global_buffer
      - .offset:         56
        .size:           8
        .value_kind:     by_value
      - .offset:         64
        .size:           4
        .value_kind:     by_value
      - .actual_access:  write_only
        .address_space:  global
        .offset:         72
        .size:           8
        .value_kind:     global_buffer
      - .actual_access:  write_only
        .address_space:  global
        .offset:         80
        .size:           8
        .value_kind:     global_buffer
      - .actual_access:  write_only
        .address_space:  global
        .offset:         88
        .size:           8
        .value_kind:     global_buffer
    .group_segment_fixed_size: 0
    .kernarg_segment_align: 8
    .kernarg_segment_size: 96
    .language:       OpenCL C
    .language_version:
      - 2
      - 0
    .max_flat_workgroup_size: 256
    .name:           _ZN9rocsparseL32bsr2csr_block_per_row_2_7_kernelILj256ELj6EfllEEv20rocsparse_direction_T3_S2_21rocsparse_index_base_PKT1_PKT2_PKS2_S2_S3_PS4_PS7_PS2_
    .private_segment_fixed_size: 0
    .sgpr_count:     21
    .sgpr_spill_count: 0
    .symbol:         _ZN9rocsparseL32bsr2csr_block_per_row_2_7_kernelILj256ELj6EfllEEv20rocsparse_direction_T3_S2_21rocsparse_index_base_PKT1_PKT2_PKS2_S2_S3_PS4_PS7_PS2_.kd
    .uniform_work_group_size: 1
    .uses_dynamic_stack: false
    .vgpr_count:     37
    .vgpr_spill_count: 0
    .wavefront_size: 32
    .workgroup_processor_mode: 1
  - .args:
      - .offset:         0
        .size:           4
        .value_kind:     by_value
      - .offset:         8
        .size:           8
        .value_kind:     by_value
      - .offset:         16
        .size:           8
        .value_kind:     by_value
      - .offset:         24
        .size:           4
        .value_kind:     by_value
      - .actual_access:  read_only
        .address_space:  global
        .offset:         32
        .size:           8
        .value_kind:     global_buffer
      - .actual_access:  read_only
        .address_space:  global
        .offset:         40
        .size:           8
        .value_kind:     global_buffer
      - .actual_access:  read_only
        .address_space:  global
        .offset:         48
        .size:           8
        .value_kind:     global_buffer
      - .offset:         56
        .size:           8
        .value_kind:     by_value
      - .offset:         64
        .size:           4
        .value_kind:     by_value
      - .actual_access:  write_only
        .address_space:  global
        .offset:         72
        .size:           8
        .value_kind:     global_buffer
      - .actual_access:  write_only
        .address_space:  global
        .offset:         80
        .size:           8
        .value_kind:     global_buffer
      - .actual_access:  write_only
        .address_space:  global
        .offset:         88
        .size:           8
        .value_kind:     global_buffer
    .group_segment_fixed_size: 0
    .kernarg_segment_align: 8
    .kernarg_segment_size: 96
    .language:       OpenCL C
    .language_version:
      - 2
      - 0
    .max_flat_workgroup_size: 256
    .name:           _ZN9rocsparseL32bsr2csr_block_per_row_2_7_kernelILj256ELj7EfllEEv20rocsparse_direction_T3_S2_21rocsparse_index_base_PKT1_PKT2_PKS2_S2_S3_PS4_PS7_PS2_
    .private_segment_fixed_size: 0
    .sgpr_count:     21
    .sgpr_spill_count: 0
    .symbol:         _ZN9rocsparseL32bsr2csr_block_per_row_2_7_kernelILj256ELj7EfllEEv20rocsparse_direction_T3_S2_21rocsparse_index_base_PKT1_PKT2_PKS2_S2_S3_PS4_PS7_PS2_.kd
    .uniform_work_group_size: 1
    .uses_dynamic_stack: false
    .vgpr_count:     41
    .vgpr_spill_count: 0
    .wavefront_size: 32
    .workgroup_processor_mode: 1
  - .args:
      - .offset:         0
        .size:           4
        .value_kind:     by_value
      - .offset:         8
        .size:           8
        .value_kind:     by_value
      - .offset:         16
        .size:           8
        .value_kind:     by_value
      - .offset:         24
        .size:           4
        .value_kind:     by_value
      - .actual_access:  read_only
        .address_space:  global
        .offset:         32
        .size:           8
        .value_kind:     global_buffer
      - .actual_access:  read_only
        .address_space:  global
        .offset:         40
        .size:           8
        .value_kind:     global_buffer
      - .actual_access:  read_only
        .address_space:  global
        .offset:         48
        .size:           8
        .value_kind:     global_buffer
      - .offset:         56
        .size:           8
        .value_kind:     by_value
      - .offset:         64
        .size:           4
        .value_kind:     by_value
      - .actual_access:  write_only
        .address_space:  global
        .offset:         72
        .size:           8
        .value_kind:     global_buffer
      - .actual_access:  write_only
        .address_space:  global
        .offset:         80
        .size:           8
        .value_kind:     global_buffer
      - .actual_access:  write_only
        .address_space:  global
        .offset:         88
        .size:           8
        .value_kind:     global_buffer
    .group_segment_fixed_size: 0
    .kernarg_segment_align: 8
    .kernarg_segment_size: 96
    .language:       OpenCL C
    .language_version:
      - 2
      - 0
    .max_flat_workgroup_size: 1024
    .name:           _ZN9rocsparseL33bsr2csr_block_per_row_8_32_kernelILj1024ELj8EfllEEv20rocsparse_direction_T3_S2_21rocsparse_index_base_PKT1_PKT2_PKS2_S2_S3_PS4_PS7_PS2_
    .private_segment_fixed_size: 0
    .sgpr_count:     25
    .sgpr_spill_count: 0
    .symbol:         _ZN9rocsparseL33bsr2csr_block_per_row_8_32_kernelILj1024ELj8EfllEEv20rocsparse_direction_T3_S2_21rocsparse_index_base_PKT1_PKT2_PKS2_S2_S3_PS4_PS7_PS2_.kd
    .uniform_work_group_size: 1
    .uses_dynamic_stack: false
    .vgpr_count:     17
    .vgpr_spill_count: 0
    .wavefront_size: 32
    .workgroup_processor_mode: 1
  - .args:
      - .offset:         0
        .size:           4
        .value_kind:     by_value
      - .offset:         8
        .size:           8
        .value_kind:     by_value
      - .offset:         16
        .size:           8
        .value_kind:     by_value
      - .offset:         24
        .size:           4
        .value_kind:     by_value
      - .actual_access:  read_only
        .address_space:  global
        .offset:         32
        .size:           8
        .value_kind:     global_buffer
      - .actual_access:  read_only
        .address_space:  global
        .offset:         40
        .size:           8
        .value_kind:     global_buffer
      - .actual_access:  read_only
        .address_space:  global
        .offset:         48
        .size:           8
        .value_kind:     global_buffer
      - .offset:         56
        .size:           8
        .value_kind:     by_value
      - .offset:         64
        .size:           4
        .value_kind:     by_value
      - .actual_access:  write_only
        .address_space:  global
        .offset:         72
        .size:           8
        .value_kind:     global_buffer
      - .actual_access:  write_only
        .address_space:  global
        .offset:         80
        .size:           8
        .value_kind:     global_buffer
      - .actual_access:  write_only
        .address_space:  global
        .offset:         88
        .size:           8
        .value_kind:     global_buffer
    .group_segment_fixed_size: 0
    .kernarg_segment_align: 8
    .kernarg_segment_size: 96
    .language:       OpenCL C
    .language_version:
      - 2
      - 0
    .max_flat_workgroup_size: 1024
    .name:           _ZN9rocsparseL33bsr2csr_block_per_row_8_32_kernelILj1024ELj16EfllEEv20rocsparse_direction_T3_S2_21rocsparse_index_base_PKT1_PKT2_PKS2_S2_S3_PS4_PS7_PS2_
    .private_segment_fixed_size: 0
    .sgpr_count:     25
    .sgpr_spill_count: 0
    .symbol:         _ZN9rocsparseL33bsr2csr_block_per_row_8_32_kernelILj1024ELj16EfllEEv20rocsparse_direction_T3_S2_21rocsparse_index_base_PKT1_PKT2_PKS2_S2_S3_PS4_PS7_PS2_.kd
    .uniform_work_group_size: 1
    .uses_dynamic_stack: false
    .vgpr_count:     17
    .vgpr_spill_count: 0
    .wavefront_size: 32
    .workgroup_processor_mode: 1
  - .args:
      - .offset:         0
        .size:           4
        .value_kind:     by_value
      - .offset:         8
        .size:           8
        .value_kind:     by_value
      - .offset:         16
        .size:           8
        .value_kind:     by_value
      - .offset:         24
        .size:           4
        .value_kind:     by_value
      - .actual_access:  read_only
        .address_space:  global
        .offset:         32
        .size:           8
        .value_kind:     global_buffer
      - .actual_access:  read_only
        .address_space:  global
        .offset:         40
        .size:           8
        .value_kind:     global_buffer
      - .actual_access:  read_only
        .address_space:  global
        .offset:         48
        .size:           8
        .value_kind:     global_buffer
      - .offset:         56
        .size:           8
        .value_kind:     by_value
      - .offset:         64
        .size:           4
        .value_kind:     by_value
      - .actual_access:  write_only
        .address_space:  global
        .offset:         72
        .size:           8
        .value_kind:     global_buffer
      - .actual_access:  write_only
        .address_space:  global
        .offset:         80
        .size:           8
        .value_kind:     global_buffer
      - .actual_access:  write_only
        .address_space:  global
        .offset:         88
        .size:           8
        .value_kind:     global_buffer
    .group_segment_fixed_size: 0
    .kernarg_segment_align: 8
    .kernarg_segment_size: 96
    .language:       OpenCL C
    .language_version:
      - 2
      - 0
    .max_flat_workgroup_size: 1024
    .name:           _ZN9rocsparseL33bsr2csr_block_per_row_8_32_kernelILj1024ELj32EfllEEv20rocsparse_direction_T3_S2_21rocsparse_index_base_PKT1_PKT2_PKS2_S2_S3_PS4_PS7_PS2_
    .private_segment_fixed_size: 0
    .sgpr_count:     29
    .sgpr_spill_count: 0
    .symbol:         _ZN9rocsparseL33bsr2csr_block_per_row_8_32_kernelILj1024ELj32EfllEEv20rocsparse_direction_T3_S2_21rocsparse_index_base_PKT1_PKT2_PKS2_S2_S3_PS4_PS7_PS2_.kd
    .uniform_work_group_size: 1
    .uses_dynamic_stack: false
    .vgpr_count:     12
    .vgpr_spill_count: 0
    .wavefront_size: 32
    .workgroup_processor_mode: 1
  - .args:
      - .offset:         0
        .size:           4
        .value_kind:     by_value
      - .offset:         8
        .size:           8
        .value_kind:     by_value
      - .offset:         16
        .size:           8
        .value_kind:     by_value
      - .offset:         24
        .size:           4
        .value_kind:     by_value
      - .actual_access:  read_only
        .address_space:  global
        .offset:         32
        .size:           8
        .value_kind:     global_buffer
      - .actual_access:  read_only
        .address_space:  global
        .offset:         40
        .size:           8
        .value_kind:     global_buffer
      - .actual_access:  read_only
        .address_space:  global
        .offset:         48
        .size:           8
        .value_kind:     global_buffer
      - .offset:         56
        .size:           8
        .value_kind:     by_value
      - .offset:         64
        .size:           4
        .value_kind:     by_value
      - .actual_access:  write_only
        .address_space:  global
        .offset:         72
        .size:           8
        .value_kind:     global_buffer
      - .actual_access:  write_only
        .address_space:  global
        .offset:         80
        .size:           8
        .value_kind:     global_buffer
      - .actual_access:  write_only
        .address_space:  global
        .offset:         88
        .size:           8
        .value_kind:     global_buffer
    .group_segment_fixed_size: 0
    .kernarg_segment_align: 8
    .kernarg_segment_size: 96
    .language:       OpenCL C
    .language_version:
      - 2
      - 0
    .max_flat_workgroup_size: 1024
    .name:           _ZN9rocsparseL35bsr2csr_block_per_row_33_256_kernelILj1024ELj64ELj32EfllEEv20rocsparse_direction_T4_S2_21rocsparse_index_base_PKT2_PKT3_PKS2_S2_S3_PS4_PS7_PS2_
    .private_segment_fixed_size: 0
    .sgpr_count:     38
    .sgpr_spill_count: 0
    .symbol:         _ZN9rocsparseL35bsr2csr_block_per_row_33_256_kernelILj1024ELj64ELj32EfllEEv20rocsparse_direction_T4_S2_21rocsparse_index_base_PKT2_PKT3_PKS2_S2_S3_PS4_PS7_PS2_.kd
    .uniform_work_group_size: 1
    .uses_dynamic_stack: false
    .vgpr_count:     29
    .vgpr_spill_count: 0
    .wavefront_size: 32
    .workgroup_processor_mode: 1
  - .args:
      - .offset:         0
        .size:           4
        .value_kind:     by_value
      - .offset:         8
        .size:           8
        .value_kind:     by_value
      - .offset:         16
        .size:           8
        .value_kind:     by_value
      - .offset:         24
        .size:           4
        .value_kind:     by_value
      - .actual_access:  read_only
        .address_space:  global
        .offset:         32
        .size:           8
        .value_kind:     global_buffer
      - .actual_access:  read_only
        .address_space:  global
        .offset:         40
        .size:           8
        .value_kind:     global_buffer
      - .actual_access:  read_only
        .address_space:  global
        .offset:         48
        .size:           8
        .value_kind:     global_buffer
      - .offset:         56
        .size:           8
        .value_kind:     by_value
      - .offset:         64
        .size:           4
        .value_kind:     by_value
      - .actual_access:  write_only
        .address_space:  global
        .offset:         72
        .size:           8
        .value_kind:     global_buffer
      - .actual_access:  write_only
        .address_space:  global
        .offset:         80
        .size:           8
        .value_kind:     global_buffer
      - .actual_access:  write_only
        .address_space:  global
        .offset:         88
        .size:           8
        .value_kind:     global_buffer
    .group_segment_fixed_size: 0
    .kernarg_segment_align: 8
    .kernarg_segment_size: 96
    .language:       OpenCL C
    .language_version:
      - 2
      - 0
    .max_flat_workgroup_size: 1024
    .name:           _ZN9rocsparseL35bsr2csr_block_per_row_33_256_kernelILj1024ELj128ELj32EfllEEv20rocsparse_direction_T4_S2_21rocsparse_index_base_PKT2_PKT3_PKS2_S2_S3_PS4_PS7_PS2_
    .private_segment_fixed_size: 0
    .sgpr_count:     53
    .sgpr_spill_count: 0
    .symbol:         _ZN9rocsparseL35bsr2csr_block_per_row_33_256_kernelILj1024ELj128ELj32EfllEEv20rocsparse_direction_T4_S2_21rocsparse_index_base_PKT2_PKT3_PKS2_S2_S3_PS4_PS7_PS2_.kd
    .uniform_work_group_size: 1
    .uses_dynamic_stack: false
    .vgpr_count:     45
    .vgpr_spill_count: 0
    .wavefront_size: 32
    .workgroup_processor_mode: 1
  - .args:
      - .offset:         0
        .size:           4
        .value_kind:     by_value
      - .offset:         8
        .size:           8
        .value_kind:     by_value
      - .offset:         16
        .size:           8
        .value_kind:     by_value
      - .offset:         24
        .size:           4
        .value_kind:     by_value
      - .actual_access:  read_only
        .address_space:  global
        .offset:         32
        .size:           8
        .value_kind:     global_buffer
      - .actual_access:  read_only
        .address_space:  global
        .offset:         40
        .size:           8
        .value_kind:     global_buffer
      - .actual_access:  read_only
        .address_space:  global
        .offset:         48
        .size:           8
        .value_kind:     global_buffer
      - .offset:         56
        .size:           8
        .value_kind:     by_value
      - .offset:         64
        .size:           4
        .value_kind:     by_value
      - .actual_access:  write_only
        .address_space:  global
        .offset:         72
        .size:           8
        .value_kind:     global_buffer
      - .actual_access:  write_only
        .address_space:  global
        .offset:         80
        .size:           8
        .value_kind:     global_buffer
      - .actual_access:  write_only
        .address_space:  global
        .offset:         88
        .size:           8
        .value_kind:     global_buffer
    .group_segment_fixed_size: 0
    .kernarg_segment_align: 8
    .kernarg_segment_size: 96
    .language:       OpenCL C
    .language_version:
      - 2
      - 0
    .max_flat_workgroup_size: 1024
    .name:           _ZN9rocsparseL35bsr2csr_block_per_row_33_256_kernelILj1024ELj256ELj32EfllEEv20rocsparse_direction_T4_S2_21rocsparse_index_base_PKT2_PKT3_PKS2_S2_S3_PS4_PS7_PS2_
    .private_segment_fixed_size: 0
    .sgpr_count:     102
    .sgpr_spill_count: 0
    .symbol:         _ZN9rocsparseL35bsr2csr_block_per_row_33_256_kernelILj1024ELj256ELj32EfllEEv20rocsparse_direction_T4_S2_21rocsparse_index_base_PKT2_PKT3_PKS2_S2_S3_PS4_PS7_PS2_.kd
    .uniform_work_group_size: 1
    .uses_dynamic_stack: false
    .vgpr_count:     71
    .vgpr_spill_count: 0
    .wavefront_size: 32
    .workgroup_processor_mode: 1
  - .args:
      - .offset:         0
        .size:           4
        .value_kind:     by_value
      - .offset:         4
        .size:           4
        .value_kind:     by_value
      - .offset:         8
        .size:           4
        .value_kind:     by_value
      - .actual_access:  read_only
        .address_space:  global
        .offset:         16
        .size:           8
        .value_kind:     global_buffer
      - .actual_access:  read_only
        .address_space:  global
        .offset:         24
        .size:           8
        .value_kind:     global_buffer
      - .actual_access:  read_only
        .address_space:  global
        .offset:         32
        .size:           8
        .value_kind:     global_buffer
      - .offset:         40
        .size:           4
        .value_kind:     by_value
      - .actual_access:  write_only
        .address_space:  global
        .offset:         48
        .size:           8
        .value_kind:     global_buffer
      - .actual_access:  write_only
        .address_space:  global
        .offset:         56
        .size:           8
        .value_kind:     global_buffer
      - .actual_access:  write_only
        .address_space:  global
        .offset:         64
        .size:           8
        .value_kind:     global_buffer
      - .offset:         72
        .size:           4
        .value_kind:     hidden_block_count_x
      - .offset:         76
        .size:           4
        .value_kind:     hidden_block_count_y
      - .offset:         80
        .size:           4
        .value_kind:     hidden_block_count_z
      - .offset:         84
        .size:           2
        .value_kind:     hidden_group_size_x
      - .offset:         86
        .size:           2
        .value_kind:     hidden_group_size_y
      - .offset:         88
        .size:           2
        .value_kind:     hidden_group_size_z
      - .offset:         90
        .size:           2
        .value_kind:     hidden_remainder_x
      - .offset:         92
        .size:           2
        .value_kind:     hidden_remainder_y
      - .offset:         94
        .size:           2
        .value_kind:     hidden_remainder_z
      - .offset:         112
        .size:           8
        .value_kind:     hidden_global_offset_x
      - .offset:         120
        .size:           8
        .value_kind:     hidden_global_offset_y
      - .offset:         128
        .size:           8
        .value_kind:     hidden_global_offset_z
      - .offset:         136
        .size:           2
        .value_kind:     hidden_grid_dims
    .group_segment_fixed_size: 0
    .kernarg_segment_align: 8
    .kernarg_segment_size: 328
    .language:       OpenCL C
    .language_version:
      - 2
      - 0
    .max_flat_workgroup_size: 1024
    .name:           _ZN9rocsparseL35bsr2csr_block_dim_equals_one_kernelILj1024E21rocsparse_complex_numIfEiiEEvT2_S3_21rocsparse_index_base_PKT0_PKT1_PKS3_S4_PS5_PS8_PS3_
    .private_segment_fixed_size: 0
    .sgpr_count:     23
    .sgpr_spill_count: 0
    .symbol:         _ZN9rocsparseL35bsr2csr_block_dim_equals_one_kernelILj1024E21rocsparse_complex_numIfEiiEEvT2_S3_21rocsparse_index_base_PKT0_PKT1_PKS3_S4_PS5_PS8_PS3_.kd
    .uniform_work_group_size: 1
    .uses_dynamic_stack: false
    .vgpr_count:     9
    .vgpr_spill_count: 0
    .wavefront_size: 32
    .workgroup_processor_mode: 1
  - .args:
      - .offset:         0
        .size:           4
        .value_kind:     by_value
      - .offset:         4
        .size:           4
        .value_kind:     by_value
      - .offset:         8
        .size:           4
        .value_kind:     by_value
      - .offset:         12
        .size:           4
        .value_kind:     by_value
      - .actual_access:  read_only
        .address_space:  global
        .offset:         16
        .size:           8
        .value_kind:     global_buffer
      - .actual_access:  read_only
        .address_space:  global
        .offset:         24
        .size:           8
        .value_kind:     global_buffer
      - .actual_access:  read_only
        .address_space:  global
        .offset:         32
        .size:           8
        .value_kind:     global_buffer
      - .offset:         40
        .size:           4
        .value_kind:     by_value
      - .offset:         44
        .size:           4
        .value_kind:     by_value
      - .actual_access:  write_only
        .address_space:  global
        .offset:         48
        .size:           8
        .value_kind:     global_buffer
      - .actual_access:  write_only
        .address_space:  global
        .offset:         56
        .size:           8
        .value_kind:     global_buffer
      - .actual_access:  write_only
        .address_space:  global
        .offset:         64
        .size:           8
        .value_kind:     global_buffer
    .group_segment_fixed_size: 0
    .kernarg_segment_align: 8
    .kernarg_segment_size: 72
    .language:       OpenCL C
    .language_version:
      - 2
      - 0
    .max_flat_workgroup_size: 256
    .name:           _ZN9rocsparseL32bsr2csr_block_per_row_2_7_kernelILj256ELj2E21rocsparse_complex_numIfEiiEEv20rocsparse_direction_T3_S4_21rocsparse_index_base_PKT1_PKT2_PKS4_S4_S5_PS6_PS9_PS4_
    .private_segment_fixed_size: 0
    .sgpr_count:     16
    .sgpr_spill_count: 0
    .symbol:         _ZN9rocsparseL32bsr2csr_block_per_row_2_7_kernelILj256ELj2E21rocsparse_complex_numIfEiiEEv20rocsparse_direction_T3_S4_21rocsparse_index_base_PKT1_PKT2_PKS4_S4_S5_PS6_PS9_PS4_.kd
    .uniform_work_group_size: 1
    .uses_dynamic_stack: false
    .vgpr_count:     17
    .vgpr_spill_count: 0
    .wavefront_size: 32
    .workgroup_processor_mode: 1
  - .args:
      - .offset:         0
        .size:           4
        .value_kind:     by_value
      - .offset:         4
        .size:           4
        .value_kind:     by_value
      - .offset:         8
        .size:           4
        .value_kind:     by_value
      - .offset:         12
        .size:           4
        .value_kind:     by_value
      - .actual_access:  read_only
        .address_space:  global
        .offset:         16
        .size:           8
        .value_kind:     global_buffer
      - .actual_access:  read_only
        .address_space:  global
        .offset:         24
        .size:           8
        .value_kind:     global_buffer
      - .actual_access:  read_only
        .address_space:  global
        .offset:         32
        .size:           8
        .value_kind:     global_buffer
      - .offset:         40
        .size:           4
        .value_kind:     by_value
      - .offset:         44
        .size:           4
        .value_kind:     by_value
      - .actual_access:  write_only
        .address_space:  global
        .offset:         48
        .size:           8
        .value_kind:     global_buffer
      - .actual_access:  write_only
        .address_space:  global
        .offset:         56
        .size:           8
        .value_kind:     global_buffer
      - .actual_access:  write_only
        .address_space:  global
        .offset:         64
        .size:           8
        .value_kind:     global_buffer
    .group_segment_fixed_size: 0
    .kernarg_segment_align: 8
    .kernarg_segment_size: 72
    .language:       OpenCL C
    .language_version:
      - 2
      - 0
    .max_flat_workgroup_size: 256
    .name:           _ZN9rocsparseL32bsr2csr_block_per_row_2_7_kernelILj256ELj3E21rocsparse_complex_numIfEiiEEv20rocsparse_direction_T3_S4_21rocsparse_index_base_PKT1_PKT2_PKS4_S4_S5_PS6_PS9_PS4_
    .private_segment_fixed_size: 0
    .sgpr_count:     17
    .sgpr_spill_count: 0
    .symbol:         _ZN9rocsparseL32bsr2csr_block_per_row_2_7_kernelILj256ELj3E21rocsparse_complex_numIfEiiEEv20rocsparse_direction_T3_S4_21rocsparse_index_base_PKT1_PKT2_PKS4_S4_S5_PS6_PS9_PS4_.kd
    .uniform_work_group_size: 1
    .uses_dynamic_stack: false
    .vgpr_count:     20
    .vgpr_spill_count: 0
    .wavefront_size: 32
    .workgroup_processor_mode: 1
  - .args:
      - .offset:         0
        .size:           4
        .value_kind:     by_value
      - .offset:         4
        .size:           4
        .value_kind:     by_value
      - .offset:         8
        .size:           4
        .value_kind:     by_value
      - .offset:         12
        .size:           4
        .value_kind:     by_value
      - .actual_access:  read_only
        .address_space:  global
        .offset:         16
        .size:           8
        .value_kind:     global_buffer
      - .actual_access:  read_only
        .address_space:  global
        .offset:         24
        .size:           8
        .value_kind:     global_buffer
      - .actual_access:  read_only
        .address_space:  global
        .offset:         32
        .size:           8
        .value_kind:     global_buffer
      - .offset:         40
        .size:           4
        .value_kind:     by_value
      - .offset:         44
        .size:           4
        .value_kind:     by_value
      - .actual_access:  write_only
        .address_space:  global
        .offset:         48
        .size:           8
        .value_kind:     global_buffer
      - .actual_access:  write_only
        .address_space:  global
        .offset:         56
        .size:           8
        .value_kind:     global_buffer
      - .actual_access:  write_only
        .address_space:  global
        .offset:         64
        .size:           8
        .value_kind:     global_buffer
    .group_segment_fixed_size: 0
    .kernarg_segment_align: 8
    .kernarg_segment_size: 72
    .language:       OpenCL C
    .language_version:
      - 2
      - 0
    .max_flat_workgroup_size: 256
    .name:           _ZN9rocsparseL32bsr2csr_block_per_row_2_7_kernelILj256ELj4E21rocsparse_complex_numIfEiiEEv20rocsparse_direction_T3_S4_21rocsparse_index_base_PKT1_PKT2_PKS4_S4_S5_PS6_PS9_PS4_
    .private_segment_fixed_size: 0
    .sgpr_count:     16
    .sgpr_spill_count: 0
    .symbol:         _ZN9rocsparseL32bsr2csr_block_per_row_2_7_kernelILj256ELj4E21rocsparse_complex_numIfEiiEEv20rocsparse_direction_T3_S4_21rocsparse_index_base_PKT1_PKT2_PKS4_S4_S5_PS6_PS9_PS4_.kd
    .uniform_work_group_size: 1
    .uses_dynamic_stack: false
    .vgpr_count:     24
    .vgpr_spill_count: 0
    .wavefront_size: 32
    .workgroup_processor_mode: 1
  - .args:
      - .offset:         0
        .size:           4
        .value_kind:     by_value
      - .offset:         4
        .size:           4
        .value_kind:     by_value
      - .offset:         8
        .size:           4
        .value_kind:     by_value
      - .offset:         12
        .size:           4
        .value_kind:     by_value
      - .actual_access:  read_only
        .address_space:  global
        .offset:         16
        .size:           8
        .value_kind:     global_buffer
      - .actual_access:  read_only
        .address_space:  global
        .offset:         24
        .size:           8
        .value_kind:     global_buffer
      - .actual_access:  read_only
        .address_space:  global
        .offset:         32
        .size:           8
        .value_kind:     global_buffer
      - .offset:         40
        .size:           4
        .value_kind:     by_value
      - .offset:         44
        .size:           4
        .value_kind:     by_value
      - .actual_access:  write_only
        .address_space:  global
        .offset:         48
        .size:           8
        .value_kind:     global_buffer
      - .actual_access:  write_only
        .address_space:  global
        .offset:         56
        .size:           8
        .value_kind:     global_buffer
      - .actual_access:  write_only
        .address_space:  global
        .offset:         64
        .size:           8
        .value_kind:     global_buffer
    .group_segment_fixed_size: 0
    .kernarg_segment_align: 8
    .kernarg_segment_size: 72
    .language:       OpenCL C
    .language_version:
      - 2
      - 0
    .max_flat_workgroup_size: 256
    .name:           _ZN9rocsparseL32bsr2csr_block_per_row_2_7_kernelILj256ELj5E21rocsparse_complex_numIfEiiEEv20rocsparse_direction_T3_S4_21rocsparse_index_base_PKT1_PKT2_PKS4_S4_S5_PS6_PS9_PS4_
    .private_segment_fixed_size: 0
    .sgpr_count:     17
    .sgpr_spill_count: 0
    .symbol:         _ZN9rocsparseL32bsr2csr_block_per_row_2_7_kernelILj256ELj5E21rocsparse_complex_numIfEiiEEv20rocsparse_direction_T3_S4_21rocsparse_index_base_PKT1_PKT2_PKS4_S4_S5_PS6_PS9_PS4_.kd
    .uniform_work_group_size: 1
    .uses_dynamic_stack: false
    .vgpr_count:     25
    .vgpr_spill_count: 0
    .wavefront_size: 32
    .workgroup_processor_mode: 1
  - .args:
      - .offset:         0
        .size:           4
        .value_kind:     by_value
      - .offset:         4
        .size:           4
        .value_kind:     by_value
      - .offset:         8
        .size:           4
        .value_kind:     by_value
      - .offset:         12
        .size:           4
        .value_kind:     by_value
      - .actual_access:  read_only
        .address_space:  global
        .offset:         16
        .size:           8
        .value_kind:     global_buffer
      - .actual_access:  read_only
        .address_space:  global
        .offset:         24
        .size:           8
        .value_kind:     global_buffer
      - .actual_access:  read_only
        .address_space:  global
        .offset:         32
        .size:           8
        .value_kind:     global_buffer
      - .offset:         40
        .size:           4
        .value_kind:     by_value
      - .offset:         44
        .size:           4
        .value_kind:     by_value
      - .actual_access:  write_only
        .address_space:  global
        .offset:         48
        .size:           8
        .value_kind:     global_buffer
      - .actual_access:  write_only
        .address_space:  global
        .offset:         56
        .size:           8
        .value_kind:     global_buffer
      - .actual_access:  write_only
        .address_space:  global
        .offset:         64
        .size:           8
        .value_kind:     global_buffer
    .group_segment_fixed_size: 0
    .kernarg_segment_align: 8
    .kernarg_segment_size: 72
    .language:       OpenCL C
    .language_version:
      - 2
      - 0
    .max_flat_workgroup_size: 256
    .name:           _ZN9rocsparseL32bsr2csr_block_per_row_2_7_kernelILj256ELj6E21rocsparse_complex_numIfEiiEEv20rocsparse_direction_T3_S4_21rocsparse_index_base_PKT1_PKT2_PKS4_S4_S5_PS6_PS9_PS4_
    .private_segment_fixed_size: 0
    .sgpr_count:     16
    .sgpr_spill_count: 0
    .symbol:         _ZN9rocsparseL32bsr2csr_block_per_row_2_7_kernelILj256ELj6E21rocsparse_complex_numIfEiiEEv20rocsparse_direction_T3_S4_21rocsparse_index_base_PKT1_PKT2_PKS4_S4_S5_PS6_PS9_PS4_.kd
    .uniform_work_group_size: 1
    .uses_dynamic_stack: false
    .vgpr_count:     29
    .vgpr_spill_count: 0
    .wavefront_size: 32
    .workgroup_processor_mode: 1
  - .args:
      - .offset:         0
        .size:           4
        .value_kind:     by_value
      - .offset:         4
        .size:           4
        .value_kind:     by_value
      - .offset:         8
        .size:           4
        .value_kind:     by_value
      - .offset:         12
        .size:           4
        .value_kind:     by_value
      - .actual_access:  read_only
        .address_space:  global
        .offset:         16
        .size:           8
        .value_kind:     global_buffer
      - .actual_access:  read_only
        .address_space:  global
        .offset:         24
        .size:           8
        .value_kind:     global_buffer
      - .actual_access:  read_only
        .address_space:  global
        .offset:         32
        .size:           8
        .value_kind:     global_buffer
      - .offset:         40
        .size:           4
        .value_kind:     by_value
      - .offset:         44
        .size:           4
        .value_kind:     by_value
      - .actual_access:  write_only
        .address_space:  global
        .offset:         48
        .size:           8
        .value_kind:     global_buffer
      - .actual_access:  write_only
        .address_space:  global
        .offset:         56
        .size:           8
        .value_kind:     global_buffer
      - .actual_access:  write_only
        .address_space:  global
        .offset:         64
        .size:           8
        .value_kind:     global_buffer
    .group_segment_fixed_size: 0
    .kernarg_segment_align: 8
    .kernarg_segment_size: 72
    .language:       OpenCL C
    .language_version:
      - 2
      - 0
    .max_flat_workgroup_size: 256
    .name:           _ZN9rocsparseL32bsr2csr_block_per_row_2_7_kernelILj256ELj7E21rocsparse_complex_numIfEiiEEv20rocsparse_direction_T3_S4_21rocsparse_index_base_PKT1_PKT2_PKS4_S4_S5_PS6_PS9_PS4_
    .private_segment_fixed_size: 0
    .sgpr_count:     16
    .sgpr_spill_count: 0
    .symbol:         _ZN9rocsparseL32bsr2csr_block_per_row_2_7_kernelILj256ELj7E21rocsparse_complex_numIfEiiEEv20rocsparse_direction_T3_S4_21rocsparse_index_base_PKT1_PKT2_PKS4_S4_S5_PS6_PS9_PS4_.kd
    .uniform_work_group_size: 1
    .uses_dynamic_stack: false
    .vgpr_count:     30
    .vgpr_spill_count: 0
    .wavefront_size: 32
    .workgroup_processor_mode: 1
  - .args:
      - .offset:         0
        .size:           4
        .value_kind:     by_value
      - .offset:         4
        .size:           4
        .value_kind:     by_value
      - .offset:         8
        .size:           4
        .value_kind:     by_value
      - .offset:         12
        .size:           4
        .value_kind:     by_value
      - .actual_access:  read_only
        .address_space:  global
        .offset:         16
        .size:           8
        .value_kind:     global_buffer
      - .actual_access:  read_only
        .address_space:  global
        .offset:         24
        .size:           8
        .value_kind:     global_buffer
      - .actual_access:  read_only
        .address_space:  global
        .offset:         32
        .size:           8
        .value_kind:     global_buffer
      - .offset:         40
        .size:           4
        .value_kind:     by_value
      - .offset:         44
        .size:           4
        .value_kind:     by_value
      - .actual_access:  write_only
        .address_space:  global
        .offset:         48
        .size:           8
        .value_kind:     global_buffer
      - .actual_access:  write_only
        .address_space:  global
        .offset:         56
        .size:           8
        .value_kind:     global_buffer
      - .actual_access:  write_only
        .address_space:  global
        .offset:         64
        .size:           8
        .value_kind:     global_buffer
    .group_segment_fixed_size: 0
    .kernarg_segment_align: 8
    .kernarg_segment_size: 72
    .language:       OpenCL C
    .language_version:
      - 2
      - 0
    .max_flat_workgroup_size: 1024
    .name:           _ZN9rocsparseL33bsr2csr_block_per_row_8_32_kernelILj1024ELj8E21rocsparse_complex_numIfEiiEEv20rocsparse_direction_T3_S4_21rocsparse_index_base_PKT1_PKT2_PKS4_S4_S5_PS6_PS9_PS4_
    .private_segment_fixed_size: 0
    .sgpr_count:     19
    .sgpr_spill_count: 0
    .symbol:         _ZN9rocsparseL33bsr2csr_block_per_row_8_32_kernelILj1024ELj8E21rocsparse_complex_numIfEiiEEv20rocsparse_direction_T3_S4_21rocsparse_index_base_PKT1_PKT2_PKS4_S4_S5_PS6_PS9_PS4_.kd
    .uniform_work_group_size: 1
    .uses_dynamic_stack: false
    .vgpr_count:     15
    .vgpr_spill_count: 0
    .wavefront_size: 32
    .workgroup_processor_mode: 1
  - .args:
      - .offset:         0
        .size:           4
        .value_kind:     by_value
      - .offset:         4
        .size:           4
        .value_kind:     by_value
      - .offset:         8
        .size:           4
        .value_kind:     by_value
      - .offset:         12
        .size:           4
        .value_kind:     by_value
      - .actual_access:  read_only
        .address_space:  global
        .offset:         16
        .size:           8
        .value_kind:     global_buffer
      - .actual_access:  read_only
        .address_space:  global
        .offset:         24
        .size:           8
        .value_kind:     global_buffer
      - .actual_access:  read_only
        .address_space:  global
        .offset:         32
        .size:           8
        .value_kind:     global_buffer
      - .offset:         40
        .size:           4
        .value_kind:     by_value
      - .offset:         44
        .size:           4
        .value_kind:     by_value
      - .actual_access:  write_only
        .address_space:  global
        .offset:         48
        .size:           8
        .value_kind:     global_buffer
      - .actual_access:  write_only
        .address_space:  global
        .offset:         56
        .size:           8
        .value_kind:     global_buffer
      - .actual_access:  write_only
        .address_space:  global
        .offset:         64
        .size:           8
        .value_kind:     global_buffer
    .group_segment_fixed_size: 0
    .kernarg_segment_align: 8
    .kernarg_segment_size: 72
    .language:       OpenCL C
    .language_version:
      - 2
      - 0
    .max_flat_workgroup_size: 1024
    .name:           _ZN9rocsparseL33bsr2csr_block_per_row_8_32_kernelILj1024ELj16E21rocsparse_complex_numIfEiiEEv20rocsparse_direction_T3_S4_21rocsparse_index_base_PKT1_PKT2_PKS4_S4_S5_PS6_PS9_PS4_
    .private_segment_fixed_size: 0
    .sgpr_count:     19
    .sgpr_spill_count: 0
    .symbol:         _ZN9rocsparseL33bsr2csr_block_per_row_8_32_kernelILj1024ELj16E21rocsparse_complex_numIfEiiEEv20rocsparse_direction_T3_S4_21rocsparse_index_base_PKT1_PKT2_PKS4_S4_S5_PS6_PS9_PS4_.kd
    .uniform_work_group_size: 1
    .uses_dynamic_stack: false
    .vgpr_count:     15
    .vgpr_spill_count: 0
    .wavefront_size: 32
    .workgroup_processor_mode: 1
  - .args:
      - .offset:         0
        .size:           4
        .value_kind:     by_value
      - .offset:         4
        .size:           4
        .value_kind:     by_value
      - .offset:         8
        .size:           4
        .value_kind:     by_value
      - .offset:         12
        .size:           4
        .value_kind:     by_value
      - .actual_access:  read_only
        .address_space:  global
        .offset:         16
        .size:           8
        .value_kind:     global_buffer
      - .actual_access:  read_only
        .address_space:  global
        .offset:         24
        .size:           8
        .value_kind:     global_buffer
      - .actual_access:  read_only
        .address_space:  global
        .offset:         32
        .size:           8
        .value_kind:     global_buffer
      - .offset:         40
        .size:           4
        .value_kind:     by_value
      - .offset:         44
        .size:           4
        .value_kind:     by_value
      - .actual_access:  write_only
        .address_space:  global
        .offset:         48
        .size:           8
        .value_kind:     global_buffer
      - .actual_access:  write_only
        .address_space:  global
        .offset:         56
        .size:           8
        .value_kind:     global_buffer
      - .actual_access:  write_only
        .address_space:  global
        .offset:         64
        .size:           8
        .value_kind:     global_buffer
    .group_segment_fixed_size: 0
    .kernarg_segment_align: 8
    .kernarg_segment_size: 72
    .language:       OpenCL C
    .language_version:
      - 2
      - 0
    .max_flat_workgroup_size: 1024
    .name:           _ZN9rocsparseL33bsr2csr_block_per_row_8_32_kernelILj1024ELj32E21rocsparse_complex_numIfEiiEEv20rocsparse_direction_T3_S4_21rocsparse_index_base_PKT1_PKT2_PKS4_S4_S5_PS6_PS9_PS4_
    .private_segment_fixed_size: 0
    .sgpr_count:     20
    .sgpr_spill_count: 0
    .symbol:         _ZN9rocsparseL33bsr2csr_block_per_row_8_32_kernelILj1024ELj32E21rocsparse_complex_numIfEiiEEv20rocsparse_direction_T3_S4_21rocsparse_index_base_PKT1_PKT2_PKS4_S4_S5_PS6_PS9_PS4_.kd
    .uniform_work_group_size: 1
    .uses_dynamic_stack: false
    .vgpr_count:     12
    .vgpr_spill_count: 0
    .wavefront_size: 32
    .workgroup_processor_mode: 1
  - .args:
      - .offset:         0
        .size:           4
        .value_kind:     by_value
      - .offset:         4
        .size:           4
        .value_kind:     by_value
      - .offset:         8
        .size:           4
        .value_kind:     by_value
      - .offset:         12
        .size:           4
        .value_kind:     by_value
      - .actual_access:  read_only
        .address_space:  global
        .offset:         16
        .size:           8
        .value_kind:     global_buffer
      - .actual_access:  read_only
        .address_space:  global
        .offset:         24
        .size:           8
        .value_kind:     global_buffer
      - .actual_access:  read_only
        .address_space:  global
        .offset:         32
        .size:           8
        .value_kind:     global_buffer
      - .offset:         40
        .size:           4
        .value_kind:     by_value
      - .offset:         44
        .size:           4
        .value_kind:     by_value
      - .actual_access:  write_only
        .address_space:  global
        .offset:         48
        .size:           8
        .value_kind:     global_buffer
      - .actual_access:  write_only
        .address_space:  global
        .offset:         56
        .size:           8
        .value_kind:     global_buffer
      - .actual_access:  write_only
        .address_space:  global
        .offset:         64
        .size:           8
        .value_kind:     global_buffer
    .group_segment_fixed_size: 0
    .kernarg_segment_align: 8
    .kernarg_segment_size: 72
    .language:       OpenCL C
    .language_version:
      - 2
      - 0
    .max_flat_workgroup_size: 1024
    .name:           _ZN9rocsparseL35bsr2csr_block_per_row_33_256_kernelILj1024ELj64ELj32E21rocsparse_complex_numIfEiiEEv20rocsparse_direction_T4_S4_21rocsparse_index_base_PKT2_PKT3_PKS4_S4_S5_PS6_PS9_PS4_
    .private_segment_fixed_size: 0
    .sgpr_count:     26
    .sgpr_spill_count: 0
    .symbol:         _ZN9rocsparseL35bsr2csr_block_per_row_33_256_kernelILj1024ELj64ELj32E21rocsparse_complex_numIfEiiEEv20rocsparse_direction_T4_S4_21rocsparse_index_base_PKT2_PKT3_PKS4_S4_S5_PS6_PS9_PS4_.kd
    .uniform_work_group_size: 1
    .uses_dynamic_stack: false
    .vgpr_count:     19
    .vgpr_spill_count: 0
    .wavefront_size: 32
    .workgroup_processor_mode: 1
  - .args:
      - .offset:         0
        .size:           4
        .value_kind:     by_value
      - .offset:         4
        .size:           4
        .value_kind:     by_value
      - .offset:         8
        .size:           4
        .value_kind:     by_value
      - .offset:         12
        .size:           4
        .value_kind:     by_value
      - .actual_access:  read_only
        .address_space:  global
        .offset:         16
        .size:           8
        .value_kind:     global_buffer
      - .actual_access:  read_only
        .address_space:  global
        .offset:         24
        .size:           8
        .value_kind:     global_buffer
      - .actual_access:  read_only
        .address_space:  global
        .offset:         32
        .size:           8
        .value_kind:     global_buffer
      - .offset:         40
        .size:           4
        .value_kind:     by_value
      - .offset:         44
        .size:           4
        .value_kind:     by_value
      - .actual_access:  write_only
        .address_space:  global
        .offset:         48
        .size:           8
        .value_kind:     global_buffer
      - .actual_access:  write_only
        .address_space:  global
        .offset:         56
        .size:           8
        .value_kind:     global_buffer
      - .actual_access:  write_only
        .address_space:  global
        .offset:         64
        .size:           8
        .value_kind:     global_buffer
    .group_segment_fixed_size: 0
    .kernarg_segment_align: 8
    .kernarg_segment_size: 72
    .language:       OpenCL C
    .language_version:
      - 2
      - 0
    .max_flat_workgroup_size: 1024
    .name:           _ZN9rocsparseL35bsr2csr_block_per_row_33_256_kernelILj1024ELj128ELj32E21rocsparse_complex_numIfEiiEEv20rocsparse_direction_T4_S4_21rocsparse_index_base_PKT2_PKT3_PKS4_S4_S5_PS6_PS9_PS4_
    .private_segment_fixed_size: 0
    .sgpr_count:     42
    .sgpr_spill_count: 0
    .symbol:         _ZN9rocsparseL35bsr2csr_block_per_row_33_256_kernelILj1024ELj128ELj32E21rocsparse_complex_numIfEiiEEv20rocsparse_direction_T4_S4_21rocsparse_index_base_PKT2_PKT3_PKS4_S4_S5_PS6_PS9_PS4_.kd
    .uniform_work_group_size: 1
    .uses_dynamic_stack: false
    .vgpr_count:     30
    .vgpr_spill_count: 0
    .wavefront_size: 32
    .workgroup_processor_mode: 1
  - .args:
      - .offset:         0
        .size:           4
        .value_kind:     by_value
      - .offset:         4
        .size:           4
        .value_kind:     by_value
      - .offset:         8
        .size:           4
        .value_kind:     by_value
      - .offset:         12
        .size:           4
        .value_kind:     by_value
      - .actual_access:  read_only
        .address_space:  global
        .offset:         16
        .size:           8
        .value_kind:     global_buffer
      - .actual_access:  read_only
        .address_space:  global
        .offset:         24
        .size:           8
        .value_kind:     global_buffer
      - .actual_access:  read_only
        .address_space:  global
        .offset:         32
        .size:           8
        .value_kind:     global_buffer
      - .offset:         40
        .size:           4
        .value_kind:     by_value
      - .offset:         44
        .size:           4
        .value_kind:     by_value
      - .actual_access:  write_only
        .address_space:  global
        .offset:         48
        .size:           8
        .value_kind:     global_buffer
      - .actual_access:  write_only
        .address_space:  global
        .offset:         56
        .size:           8
        .value_kind:     global_buffer
      - .actual_access:  write_only
        .address_space:  global
        .offset:         64
        .size:           8
        .value_kind:     global_buffer
    .group_segment_fixed_size: 0
    .kernarg_segment_align: 8
    .kernarg_segment_size: 72
    .language:       OpenCL C
    .language_version:
      - 2
      - 0
    .max_flat_workgroup_size: 1024
    .name:           _ZN9rocsparseL35bsr2csr_block_per_row_33_256_kernelILj1024ELj256ELj32E21rocsparse_complex_numIfEiiEEv20rocsparse_direction_T4_S4_21rocsparse_index_base_PKT2_PKT3_PKS4_S4_S5_PS6_PS9_PS4_
    .private_segment_fixed_size: 0
    .sgpr_count:     89
    .sgpr_spill_count: 0
    .symbol:         _ZN9rocsparseL35bsr2csr_block_per_row_33_256_kernelILj1024ELj256ELj32E21rocsparse_complex_numIfEiiEEv20rocsparse_direction_T4_S4_21rocsparse_index_base_PKT2_PKT3_PKS4_S4_S5_PS6_PS9_PS4_.kd
    .uniform_work_group_size: 1
    .uses_dynamic_stack: false
    .vgpr_count:     47
    .vgpr_spill_count: 0
    .wavefront_size: 32
    .workgroup_processor_mode: 1
  - .args:
      - .offset:         0
        .size:           4
        .value_kind:     by_value
      - .offset:         4
        .size:           4
        .value_kind:     by_value
      - .offset:         8
        .size:           4
        .value_kind:     by_value
      - .actual_access:  read_only
        .address_space:  global
        .offset:         16
        .size:           8
        .value_kind:     global_buffer
      - .actual_access:  read_only
        .address_space:  global
        .offset:         24
        .size:           8
        .value_kind:     global_buffer
      - .actual_access:  read_only
        .address_space:  global
        .offset:         32
        .size:           8
        .value_kind:     global_buffer
      - .offset:         40
        .size:           4
        .value_kind:     by_value
      - .actual_access:  write_only
        .address_space:  global
        .offset:         48
        .size:           8
        .value_kind:     global_buffer
      - .actual_access:  write_only
        .address_space:  global
        .offset:         56
        .size:           8
        .value_kind:     global_buffer
      - .actual_access:  write_only
        .address_space:  global
        .offset:         64
        .size:           8
        .value_kind:     global_buffer
      - .offset:         72
        .size:           4
        .value_kind:     hidden_block_count_x
      - .offset:         76
        .size:           4
        .value_kind:     hidden_block_count_y
      - .offset:         80
        .size:           4
        .value_kind:     hidden_block_count_z
      - .offset:         84
        .size:           2
        .value_kind:     hidden_group_size_x
      - .offset:         86
        .size:           2
        .value_kind:     hidden_group_size_y
      - .offset:         88
        .size:           2
        .value_kind:     hidden_group_size_z
      - .offset:         90
        .size:           2
        .value_kind:     hidden_remainder_x
      - .offset:         92
        .size:           2
        .value_kind:     hidden_remainder_y
      - .offset:         94
        .size:           2
        .value_kind:     hidden_remainder_z
      - .offset:         112
        .size:           8
        .value_kind:     hidden_global_offset_x
      - .offset:         120
        .size:           8
        .value_kind:     hidden_global_offset_y
      - .offset:         128
        .size:           8
        .value_kind:     hidden_global_offset_z
      - .offset:         136
        .size:           2
        .value_kind:     hidden_grid_dims
    .group_segment_fixed_size: 0
    .kernarg_segment_align: 8
    .kernarg_segment_size: 328
    .language:       OpenCL C
    .language_version:
      - 2
      - 0
    .max_flat_workgroup_size: 1024
    .name:           _ZN9rocsparseL35bsr2csr_block_dim_equals_one_kernelILj1024E21rocsparse_complex_numIfEliEEvT2_S3_21rocsparse_index_base_PKT0_PKT1_PKS3_S4_PS5_PS8_PS3_
    .private_segment_fixed_size: 0
    .sgpr_count:     26
    .sgpr_spill_count: 0
    .symbol:         _ZN9rocsparseL35bsr2csr_block_dim_equals_one_kernelILj1024E21rocsparse_complex_numIfEliEEvT2_S3_21rocsparse_index_base_PKT0_PKT1_PKS3_S4_PS5_PS8_PS3_.kd
    .uniform_work_group_size: 1
    .uses_dynamic_stack: false
    .vgpr_count:     11
    .vgpr_spill_count: 0
    .wavefront_size: 32
    .workgroup_processor_mode: 1
  - .args:
      - .offset:         0
        .size:           4
        .value_kind:     by_value
      - .offset:         4
        .size:           4
        .value_kind:     by_value
      - .offset:         8
        .size:           4
        .value_kind:     by_value
      - .offset:         12
        .size:           4
        .value_kind:     by_value
      - .actual_access:  read_only
        .address_space:  global
        .offset:         16
        .size:           8
        .value_kind:     global_buffer
      - .actual_access:  read_only
        .address_space:  global
        .offset:         24
        .size:           8
        .value_kind:     global_buffer
      - .actual_access:  read_only
        .address_space:  global
        .offset:         32
        .size:           8
        .value_kind:     global_buffer
      - .offset:         40
        .size:           4
        .value_kind:     by_value
      - .offset:         44
        .size:           4
        .value_kind:     by_value
      - .actual_access:  write_only
        .address_space:  global
        .offset:         48
        .size:           8
        .value_kind:     global_buffer
      - .actual_access:  write_only
        .address_space:  global
        .offset:         56
        .size:           8
        .value_kind:     global_buffer
      - .actual_access:  write_only
        .address_space:  global
        .offset:         64
        .size:           8
        .value_kind:     global_buffer
    .group_segment_fixed_size: 0
    .kernarg_segment_align: 8
    .kernarg_segment_size: 72
    .language:       OpenCL C
    .language_version:
      - 2
      - 0
    .max_flat_workgroup_size: 256
    .name:           _ZN9rocsparseL32bsr2csr_block_per_row_2_7_kernelILj256ELj2E21rocsparse_complex_numIfEliEEv20rocsparse_direction_T3_S4_21rocsparse_index_base_PKT1_PKT2_PKS4_S4_S5_PS6_PS9_PS4_
    .private_segment_fixed_size: 0
    .sgpr_count:     20
    .sgpr_spill_count: 0
    .symbol:         _ZN9rocsparseL32bsr2csr_block_per_row_2_7_kernelILj256ELj2E21rocsparse_complex_numIfEliEEv20rocsparse_direction_T3_S4_21rocsparse_index_base_PKT1_PKT2_PKS4_S4_S5_PS6_PS9_PS4_.kd
    .uniform_work_group_size: 1
    .uses_dynamic_stack: false
    .vgpr_count:     21
    .vgpr_spill_count: 0
    .wavefront_size: 32
    .workgroup_processor_mode: 1
  - .args:
      - .offset:         0
        .size:           4
        .value_kind:     by_value
      - .offset:         4
        .size:           4
        .value_kind:     by_value
      - .offset:         8
        .size:           4
        .value_kind:     by_value
      - .offset:         12
        .size:           4
        .value_kind:     by_value
      - .actual_access:  read_only
        .address_space:  global
        .offset:         16
        .size:           8
        .value_kind:     global_buffer
      - .actual_access:  read_only
        .address_space:  global
        .offset:         24
        .size:           8
        .value_kind:     global_buffer
      - .actual_access:  read_only
        .address_space:  global
        .offset:         32
        .size:           8
        .value_kind:     global_buffer
      - .offset:         40
        .size:           4
        .value_kind:     by_value
      - .offset:         44
        .size:           4
        .value_kind:     by_value
      - .actual_access:  write_only
        .address_space:  global
        .offset:         48
        .size:           8
        .value_kind:     global_buffer
      - .actual_access:  write_only
        .address_space:  global
        .offset:         56
        .size:           8
        .value_kind:     global_buffer
      - .actual_access:  write_only
        .address_space:  global
        .offset:         64
        .size:           8
        .value_kind:     global_buffer
    .group_segment_fixed_size: 0
    .kernarg_segment_align: 8
    .kernarg_segment_size: 72
    .language:       OpenCL C
    .language_version:
      - 2
      - 0
    .max_flat_workgroup_size: 256
    .name:           _ZN9rocsparseL32bsr2csr_block_per_row_2_7_kernelILj256ELj3E21rocsparse_complex_numIfEliEEv20rocsparse_direction_T3_S4_21rocsparse_index_base_PKT1_PKT2_PKS4_S4_S5_PS6_PS9_PS4_
    .private_segment_fixed_size: 0
    .sgpr_count:     17
    .sgpr_spill_count: 0
    .symbol:         _ZN9rocsparseL32bsr2csr_block_per_row_2_7_kernelILj256ELj3E21rocsparse_complex_numIfEliEEv20rocsparse_direction_T3_S4_21rocsparse_index_base_PKT1_PKT2_PKS4_S4_S5_PS6_PS9_PS4_.kd
    .uniform_work_group_size: 1
    .uses_dynamic_stack: false
    .vgpr_count:     25
    .vgpr_spill_count: 0
    .wavefront_size: 32
    .workgroup_processor_mode: 1
  - .args:
      - .offset:         0
        .size:           4
        .value_kind:     by_value
      - .offset:         4
        .size:           4
        .value_kind:     by_value
      - .offset:         8
        .size:           4
        .value_kind:     by_value
      - .offset:         12
        .size:           4
        .value_kind:     by_value
      - .actual_access:  read_only
        .address_space:  global
        .offset:         16
        .size:           8
        .value_kind:     global_buffer
      - .actual_access:  read_only
        .address_space:  global
        .offset:         24
        .size:           8
        .value_kind:     global_buffer
      - .actual_access:  read_only
        .address_space:  global
        .offset:         32
        .size:           8
        .value_kind:     global_buffer
      - .offset:         40
        .size:           4
        .value_kind:     by_value
      - .offset:         44
        .size:           4
        .value_kind:     by_value
      - .actual_access:  write_only
        .address_space:  global
        .offset:         48
        .size:           8
        .value_kind:     global_buffer
      - .actual_access:  write_only
        .address_space:  global
        .offset:         56
        .size:           8
        .value_kind:     global_buffer
      - .actual_access:  write_only
        .address_space:  global
        .offset:         64
        .size:           8
        .value_kind:     global_buffer
    .group_segment_fixed_size: 0
    .kernarg_segment_align: 8
    .kernarg_segment_size: 72
    .language:       OpenCL C
    .language_version:
      - 2
      - 0
    .max_flat_workgroup_size: 256
    .name:           _ZN9rocsparseL32bsr2csr_block_per_row_2_7_kernelILj256ELj4E21rocsparse_complex_numIfEliEEv20rocsparse_direction_T3_S4_21rocsparse_index_base_PKT1_PKT2_PKS4_S4_S5_PS6_PS9_PS4_
    .private_segment_fixed_size: 0
    .sgpr_count:     22
    .sgpr_spill_count: 0
    .symbol:         _ZN9rocsparseL32bsr2csr_block_per_row_2_7_kernelILj256ELj4E21rocsparse_complex_numIfEliEEv20rocsparse_direction_T3_S4_21rocsparse_index_base_PKT1_PKT2_PKS4_S4_S5_PS6_PS9_PS4_.kd
    .uniform_work_group_size: 1
    .uses_dynamic_stack: false
    .vgpr_count:     31
    .vgpr_spill_count: 0
    .wavefront_size: 32
    .workgroup_processor_mode: 1
  - .args:
      - .offset:         0
        .size:           4
        .value_kind:     by_value
      - .offset:         4
        .size:           4
        .value_kind:     by_value
      - .offset:         8
        .size:           4
        .value_kind:     by_value
      - .offset:         12
        .size:           4
        .value_kind:     by_value
      - .actual_access:  read_only
        .address_space:  global
        .offset:         16
        .size:           8
        .value_kind:     global_buffer
      - .actual_access:  read_only
        .address_space:  global
        .offset:         24
        .size:           8
        .value_kind:     global_buffer
      - .actual_access:  read_only
        .address_space:  global
        .offset:         32
        .size:           8
        .value_kind:     global_buffer
      - .offset:         40
        .size:           4
        .value_kind:     by_value
      - .offset:         44
        .size:           4
        .value_kind:     by_value
      - .actual_access:  write_only
        .address_space:  global
        .offset:         48
        .size:           8
        .value_kind:     global_buffer
      - .actual_access:  write_only
        .address_space:  global
        .offset:         56
        .size:           8
        .value_kind:     global_buffer
      - .actual_access:  write_only
        .address_space:  global
        .offset:         64
        .size:           8
        .value_kind:     global_buffer
    .group_segment_fixed_size: 0
    .kernarg_segment_align: 8
    .kernarg_segment_size: 72
    .language:       OpenCL C
    .language_version:
      - 2
      - 0
    .max_flat_workgroup_size: 256
    .name:           _ZN9rocsparseL32bsr2csr_block_per_row_2_7_kernelILj256ELj5E21rocsparse_complex_numIfEliEEv20rocsparse_direction_T3_S4_21rocsparse_index_base_PKT1_PKT2_PKS4_S4_S5_PS6_PS9_PS4_
    .private_segment_fixed_size: 0
    .sgpr_count:     17
    .sgpr_spill_count: 0
    .symbol:         _ZN9rocsparseL32bsr2csr_block_per_row_2_7_kernelILj256ELj5E21rocsparse_complex_numIfEliEEv20rocsparse_direction_T3_S4_21rocsparse_index_base_PKT1_PKT2_PKS4_S4_S5_PS6_PS9_PS4_.kd
    .uniform_work_group_size: 1
    .uses_dynamic_stack: false
    .vgpr_count:     35
    .vgpr_spill_count: 0
    .wavefront_size: 32
    .workgroup_processor_mode: 1
  - .args:
      - .offset:         0
        .size:           4
        .value_kind:     by_value
      - .offset:         4
        .size:           4
        .value_kind:     by_value
      - .offset:         8
        .size:           4
        .value_kind:     by_value
      - .offset:         12
        .size:           4
        .value_kind:     by_value
      - .actual_access:  read_only
        .address_space:  global
        .offset:         16
        .size:           8
        .value_kind:     global_buffer
      - .actual_access:  read_only
        .address_space:  global
        .offset:         24
        .size:           8
        .value_kind:     global_buffer
      - .actual_access:  read_only
        .address_space:  global
        .offset:         32
        .size:           8
        .value_kind:     global_buffer
      - .offset:         40
        .size:           4
        .value_kind:     by_value
      - .offset:         44
        .size:           4
        .value_kind:     by_value
      - .actual_access:  write_only
        .address_space:  global
        .offset:         48
        .size:           8
        .value_kind:     global_buffer
      - .actual_access:  write_only
        .address_space:  global
        .offset:         56
        .size:           8
        .value_kind:     global_buffer
      - .actual_access:  write_only
        .address_space:  global
        .offset:         64
        .size:           8
        .value_kind:     global_buffer
    .group_segment_fixed_size: 0
    .kernarg_segment_align: 8
    .kernarg_segment_size: 72
    .language:       OpenCL C
    .language_version:
      - 2
      - 0
    .max_flat_workgroup_size: 256
    .name:           _ZN9rocsparseL32bsr2csr_block_per_row_2_7_kernelILj256ELj6E21rocsparse_complex_numIfEliEEv20rocsparse_direction_T3_S4_21rocsparse_index_base_PKT1_PKT2_PKS4_S4_S5_PS6_PS9_PS4_
    .private_segment_fixed_size: 0
    .sgpr_count:     17
    .sgpr_spill_count: 0
    .symbol:         _ZN9rocsparseL32bsr2csr_block_per_row_2_7_kernelILj256ELj6E21rocsparse_complex_numIfEliEEv20rocsparse_direction_T3_S4_21rocsparse_index_base_PKT1_PKT2_PKS4_S4_S5_PS6_PS9_PS4_.kd
    .uniform_work_group_size: 1
    .uses_dynamic_stack: false
    .vgpr_count:     39
    .vgpr_spill_count: 0
    .wavefront_size: 32
    .workgroup_processor_mode: 1
  - .args:
      - .offset:         0
        .size:           4
        .value_kind:     by_value
      - .offset:         4
        .size:           4
        .value_kind:     by_value
      - .offset:         8
        .size:           4
        .value_kind:     by_value
      - .offset:         12
        .size:           4
        .value_kind:     by_value
      - .actual_access:  read_only
        .address_space:  global
        .offset:         16
        .size:           8
        .value_kind:     global_buffer
      - .actual_access:  read_only
        .address_space:  global
        .offset:         24
        .size:           8
        .value_kind:     global_buffer
      - .actual_access:  read_only
        .address_space:  global
        .offset:         32
        .size:           8
        .value_kind:     global_buffer
      - .offset:         40
        .size:           4
        .value_kind:     by_value
      - .offset:         44
        .size:           4
        .value_kind:     by_value
      - .actual_access:  write_only
        .address_space:  global
        .offset:         48
        .size:           8
        .value_kind:     global_buffer
      - .actual_access:  write_only
        .address_space:  global
        .offset:         56
        .size:           8
        .value_kind:     global_buffer
      - .actual_access:  write_only
        .address_space:  global
        .offset:         64
        .size:           8
        .value_kind:     global_buffer
    .group_segment_fixed_size: 0
    .kernarg_segment_align: 8
    .kernarg_segment_size: 72
    .language:       OpenCL C
    .language_version:
      - 2
      - 0
    .max_flat_workgroup_size: 256
    .name:           _ZN9rocsparseL32bsr2csr_block_per_row_2_7_kernelILj256ELj7E21rocsparse_complex_numIfEliEEv20rocsparse_direction_T3_S4_21rocsparse_index_base_PKT1_PKT2_PKS4_S4_S5_PS6_PS9_PS4_
    .private_segment_fixed_size: 0
    .sgpr_count:     17
    .sgpr_spill_count: 0
    .symbol:         _ZN9rocsparseL32bsr2csr_block_per_row_2_7_kernelILj256ELj7E21rocsparse_complex_numIfEliEEv20rocsparse_direction_T3_S4_21rocsparse_index_base_PKT1_PKT2_PKS4_S4_S5_PS6_PS9_PS4_.kd
    .uniform_work_group_size: 1
    .uses_dynamic_stack: false
    .vgpr_count:     43
    .vgpr_spill_count: 0
    .wavefront_size: 32
    .workgroup_processor_mode: 1
  - .args:
      - .offset:         0
        .size:           4
        .value_kind:     by_value
      - .offset:         4
        .size:           4
        .value_kind:     by_value
      - .offset:         8
        .size:           4
        .value_kind:     by_value
      - .offset:         12
        .size:           4
        .value_kind:     by_value
      - .actual_access:  read_only
        .address_space:  global
        .offset:         16
        .size:           8
        .value_kind:     global_buffer
      - .actual_access:  read_only
        .address_space:  global
        .offset:         24
        .size:           8
        .value_kind:     global_buffer
      - .actual_access:  read_only
        .address_space:  global
        .offset:         32
        .size:           8
        .value_kind:     global_buffer
      - .offset:         40
        .size:           4
        .value_kind:     by_value
      - .offset:         44
        .size:           4
        .value_kind:     by_value
      - .actual_access:  write_only
        .address_space:  global
        .offset:         48
        .size:           8
        .value_kind:     global_buffer
      - .actual_access:  write_only
        .address_space:  global
        .offset:         56
        .size:           8
        .value_kind:     global_buffer
      - .actual_access:  write_only
        .address_space:  global
        .offset:         64
        .size:           8
        .value_kind:     global_buffer
    .group_segment_fixed_size: 0
    .kernarg_segment_align: 8
    .kernarg_segment_size: 72
    .language:       OpenCL C
    .language_version:
      - 2
      - 0
    .max_flat_workgroup_size: 1024
    .name:           _ZN9rocsparseL33bsr2csr_block_per_row_8_32_kernelILj1024ELj8E21rocsparse_complex_numIfEliEEv20rocsparse_direction_T3_S4_21rocsparse_index_base_PKT1_PKT2_PKS4_S4_S5_PS6_PS9_PS4_
    .private_segment_fixed_size: 0
    .sgpr_count:     24
    .sgpr_spill_count: 0
    .symbol:         _ZN9rocsparseL33bsr2csr_block_per_row_8_32_kernelILj1024ELj8E21rocsparse_complex_numIfEliEEv20rocsparse_direction_T3_S4_21rocsparse_index_base_PKT1_PKT2_PKS4_S4_S5_PS6_PS9_PS4_.kd
    .uniform_work_group_size: 1
    .uses_dynamic_stack: false
    .vgpr_count:     17
    .vgpr_spill_count: 0
    .wavefront_size: 32
    .workgroup_processor_mode: 1
  - .args:
      - .offset:         0
        .size:           4
        .value_kind:     by_value
      - .offset:         4
        .size:           4
        .value_kind:     by_value
      - .offset:         8
        .size:           4
        .value_kind:     by_value
      - .offset:         12
        .size:           4
        .value_kind:     by_value
      - .actual_access:  read_only
        .address_space:  global
        .offset:         16
        .size:           8
        .value_kind:     global_buffer
      - .actual_access:  read_only
        .address_space:  global
        .offset:         24
        .size:           8
        .value_kind:     global_buffer
      - .actual_access:  read_only
        .address_space:  global
        .offset:         32
        .size:           8
        .value_kind:     global_buffer
      - .offset:         40
        .size:           4
        .value_kind:     by_value
      - .offset:         44
        .size:           4
        .value_kind:     by_value
      - .actual_access:  write_only
        .address_space:  global
        .offset:         48
        .size:           8
        .value_kind:     global_buffer
      - .actual_access:  write_only
        .address_space:  global
        .offset:         56
        .size:           8
        .value_kind:     global_buffer
      - .actual_access:  write_only
        .address_space:  global
        .offset:         64
        .size:           8
        .value_kind:     global_buffer
    .group_segment_fixed_size: 0
    .kernarg_segment_align: 8
    .kernarg_segment_size: 72
    .language:       OpenCL C
    .language_version:
      - 2
      - 0
    .max_flat_workgroup_size: 1024
    .name:           _ZN9rocsparseL33bsr2csr_block_per_row_8_32_kernelILj1024ELj16E21rocsparse_complex_numIfEliEEv20rocsparse_direction_T3_S4_21rocsparse_index_base_PKT1_PKT2_PKS4_S4_S5_PS6_PS9_PS4_
    .private_segment_fixed_size: 0
    .sgpr_count:     24
    .sgpr_spill_count: 0
    .symbol:         _ZN9rocsparseL33bsr2csr_block_per_row_8_32_kernelILj1024ELj16E21rocsparse_complex_numIfEliEEv20rocsparse_direction_T3_S4_21rocsparse_index_base_PKT1_PKT2_PKS4_S4_S5_PS6_PS9_PS4_.kd
    .uniform_work_group_size: 1
    .uses_dynamic_stack: false
    .vgpr_count:     17
    .vgpr_spill_count: 0
    .wavefront_size: 32
    .workgroup_processor_mode: 1
  - .args:
      - .offset:         0
        .size:           4
        .value_kind:     by_value
      - .offset:         4
        .size:           4
        .value_kind:     by_value
      - .offset:         8
        .size:           4
        .value_kind:     by_value
      - .offset:         12
        .size:           4
        .value_kind:     by_value
      - .actual_access:  read_only
        .address_space:  global
        .offset:         16
        .size:           8
        .value_kind:     global_buffer
      - .actual_access:  read_only
        .address_space:  global
        .offset:         24
        .size:           8
        .value_kind:     global_buffer
      - .actual_access:  read_only
        .address_space:  global
        .offset:         32
        .size:           8
        .value_kind:     global_buffer
      - .offset:         40
        .size:           4
        .value_kind:     by_value
      - .offset:         44
        .size:           4
        .value_kind:     by_value
      - .actual_access:  write_only
        .address_space:  global
        .offset:         48
        .size:           8
        .value_kind:     global_buffer
      - .actual_access:  write_only
        .address_space:  global
        .offset:         56
        .size:           8
        .value_kind:     global_buffer
      - .actual_access:  write_only
        .address_space:  global
        .offset:         64
        .size:           8
        .value_kind:     global_buffer
    .group_segment_fixed_size: 0
    .kernarg_segment_align: 8
    .kernarg_segment_size: 72
    .language:       OpenCL C
    .language_version:
      - 2
      - 0
    .max_flat_workgroup_size: 1024
    .name:           _ZN9rocsparseL33bsr2csr_block_per_row_8_32_kernelILj1024ELj32E21rocsparse_complex_numIfEliEEv20rocsparse_direction_T3_S4_21rocsparse_index_base_PKT1_PKT2_PKS4_S4_S5_PS6_PS9_PS4_
    .private_segment_fixed_size: 0
    .sgpr_count:     29
    .sgpr_spill_count: 0
    .symbol:         _ZN9rocsparseL33bsr2csr_block_per_row_8_32_kernelILj1024ELj32E21rocsparse_complex_numIfEliEEv20rocsparse_direction_T3_S4_21rocsparse_index_base_PKT1_PKT2_PKS4_S4_S5_PS6_PS9_PS4_.kd
    .uniform_work_group_size: 1
    .uses_dynamic_stack: false
    .vgpr_count:     11
    .vgpr_spill_count: 0
    .wavefront_size: 32
    .workgroup_processor_mode: 1
  - .args:
      - .offset:         0
        .size:           4
        .value_kind:     by_value
      - .offset:         4
        .size:           4
        .value_kind:     by_value
      - .offset:         8
        .size:           4
        .value_kind:     by_value
      - .offset:         12
        .size:           4
        .value_kind:     by_value
      - .actual_access:  read_only
        .address_space:  global
        .offset:         16
        .size:           8
        .value_kind:     global_buffer
      - .actual_access:  read_only
        .address_space:  global
        .offset:         24
        .size:           8
        .value_kind:     global_buffer
      - .actual_access:  read_only
        .address_space:  global
        .offset:         32
        .size:           8
        .value_kind:     global_buffer
      - .offset:         40
        .size:           4
        .value_kind:     by_value
      - .offset:         44
        .size:           4
        .value_kind:     by_value
      - .actual_access:  write_only
        .address_space:  global
        .offset:         48
        .size:           8
        .value_kind:     global_buffer
      - .actual_access:  write_only
        .address_space:  global
        .offset:         56
        .size:           8
        .value_kind:     global_buffer
      - .actual_access:  write_only
        .address_space:  global
        .offset:         64
        .size:           8
        .value_kind:     global_buffer
    .group_segment_fixed_size: 0
    .kernarg_segment_align: 8
    .kernarg_segment_size: 72
    .language:       OpenCL C
    .language_version:
      - 2
      - 0
    .max_flat_workgroup_size: 1024
    .name:           _ZN9rocsparseL35bsr2csr_block_per_row_33_256_kernelILj1024ELj64ELj32E21rocsparse_complex_numIfEliEEv20rocsparse_direction_T4_S4_21rocsparse_index_base_PKT2_PKT3_PKS4_S4_S5_PS6_PS9_PS4_
    .private_segment_fixed_size: 0
    .sgpr_count:     38
    .sgpr_spill_count: 0
    .symbol:         _ZN9rocsparseL35bsr2csr_block_per_row_33_256_kernelILj1024ELj64ELj32E21rocsparse_complex_numIfEliEEv20rocsparse_direction_T4_S4_21rocsparse_index_base_PKT2_PKT3_PKS4_S4_S5_PS6_PS9_PS4_.kd
    .uniform_work_group_size: 1
    .uses_dynamic_stack: false
    .vgpr_count:     28
    .vgpr_spill_count: 0
    .wavefront_size: 32
    .workgroup_processor_mode: 1
  - .args:
      - .offset:         0
        .size:           4
        .value_kind:     by_value
      - .offset:         4
        .size:           4
        .value_kind:     by_value
      - .offset:         8
        .size:           4
        .value_kind:     by_value
      - .offset:         12
        .size:           4
        .value_kind:     by_value
      - .actual_access:  read_only
        .address_space:  global
        .offset:         16
        .size:           8
        .value_kind:     global_buffer
      - .actual_access:  read_only
        .address_space:  global
        .offset:         24
        .size:           8
        .value_kind:     global_buffer
      - .actual_access:  read_only
        .address_space:  global
        .offset:         32
        .size:           8
        .value_kind:     global_buffer
      - .offset:         40
        .size:           4
        .value_kind:     by_value
      - .offset:         44
        .size:           4
        .value_kind:     by_value
      - .actual_access:  write_only
        .address_space:  global
        .offset:         48
        .size:           8
        .value_kind:     global_buffer
      - .actual_access:  write_only
        .address_space:  global
        .offset:         56
        .size:           8
        .value_kind:     global_buffer
      - .actual_access:  write_only
        .address_space:  global
        .offset:         64
        .size:           8
        .value_kind:     global_buffer
    .group_segment_fixed_size: 0
    .kernarg_segment_align: 8
    .kernarg_segment_size: 72
    .language:       OpenCL C
    .language_version:
      - 2
      - 0
    .max_flat_workgroup_size: 1024
    .name:           _ZN9rocsparseL35bsr2csr_block_per_row_33_256_kernelILj1024ELj128ELj32E21rocsparse_complex_numIfEliEEv20rocsparse_direction_T4_S4_21rocsparse_index_base_PKT2_PKT3_PKS4_S4_S5_PS6_PS9_PS4_
    .private_segment_fixed_size: 0
    .sgpr_count:     52
    .sgpr_spill_count: 0
    .symbol:         _ZN9rocsparseL35bsr2csr_block_per_row_33_256_kernelILj1024ELj128ELj32E21rocsparse_complex_numIfEliEEv20rocsparse_direction_T4_S4_21rocsparse_index_base_PKT2_PKT3_PKS4_S4_S5_PS6_PS9_PS4_.kd
    .uniform_work_group_size: 1
    .uses_dynamic_stack: false
    .vgpr_count:     46
    .vgpr_spill_count: 0
    .wavefront_size: 32
    .workgroup_processor_mode: 1
  - .args:
      - .offset:         0
        .size:           4
        .value_kind:     by_value
      - .offset:         4
        .size:           4
        .value_kind:     by_value
      - .offset:         8
        .size:           4
        .value_kind:     by_value
      - .offset:         12
        .size:           4
        .value_kind:     by_value
      - .actual_access:  read_only
        .address_space:  global
        .offset:         16
        .size:           8
        .value_kind:     global_buffer
      - .actual_access:  read_only
        .address_space:  global
        .offset:         24
        .size:           8
        .value_kind:     global_buffer
      - .actual_access:  read_only
        .address_space:  global
        .offset:         32
        .size:           8
        .value_kind:     global_buffer
      - .offset:         40
        .size:           4
        .value_kind:     by_value
      - .offset:         44
        .size:           4
        .value_kind:     by_value
      - .actual_access:  write_only
        .address_space:  global
        .offset:         48
        .size:           8
        .value_kind:     global_buffer
      - .actual_access:  write_only
        .address_space:  global
        .offset:         56
        .size:           8
        .value_kind:     global_buffer
      - .actual_access:  write_only
        .address_space:  global
        .offset:         64
        .size:           8
        .value_kind:     global_buffer
    .group_segment_fixed_size: 0
    .kernarg_segment_align: 8
    .kernarg_segment_size: 72
    .language:       OpenCL C
    .language_version:
      - 2
      - 0
    .max_flat_workgroup_size: 1024
    .name:           _ZN9rocsparseL35bsr2csr_block_per_row_33_256_kernelILj1024ELj256ELj32E21rocsparse_complex_numIfEliEEv20rocsparse_direction_T4_S4_21rocsparse_index_base_PKT2_PKT3_PKS4_S4_S5_PS6_PS9_PS4_
    .private_segment_fixed_size: 0
    .sgpr_count:     94
    .sgpr_spill_count: 0
    .symbol:         _ZN9rocsparseL35bsr2csr_block_per_row_33_256_kernelILj1024ELj256ELj32E21rocsparse_complex_numIfEliEEv20rocsparse_direction_T4_S4_21rocsparse_index_base_PKT2_PKT3_PKS4_S4_S5_PS6_PS9_PS4_.kd
    .uniform_work_group_size: 1
    .uses_dynamic_stack: false
    .vgpr_count:     78
    .vgpr_spill_count: 0
    .wavefront_size: 32
    .workgroup_processor_mode: 1
  - .args:
      - .offset:         0
        .size:           8
        .value_kind:     by_value
      - .offset:         8
        .size:           8
        .value_kind:     by_value
      - .offset:         16
        .size:           4
        .value_kind:     by_value
      - .actual_access:  read_only
        .address_space:  global
        .offset:         24
        .size:           8
        .value_kind:     global_buffer
      - .actual_access:  read_only
        .address_space:  global
        .offset:         32
        .size:           8
        .value_kind:     global_buffer
      - .actual_access:  read_only
        .address_space:  global
        .offset:         40
        .size:           8
        .value_kind:     global_buffer
      - .offset:         48
        .size:           4
        .value_kind:     by_value
      - .actual_access:  write_only
        .address_space:  global
        .offset:         56
        .size:           8
        .value_kind:     global_buffer
      - .actual_access:  write_only
        .address_space:  global
        .offset:         64
        .size:           8
        .value_kind:     global_buffer
      - .actual_access:  write_only
        .address_space:  global
        .offset:         72
        .size:           8
        .value_kind:     global_buffer
      - .offset:         80
        .size:           4
        .value_kind:     hidden_block_count_x
      - .offset:         84
        .size:           4
        .value_kind:     hidden_block_count_y
      - .offset:         88
        .size:           4
        .value_kind:     hidden_block_count_z
      - .offset:         92
        .size:           2
        .value_kind:     hidden_group_size_x
      - .offset:         94
        .size:           2
        .value_kind:     hidden_group_size_y
      - .offset:         96
        .size:           2
        .value_kind:     hidden_group_size_z
      - .offset:         98
        .size:           2
        .value_kind:     hidden_remainder_x
      - .offset:         100
        .size:           2
        .value_kind:     hidden_remainder_y
      - .offset:         102
        .size:           2
        .value_kind:     hidden_remainder_z
      - .offset:         120
        .size:           8
        .value_kind:     hidden_global_offset_x
      - .offset:         128
        .size:           8
        .value_kind:     hidden_global_offset_y
      - .offset:         136
        .size:           8
        .value_kind:     hidden_global_offset_z
      - .offset:         144
        .size:           2
        .value_kind:     hidden_grid_dims
    .group_segment_fixed_size: 0
    .kernarg_segment_align: 8
    .kernarg_segment_size: 336
    .language:       OpenCL C
    .language_version:
      - 2
      - 0
    .max_flat_workgroup_size: 1024
    .name:           _ZN9rocsparseL35bsr2csr_block_dim_equals_one_kernelILj1024E21rocsparse_complex_numIfEilEEvT2_S3_21rocsparse_index_base_PKT0_PKT1_PKS3_S4_PS5_PS8_PS3_
    .private_segment_fixed_size: 0
    .sgpr_count:     24
    .sgpr_spill_count: 0
    .symbol:         _ZN9rocsparseL35bsr2csr_block_dim_equals_one_kernelILj1024E21rocsparse_complex_numIfEilEEvT2_S3_21rocsparse_index_base_PKT0_PKT1_PKS3_S4_PS5_PS8_PS3_.kd
    .uniform_work_group_size: 1
    .uses_dynamic_stack: false
    .vgpr_count:     12
    .vgpr_spill_count: 0
    .wavefront_size: 32
    .workgroup_processor_mode: 1
  - .args:
      - .offset:         0
        .size:           4
        .value_kind:     by_value
      - .offset:         8
        .size:           8
        .value_kind:     by_value
      - .offset:         16
        .size:           8
        .value_kind:     by_value
      - .offset:         24
        .size:           4
        .value_kind:     by_value
      - .actual_access:  read_only
        .address_space:  global
        .offset:         32
        .size:           8
        .value_kind:     global_buffer
      - .actual_access:  read_only
        .address_space:  global
        .offset:         40
        .size:           8
        .value_kind:     global_buffer
      - .actual_access:  read_only
        .address_space:  global
        .offset:         48
        .size:           8
        .value_kind:     global_buffer
      - .offset:         56
        .size:           8
        .value_kind:     by_value
      - .offset:         64
        .size:           4
        .value_kind:     by_value
      - .actual_access:  write_only
        .address_space:  global
        .offset:         72
        .size:           8
        .value_kind:     global_buffer
      - .actual_access:  write_only
        .address_space:  global
        .offset:         80
        .size:           8
        .value_kind:     global_buffer
      - .actual_access:  write_only
        .address_space:  global
        .offset:         88
        .size:           8
        .value_kind:     global_buffer
    .group_segment_fixed_size: 0
    .kernarg_segment_align: 8
    .kernarg_segment_size: 96
    .language:       OpenCL C
    .language_version:
      - 2
      - 0
    .max_flat_workgroup_size: 256
    .name:           _ZN9rocsparseL32bsr2csr_block_per_row_2_7_kernelILj256ELj2E21rocsparse_complex_numIfEilEEv20rocsparse_direction_T3_S4_21rocsparse_index_base_PKT1_PKT2_PKS4_S4_S5_PS6_PS9_PS4_
    .private_segment_fixed_size: 0
    .sgpr_count:     17
    .sgpr_spill_count: 0
    .symbol:         _ZN9rocsparseL32bsr2csr_block_per_row_2_7_kernelILj256ELj2E21rocsparse_complex_numIfEilEEv20rocsparse_direction_T3_S4_21rocsparse_index_base_PKT1_PKT2_PKS4_S4_S5_PS6_PS9_PS4_.kd
    .uniform_work_group_size: 1
    .uses_dynamic_stack: false
    .vgpr_count:     21
    .vgpr_spill_count: 0
    .wavefront_size: 32
    .workgroup_processor_mode: 1
  - .args:
      - .offset:         0
        .size:           4
        .value_kind:     by_value
      - .offset:         8
        .size:           8
        .value_kind:     by_value
      - .offset:         16
        .size:           8
        .value_kind:     by_value
      - .offset:         24
        .size:           4
        .value_kind:     by_value
      - .actual_access:  read_only
        .address_space:  global
        .offset:         32
        .size:           8
        .value_kind:     global_buffer
      - .actual_access:  read_only
        .address_space:  global
        .offset:         40
        .size:           8
        .value_kind:     global_buffer
      - .actual_access:  read_only
        .address_space:  global
        .offset:         48
        .size:           8
        .value_kind:     global_buffer
      - .offset:         56
        .size:           8
        .value_kind:     by_value
      - .offset:         64
        .size:           4
        .value_kind:     by_value
      - .actual_access:  write_only
        .address_space:  global
        .offset:         72
        .size:           8
        .value_kind:     global_buffer
      - .actual_access:  write_only
        .address_space:  global
        .offset:         80
        .size:           8
        .value_kind:     global_buffer
      - .actual_access:  write_only
        .address_space:  global
        .offset:         88
        .size:           8
        .value_kind:     global_buffer
    .group_segment_fixed_size: 0
    .kernarg_segment_align: 8
    .kernarg_segment_size: 96
    .language:       OpenCL C
    .language_version:
      - 2
      - 0
    .max_flat_workgroup_size: 256
    .name:           _ZN9rocsparseL32bsr2csr_block_per_row_2_7_kernelILj256ELj3E21rocsparse_complex_numIfEilEEv20rocsparse_direction_T3_S4_21rocsparse_index_base_PKT1_PKT2_PKS4_S4_S5_PS6_PS9_PS4_
    .private_segment_fixed_size: 0
    .sgpr_count:     16
    .sgpr_spill_count: 0
    .symbol:         _ZN9rocsparseL32bsr2csr_block_per_row_2_7_kernelILj256ELj3E21rocsparse_complex_numIfEilEEv20rocsparse_direction_T3_S4_21rocsparse_index_base_PKT1_PKT2_PKS4_S4_S5_PS6_PS9_PS4_.kd
    .uniform_work_group_size: 1
    .uses_dynamic_stack: false
    .vgpr_count:     26
    .vgpr_spill_count: 0
    .wavefront_size: 32
    .workgroup_processor_mode: 1
  - .args:
      - .offset:         0
        .size:           4
        .value_kind:     by_value
      - .offset:         8
        .size:           8
        .value_kind:     by_value
      - .offset:         16
        .size:           8
        .value_kind:     by_value
      - .offset:         24
        .size:           4
        .value_kind:     by_value
      - .actual_access:  read_only
        .address_space:  global
        .offset:         32
        .size:           8
        .value_kind:     global_buffer
      - .actual_access:  read_only
        .address_space:  global
        .offset:         40
        .size:           8
        .value_kind:     global_buffer
      - .actual_access:  read_only
        .address_space:  global
        .offset:         48
        .size:           8
        .value_kind:     global_buffer
      - .offset:         56
        .size:           8
        .value_kind:     by_value
      - .offset:         64
        .size:           4
        .value_kind:     by_value
      - .actual_access:  write_only
        .address_space:  global
        .offset:         72
        .size:           8
        .value_kind:     global_buffer
      - .actual_access:  write_only
        .address_space:  global
        .offset:         80
        .size:           8
        .value_kind:     global_buffer
      - .actual_access:  write_only
        .address_space:  global
        .offset:         88
        .size:           8
        .value_kind:     global_buffer
    .group_segment_fixed_size: 0
    .kernarg_segment_align: 8
    .kernarg_segment_size: 96
    .language:       OpenCL C
    .language_version:
      - 2
      - 0
    .max_flat_workgroup_size: 256
    .name:           _ZN9rocsparseL32bsr2csr_block_per_row_2_7_kernelILj256ELj4E21rocsparse_complex_numIfEilEEv20rocsparse_direction_T3_S4_21rocsparse_index_base_PKT1_PKT2_PKS4_S4_S5_PS6_PS9_PS4_
    .private_segment_fixed_size: 0
    .sgpr_count:     16
    .sgpr_spill_count: 0
    .symbol:         _ZN9rocsparseL32bsr2csr_block_per_row_2_7_kernelILj256ELj4E21rocsparse_complex_numIfEilEEv20rocsparse_direction_T3_S4_21rocsparse_index_base_PKT1_PKT2_PKS4_S4_S5_PS6_PS9_PS4_.kd
    .uniform_work_group_size: 1
    .uses_dynamic_stack: false
    .vgpr_count:     31
    .vgpr_spill_count: 0
    .wavefront_size: 32
    .workgroup_processor_mode: 1
  - .args:
      - .offset:         0
        .size:           4
        .value_kind:     by_value
      - .offset:         8
        .size:           8
        .value_kind:     by_value
      - .offset:         16
        .size:           8
        .value_kind:     by_value
      - .offset:         24
        .size:           4
        .value_kind:     by_value
      - .actual_access:  read_only
        .address_space:  global
        .offset:         32
        .size:           8
        .value_kind:     global_buffer
      - .actual_access:  read_only
        .address_space:  global
        .offset:         40
        .size:           8
        .value_kind:     global_buffer
      - .actual_access:  read_only
        .address_space:  global
        .offset:         48
        .size:           8
        .value_kind:     global_buffer
      - .offset:         56
        .size:           8
        .value_kind:     by_value
      - .offset:         64
        .size:           4
        .value_kind:     by_value
      - .actual_access:  write_only
        .address_space:  global
        .offset:         72
        .size:           8
        .value_kind:     global_buffer
      - .actual_access:  write_only
        .address_space:  global
        .offset:         80
        .size:           8
        .value_kind:     global_buffer
      - .actual_access:  write_only
        .address_space:  global
        .offset:         88
        .size:           8
        .value_kind:     global_buffer
    .group_segment_fixed_size: 0
    .kernarg_segment_align: 8
    .kernarg_segment_size: 96
    .language:       OpenCL C
    .language_version:
      - 2
      - 0
    .max_flat_workgroup_size: 256
    .name:           _ZN9rocsparseL32bsr2csr_block_per_row_2_7_kernelILj256ELj5E21rocsparse_complex_numIfEilEEv20rocsparse_direction_T3_S4_21rocsparse_index_base_PKT1_PKT2_PKS4_S4_S5_PS6_PS9_PS4_
    .private_segment_fixed_size: 0
    .sgpr_count:     17
    .sgpr_spill_count: 0
    .symbol:         _ZN9rocsparseL32bsr2csr_block_per_row_2_7_kernelILj256ELj5E21rocsparse_complex_numIfEilEEv20rocsparse_direction_T3_S4_21rocsparse_index_base_PKT1_PKT2_PKS4_S4_S5_PS6_PS9_PS4_.kd
    .uniform_work_group_size: 1
    .uses_dynamic_stack: false
    .vgpr_count:     32
    .vgpr_spill_count: 0
    .wavefront_size: 32
    .workgroup_processor_mode: 1
  - .args:
      - .offset:         0
        .size:           4
        .value_kind:     by_value
      - .offset:         8
        .size:           8
        .value_kind:     by_value
      - .offset:         16
        .size:           8
        .value_kind:     by_value
      - .offset:         24
        .size:           4
        .value_kind:     by_value
      - .actual_access:  read_only
        .address_space:  global
        .offset:         32
        .size:           8
        .value_kind:     global_buffer
      - .actual_access:  read_only
        .address_space:  global
        .offset:         40
        .size:           8
        .value_kind:     global_buffer
      - .actual_access:  read_only
        .address_space:  global
        .offset:         48
        .size:           8
        .value_kind:     global_buffer
      - .offset:         56
        .size:           8
        .value_kind:     by_value
      - .offset:         64
        .size:           4
        .value_kind:     by_value
      - .actual_access:  write_only
        .address_space:  global
        .offset:         72
        .size:           8
        .value_kind:     global_buffer
      - .actual_access:  write_only
        .address_space:  global
        .offset:         80
        .size:           8
        .value_kind:     global_buffer
      - .actual_access:  write_only
        .address_space:  global
        .offset:         88
        .size:           8
        .value_kind:     global_buffer
    .group_segment_fixed_size: 0
    .kernarg_segment_align: 8
    .kernarg_segment_size: 96
    .language:       OpenCL C
    .language_version:
      - 2
      - 0
    .max_flat_workgroup_size: 256
    .name:           _ZN9rocsparseL32bsr2csr_block_per_row_2_7_kernelILj256ELj6E21rocsparse_complex_numIfEilEEv20rocsparse_direction_T3_S4_21rocsparse_index_base_PKT1_PKT2_PKS4_S4_S5_PS6_PS9_PS4_
    .private_segment_fixed_size: 0
    .sgpr_count:     18
    .sgpr_spill_count: 0
    .symbol:         _ZN9rocsparseL32bsr2csr_block_per_row_2_7_kernelILj256ELj6E21rocsparse_complex_numIfEilEEv20rocsparse_direction_T3_S4_21rocsparse_index_base_PKT1_PKT2_PKS4_S4_S5_PS6_PS9_PS4_.kd
    .uniform_work_group_size: 1
    .uses_dynamic_stack: false
    .vgpr_count:     37
    .vgpr_spill_count: 0
    .wavefront_size: 32
    .workgroup_processor_mode: 1
  - .args:
      - .offset:         0
        .size:           4
        .value_kind:     by_value
      - .offset:         8
        .size:           8
        .value_kind:     by_value
      - .offset:         16
        .size:           8
        .value_kind:     by_value
      - .offset:         24
        .size:           4
        .value_kind:     by_value
      - .actual_access:  read_only
        .address_space:  global
        .offset:         32
        .size:           8
        .value_kind:     global_buffer
      - .actual_access:  read_only
        .address_space:  global
        .offset:         40
        .size:           8
        .value_kind:     global_buffer
      - .actual_access:  read_only
        .address_space:  global
        .offset:         48
        .size:           8
        .value_kind:     global_buffer
      - .offset:         56
        .size:           8
        .value_kind:     by_value
      - .offset:         64
        .size:           4
        .value_kind:     by_value
      - .actual_access:  write_only
        .address_space:  global
        .offset:         72
        .size:           8
        .value_kind:     global_buffer
      - .actual_access:  write_only
        .address_space:  global
        .offset:         80
        .size:           8
        .value_kind:     global_buffer
      - .actual_access:  write_only
        .address_space:  global
        .offset:         88
        .size:           8
        .value_kind:     global_buffer
    .group_segment_fixed_size: 0
    .kernarg_segment_align: 8
    .kernarg_segment_size: 96
    .language:       OpenCL C
    .language_version:
      - 2
      - 0
    .max_flat_workgroup_size: 256
    .name:           _ZN9rocsparseL32bsr2csr_block_per_row_2_7_kernelILj256ELj7E21rocsparse_complex_numIfEilEEv20rocsparse_direction_T3_S4_21rocsparse_index_base_PKT1_PKT2_PKS4_S4_S5_PS6_PS9_PS4_
    .private_segment_fixed_size: 0
    .sgpr_count:     19
    .sgpr_spill_count: 0
    .symbol:         _ZN9rocsparseL32bsr2csr_block_per_row_2_7_kernelILj256ELj7E21rocsparse_complex_numIfEilEEv20rocsparse_direction_T3_S4_21rocsparse_index_base_PKT1_PKT2_PKS4_S4_S5_PS6_PS9_PS4_.kd
    .uniform_work_group_size: 1
    .uses_dynamic_stack: false
    .vgpr_count:     41
    .vgpr_spill_count: 0
    .wavefront_size: 32
    .workgroup_processor_mode: 1
  - .args:
      - .offset:         0
        .size:           4
        .value_kind:     by_value
      - .offset:         8
        .size:           8
        .value_kind:     by_value
      - .offset:         16
        .size:           8
        .value_kind:     by_value
      - .offset:         24
        .size:           4
        .value_kind:     by_value
      - .actual_access:  read_only
        .address_space:  global
        .offset:         32
        .size:           8
        .value_kind:     global_buffer
      - .actual_access:  read_only
        .address_space:  global
        .offset:         40
        .size:           8
        .value_kind:     global_buffer
      - .actual_access:  read_only
        .address_space:  global
        .offset:         48
        .size:           8
        .value_kind:     global_buffer
      - .offset:         56
        .size:           8
        .value_kind:     by_value
      - .offset:         64
        .size:           4
        .value_kind:     by_value
      - .actual_access:  write_only
        .address_space:  global
        .offset:         72
        .size:           8
        .value_kind:     global_buffer
      - .actual_access:  write_only
        .address_space:  global
        .offset:         80
        .size:           8
        .value_kind:     global_buffer
      - .actual_access:  write_only
        .address_space:  global
        .offset:         88
        .size:           8
        .value_kind:     global_buffer
    .group_segment_fixed_size: 0
    .kernarg_segment_align: 8
    .kernarg_segment_size: 96
    .language:       OpenCL C
    .language_version:
      - 2
      - 0
    .max_flat_workgroup_size: 1024
    .name:           _ZN9rocsparseL33bsr2csr_block_per_row_8_32_kernelILj1024ELj8E21rocsparse_complex_numIfEilEEv20rocsparse_direction_T3_S4_21rocsparse_index_base_PKT1_PKT2_PKS4_S4_S5_PS6_PS9_PS4_
    .private_segment_fixed_size: 0
    .sgpr_count:     22
    .sgpr_spill_count: 0
    .symbol:         _ZN9rocsparseL33bsr2csr_block_per_row_8_32_kernelILj1024ELj8E21rocsparse_complex_numIfEilEEv20rocsparse_direction_T3_S4_21rocsparse_index_base_PKT1_PKT2_PKS4_S4_S5_PS6_PS9_PS4_.kd
    .uniform_work_group_size: 1
    .uses_dynamic_stack: false
    .vgpr_count:     18
    .vgpr_spill_count: 0
    .wavefront_size: 32
    .workgroup_processor_mode: 1
  - .args:
      - .offset:         0
        .size:           4
        .value_kind:     by_value
      - .offset:         8
        .size:           8
        .value_kind:     by_value
      - .offset:         16
        .size:           8
        .value_kind:     by_value
      - .offset:         24
        .size:           4
        .value_kind:     by_value
      - .actual_access:  read_only
        .address_space:  global
        .offset:         32
        .size:           8
        .value_kind:     global_buffer
      - .actual_access:  read_only
        .address_space:  global
        .offset:         40
        .size:           8
        .value_kind:     global_buffer
      - .actual_access:  read_only
        .address_space:  global
        .offset:         48
        .size:           8
        .value_kind:     global_buffer
      - .offset:         56
        .size:           8
        .value_kind:     by_value
      - .offset:         64
        .size:           4
        .value_kind:     by_value
      - .actual_access:  write_only
        .address_space:  global
        .offset:         72
        .size:           8
        .value_kind:     global_buffer
      - .actual_access:  write_only
        .address_space:  global
        .offset:         80
        .size:           8
        .value_kind:     global_buffer
      - .actual_access:  write_only
        .address_space:  global
        .offset:         88
        .size:           8
        .value_kind:     global_buffer
    .group_segment_fixed_size: 0
    .kernarg_segment_align: 8
    .kernarg_segment_size: 96
    .language:       OpenCL C
    .language_version:
      - 2
      - 0
    .max_flat_workgroup_size: 1024
    .name:           _ZN9rocsparseL33bsr2csr_block_per_row_8_32_kernelILj1024ELj16E21rocsparse_complex_numIfEilEEv20rocsparse_direction_T3_S4_21rocsparse_index_base_PKT1_PKT2_PKS4_S4_S5_PS6_PS9_PS4_
    .private_segment_fixed_size: 0
    .sgpr_count:     22
    .sgpr_spill_count: 0
    .symbol:         _ZN9rocsparseL33bsr2csr_block_per_row_8_32_kernelILj1024ELj16E21rocsparse_complex_numIfEilEEv20rocsparse_direction_T3_S4_21rocsparse_index_base_PKT1_PKT2_PKS4_S4_S5_PS6_PS9_PS4_.kd
    .uniform_work_group_size: 1
    .uses_dynamic_stack: false
    .vgpr_count:     18
    .vgpr_spill_count: 0
    .wavefront_size: 32
    .workgroup_processor_mode: 1
  - .args:
      - .offset:         0
        .size:           4
        .value_kind:     by_value
      - .offset:         8
        .size:           8
        .value_kind:     by_value
      - .offset:         16
        .size:           8
        .value_kind:     by_value
      - .offset:         24
        .size:           4
        .value_kind:     by_value
      - .actual_access:  read_only
        .address_space:  global
        .offset:         32
        .size:           8
        .value_kind:     global_buffer
      - .actual_access:  read_only
        .address_space:  global
        .offset:         40
        .size:           8
        .value_kind:     global_buffer
      - .actual_access:  read_only
        .address_space:  global
        .offset:         48
        .size:           8
        .value_kind:     global_buffer
      - .offset:         56
        .size:           8
        .value_kind:     by_value
      - .offset:         64
        .size:           4
        .value_kind:     by_value
      - .actual_access:  write_only
        .address_space:  global
        .offset:         72
        .size:           8
        .value_kind:     global_buffer
      - .actual_access:  write_only
        .address_space:  global
        .offset:         80
        .size:           8
        .value_kind:     global_buffer
      - .actual_access:  write_only
        .address_space:  global
        .offset:         88
        .size:           8
        .value_kind:     global_buffer
    .group_segment_fixed_size: 0
    .kernarg_segment_align: 8
    .kernarg_segment_size: 96
    .language:       OpenCL C
    .language_version:
      - 2
      - 0
    .max_flat_workgroup_size: 1024
    .name:           _ZN9rocsparseL33bsr2csr_block_per_row_8_32_kernelILj1024ELj32E21rocsparse_complex_numIfEilEEv20rocsparse_direction_T3_S4_21rocsparse_index_base_PKT1_PKT2_PKS4_S4_S5_PS6_PS9_PS4_
    .private_segment_fixed_size: 0
    .sgpr_count:     21
    .sgpr_spill_count: 0
    .symbol:         _ZN9rocsparseL33bsr2csr_block_per_row_8_32_kernelILj1024ELj32E21rocsparse_complex_numIfEilEEv20rocsparse_direction_T3_S4_21rocsparse_index_base_PKT1_PKT2_PKS4_S4_S5_PS6_PS9_PS4_.kd
    .uniform_work_group_size: 1
    .uses_dynamic_stack: false
    .vgpr_count:     15
    .vgpr_spill_count: 0
    .wavefront_size: 32
    .workgroup_processor_mode: 1
  - .args:
      - .offset:         0
        .size:           4
        .value_kind:     by_value
      - .offset:         8
        .size:           8
        .value_kind:     by_value
      - .offset:         16
        .size:           8
        .value_kind:     by_value
      - .offset:         24
        .size:           4
        .value_kind:     by_value
      - .actual_access:  read_only
        .address_space:  global
        .offset:         32
        .size:           8
        .value_kind:     global_buffer
      - .actual_access:  read_only
        .address_space:  global
        .offset:         40
        .size:           8
        .value_kind:     global_buffer
      - .actual_access:  read_only
        .address_space:  global
        .offset:         48
        .size:           8
        .value_kind:     global_buffer
      - .offset:         56
        .size:           8
        .value_kind:     by_value
      - .offset:         64
        .size:           4
        .value_kind:     by_value
      - .actual_access:  write_only
        .address_space:  global
        .offset:         72
        .size:           8
        .value_kind:     global_buffer
      - .actual_access:  write_only
        .address_space:  global
        .offset:         80
        .size:           8
        .value_kind:     global_buffer
      - .actual_access:  write_only
        .address_space:  global
        .offset:         88
        .size:           8
        .value_kind:     global_buffer
    .group_segment_fixed_size: 0
    .kernarg_segment_align: 8
    .kernarg_segment_size: 96
    .language:       OpenCL C
    .language_version:
      - 2
      - 0
    .max_flat_workgroup_size: 1024
    .name:           _ZN9rocsparseL35bsr2csr_block_per_row_33_256_kernelILj1024ELj64ELj32E21rocsparse_complex_numIfEilEEv20rocsparse_direction_T4_S4_21rocsparse_index_base_PKT2_PKT3_PKS4_S4_S5_PS6_PS9_PS4_
    .private_segment_fixed_size: 0
    .sgpr_count:     28
    .sgpr_spill_count: 0
    .symbol:         _ZN9rocsparseL35bsr2csr_block_per_row_33_256_kernelILj1024ELj64ELj32E21rocsparse_complex_numIfEilEEv20rocsparse_direction_T4_S4_21rocsparse_index_base_PKT2_PKT3_PKS4_S4_S5_PS6_PS9_PS4_.kd
    .uniform_work_group_size: 1
    .uses_dynamic_stack: false
    .vgpr_count:     22
    .vgpr_spill_count: 0
    .wavefront_size: 32
    .workgroup_processor_mode: 1
  - .args:
      - .offset:         0
        .size:           4
        .value_kind:     by_value
      - .offset:         8
        .size:           8
        .value_kind:     by_value
      - .offset:         16
        .size:           8
        .value_kind:     by_value
      - .offset:         24
        .size:           4
        .value_kind:     by_value
      - .actual_access:  read_only
        .address_space:  global
        .offset:         32
        .size:           8
        .value_kind:     global_buffer
      - .actual_access:  read_only
        .address_space:  global
        .offset:         40
        .size:           8
        .value_kind:     global_buffer
      - .actual_access:  read_only
        .address_space:  global
        .offset:         48
        .size:           8
        .value_kind:     global_buffer
      - .offset:         56
        .size:           8
        .value_kind:     by_value
      - .offset:         64
        .size:           4
        .value_kind:     by_value
      - .actual_access:  write_only
        .address_space:  global
        .offset:         72
        .size:           8
        .value_kind:     global_buffer
      - .actual_access:  write_only
        .address_space:  global
        .offset:         80
        .size:           8
        .value_kind:     global_buffer
      - .actual_access:  write_only
        .address_space:  global
        .offset:         88
        .size:           8
        .value_kind:     global_buffer
    .group_segment_fixed_size: 0
    .kernarg_segment_align: 8
    .kernarg_segment_size: 96
    .language:       OpenCL C
    .language_version:
      - 2
      - 0
    .max_flat_workgroup_size: 1024
    .name:           _ZN9rocsparseL35bsr2csr_block_per_row_33_256_kernelILj1024ELj128ELj32E21rocsparse_complex_numIfEilEEv20rocsparse_direction_T4_S4_21rocsparse_index_base_PKT2_PKT3_PKS4_S4_S5_PS6_PS9_PS4_
    .private_segment_fixed_size: 0
    .sgpr_count:     44
    .sgpr_spill_count: 0
    .symbol:         _ZN9rocsparseL35bsr2csr_block_per_row_33_256_kernelILj1024ELj128ELj32E21rocsparse_complex_numIfEilEEv20rocsparse_direction_T4_S4_21rocsparse_index_base_PKT2_PKT3_PKS4_S4_S5_PS6_PS9_PS4_.kd
    .uniform_work_group_size: 1
    .uses_dynamic_stack: false
    .vgpr_count:     46
    .vgpr_spill_count: 0
    .wavefront_size: 32
    .workgroup_processor_mode: 1
  - .args:
      - .offset:         0
        .size:           4
        .value_kind:     by_value
      - .offset:         8
        .size:           8
        .value_kind:     by_value
      - .offset:         16
        .size:           8
        .value_kind:     by_value
      - .offset:         24
        .size:           4
        .value_kind:     by_value
      - .actual_access:  read_only
        .address_space:  global
        .offset:         32
        .size:           8
        .value_kind:     global_buffer
      - .actual_access:  read_only
        .address_space:  global
        .offset:         40
        .size:           8
        .value_kind:     global_buffer
      - .actual_access:  read_only
        .address_space:  global
        .offset:         48
        .size:           8
        .value_kind:     global_buffer
      - .offset:         56
        .size:           8
        .value_kind:     by_value
      - .offset:         64
        .size:           4
        .value_kind:     by_value
      - .actual_access:  write_only
        .address_space:  global
        .offset:         72
        .size:           8
        .value_kind:     global_buffer
      - .actual_access:  write_only
        .address_space:  global
        .offset:         80
        .size:           8
        .value_kind:     global_buffer
      - .actual_access:  write_only
        .address_space:  global
        .offset:         88
        .size:           8
        .value_kind:     global_buffer
    .group_segment_fixed_size: 0
    .kernarg_segment_align: 8
    .kernarg_segment_size: 96
    .language:       OpenCL C
    .language_version:
      - 2
      - 0
    .max_flat_workgroup_size: 1024
    .name:           _ZN9rocsparseL35bsr2csr_block_per_row_33_256_kernelILj1024ELj256ELj32E21rocsparse_complex_numIfEilEEv20rocsparse_direction_T4_S4_21rocsparse_index_base_PKT2_PKT3_PKS4_S4_S5_PS6_PS9_PS4_
    .private_segment_fixed_size: 0
    .sgpr_count:     91
    .sgpr_spill_count: 0
    .symbol:         _ZN9rocsparseL35bsr2csr_block_per_row_33_256_kernelILj1024ELj256ELj32E21rocsparse_complex_numIfEilEEv20rocsparse_direction_T4_S4_21rocsparse_index_base_PKT2_PKT3_PKS4_S4_S5_PS6_PS9_PS4_.kd
    .uniform_work_group_size: 1
    .uses_dynamic_stack: false
    .vgpr_count:     79
    .vgpr_spill_count: 0
    .wavefront_size: 32
    .workgroup_processor_mode: 1
  - .args:
      - .offset:         0
        .size:           8
        .value_kind:     by_value
      - .offset:         8
        .size:           8
        .value_kind:     by_value
      - .offset:         16
        .size:           4
        .value_kind:     by_value
      - .actual_access:  read_only
        .address_space:  global
        .offset:         24
        .size:           8
        .value_kind:     global_buffer
      - .actual_access:  read_only
        .address_space:  global
        .offset:         32
        .size:           8
        .value_kind:     global_buffer
      - .actual_access:  read_only
        .address_space:  global
        .offset:         40
        .size:           8
        .value_kind:     global_buffer
      - .offset:         48
        .size:           4
        .value_kind:     by_value
      - .actual_access:  write_only
        .address_space:  global
        .offset:         56
        .size:           8
        .value_kind:     global_buffer
      - .actual_access:  write_only
        .address_space:  global
        .offset:         64
        .size:           8
        .value_kind:     global_buffer
      - .actual_access:  write_only
        .address_space:  global
        .offset:         72
        .size:           8
        .value_kind:     global_buffer
      - .offset:         80
        .size:           4
        .value_kind:     hidden_block_count_x
      - .offset:         84
        .size:           4
        .value_kind:     hidden_block_count_y
      - .offset:         88
        .size:           4
        .value_kind:     hidden_block_count_z
      - .offset:         92
        .size:           2
        .value_kind:     hidden_group_size_x
      - .offset:         94
        .size:           2
        .value_kind:     hidden_group_size_y
      - .offset:         96
        .size:           2
        .value_kind:     hidden_group_size_z
      - .offset:         98
        .size:           2
        .value_kind:     hidden_remainder_x
      - .offset:         100
        .size:           2
        .value_kind:     hidden_remainder_y
      - .offset:         102
        .size:           2
        .value_kind:     hidden_remainder_z
      - .offset:         120
        .size:           8
        .value_kind:     hidden_global_offset_x
      - .offset:         128
        .size:           8
        .value_kind:     hidden_global_offset_y
      - .offset:         136
        .size:           8
        .value_kind:     hidden_global_offset_z
      - .offset:         144
        .size:           2
        .value_kind:     hidden_grid_dims
    .group_segment_fixed_size: 0
    .kernarg_segment_align: 8
    .kernarg_segment_size: 336
    .language:       OpenCL C
    .language_version:
      - 2
      - 0
    .max_flat_workgroup_size: 1024
    .name:           _ZN9rocsparseL35bsr2csr_block_dim_equals_one_kernelILj1024E21rocsparse_complex_numIfEllEEvT2_S3_21rocsparse_index_base_PKT0_PKT1_PKS3_S4_PS5_PS8_PS3_
    .private_segment_fixed_size: 0
    .sgpr_count:     26
    .sgpr_spill_count: 0
    .symbol:         _ZN9rocsparseL35bsr2csr_block_dim_equals_one_kernelILj1024E21rocsparse_complex_numIfEllEEvT2_S3_21rocsparse_index_base_PKT0_PKT1_PKS3_S4_PS5_PS8_PS3_.kd
    .uniform_work_group_size: 1
    .uses_dynamic_stack: false
    .vgpr_count:     12
    .vgpr_spill_count: 0
    .wavefront_size: 32
    .workgroup_processor_mode: 1
  - .args:
      - .offset:         0
        .size:           4
        .value_kind:     by_value
      - .offset:         8
        .size:           8
        .value_kind:     by_value
      - .offset:         16
        .size:           8
        .value_kind:     by_value
      - .offset:         24
        .size:           4
        .value_kind:     by_value
      - .actual_access:  read_only
        .address_space:  global
        .offset:         32
        .size:           8
        .value_kind:     global_buffer
      - .actual_access:  read_only
        .address_space:  global
        .offset:         40
        .size:           8
        .value_kind:     global_buffer
      - .actual_access:  read_only
        .address_space:  global
        .offset:         48
        .size:           8
        .value_kind:     global_buffer
      - .offset:         56
        .size:           8
        .value_kind:     by_value
      - .offset:         64
        .size:           4
        .value_kind:     by_value
      - .actual_access:  write_only
        .address_space:  global
        .offset:         72
        .size:           8
        .value_kind:     global_buffer
      - .actual_access:  write_only
        .address_space:  global
        .offset:         80
        .size:           8
        .value_kind:     global_buffer
      - .actual_access:  write_only
        .address_space:  global
        .offset:         88
        .size:           8
        .value_kind:     global_buffer
    .group_segment_fixed_size: 0
    .kernarg_segment_align: 8
    .kernarg_segment_size: 96
    .language:       OpenCL C
    .language_version:
      - 2
      - 0
    .max_flat_workgroup_size: 256
    .name:           _ZN9rocsparseL32bsr2csr_block_per_row_2_7_kernelILj256ELj2E21rocsparse_complex_numIfEllEEv20rocsparse_direction_T3_S4_21rocsparse_index_base_PKT1_PKT2_PKS4_S4_S5_PS6_PS9_PS4_
    .private_segment_fixed_size: 0
    .sgpr_count:     22
    .sgpr_spill_count: 0
    .symbol:         _ZN9rocsparseL32bsr2csr_block_per_row_2_7_kernelILj256ELj2E21rocsparse_complex_numIfEllEEv20rocsparse_direction_T3_S4_21rocsparse_index_base_PKT1_PKT2_PKS4_S4_S5_PS6_PS9_PS4_.kd
    .uniform_work_group_size: 1
    .uses_dynamic_stack: false
    .vgpr_count:     22
    .vgpr_spill_count: 0
    .wavefront_size: 32
    .workgroup_processor_mode: 1
  - .args:
      - .offset:         0
        .size:           4
        .value_kind:     by_value
      - .offset:         8
        .size:           8
        .value_kind:     by_value
      - .offset:         16
        .size:           8
        .value_kind:     by_value
      - .offset:         24
        .size:           4
        .value_kind:     by_value
      - .actual_access:  read_only
        .address_space:  global
        .offset:         32
        .size:           8
        .value_kind:     global_buffer
      - .actual_access:  read_only
        .address_space:  global
        .offset:         40
        .size:           8
        .value_kind:     global_buffer
      - .actual_access:  read_only
        .address_space:  global
        .offset:         48
        .size:           8
        .value_kind:     global_buffer
      - .offset:         56
        .size:           8
        .value_kind:     by_value
      - .offset:         64
        .size:           4
        .value_kind:     by_value
      - .actual_access:  write_only
        .address_space:  global
        .offset:         72
        .size:           8
        .value_kind:     global_buffer
      - .actual_access:  write_only
        .address_space:  global
        .offset:         80
        .size:           8
        .value_kind:     global_buffer
      - .actual_access:  write_only
        .address_space:  global
        .offset:         88
        .size:           8
        .value_kind:     global_buffer
    .group_segment_fixed_size: 0
    .kernarg_segment_align: 8
    .kernarg_segment_size: 96
    .language:       OpenCL C
    .language_version:
      - 2
      - 0
    .max_flat_workgroup_size: 256
    .name:           _ZN9rocsparseL32bsr2csr_block_per_row_2_7_kernelILj256ELj3E21rocsparse_complex_numIfEllEEv20rocsparse_direction_T3_S4_21rocsparse_index_base_PKT1_PKT2_PKS4_S4_S5_PS6_PS9_PS4_
    .private_segment_fixed_size: 0
    .sgpr_count:     21
    .sgpr_spill_count: 0
    .symbol:         _ZN9rocsparseL32bsr2csr_block_per_row_2_7_kernelILj256ELj3E21rocsparse_complex_numIfEllEEv20rocsparse_direction_T3_S4_21rocsparse_index_base_PKT1_PKT2_PKS4_S4_S5_PS6_PS9_PS4_.kd
    .uniform_work_group_size: 1
    .uses_dynamic_stack: false
    .vgpr_count:     27
    .vgpr_spill_count: 0
    .wavefront_size: 32
    .workgroup_processor_mode: 1
  - .args:
      - .offset:         0
        .size:           4
        .value_kind:     by_value
      - .offset:         8
        .size:           8
        .value_kind:     by_value
      - .offset:         16
        .size:           8
        .value_kind:     by_value
      - .offset:         24
        .size:           4
        .value_kind:     by_value
      - .actual_access:  read_only
        .address_space:  global
        .offset:         32
        .size:           8
        .value_kind:     global_buffer
      - .actual_access:  read_only
        .address_space:  global
        .offset:         40
        .size:           8
        .value_kind:     global_buffer
      - .actual_access:  read_only
        .address_space:  global
        .offset:         48
        .size:           8
        .value_kind:     global_buffer
      - .offset:         56
        .size:           8
        .value_kind:     by_value
      - .offset:         64
        .size:           4
        .value_kind:     by_value
      - .actual_access:  write_only
        .address_space:  global
        .offset:         72
        .size:           8
        .value_kind:     global_buffer
      - .actual_access:  write_only
        .address_space:  global
        .offset:         80
        .size:           8
        .value_kind:     global_buffer
      - .actual_access:  write_only
        .address_space:  global
        .offset:         88
        .size:           8
        .value_kind:     global_buffer
    .group_segment_fixed_size: 0
    .kernarg_segment_align: 8
    .kernarg_segment_size: 96
    .language:       OpenCL C
    .language_version:
      - 2
      - 0
    .max_flat_workgroup_size: 256
    .name:           _ZN9rocsparseL32bsr2csr_block_per_row_2_7_kernelILj256ELj4E21rocsparse_complex_numIfEllEEv20rocsparse_direction_T3_S4_21rocsparse_index_base_PKT1_PKT2_PKS4_S4_S5_PS6_PS9_PS4_
    .private_segment_fixed_size: 0
    .sgpr_count:     24
    .sgpr_spill_count: 0
    .symbol:         _ZN9rocsparseL32bsr2csr_block_per_row_2_7_kernelILj256ELj4E21rocsparse_complex_numIfEllEEv20rocsparse_direction_T3_S4_21rocsparse_index_base_PKT1_PKT2_PKS4_S4_S5_PS6_PS9_PS4_.kd
    .uniform_work_group_size: 1
    .uses_dynamic_stack: false
    .vgpr_count:     30
    .vgpr_spill_count: 0
    .wavefront_size: 32
    .workgroup_processor_mode: 1
  - .args:
      - .offset:         0
        .size:           4
        .value_kind:     by_value
      - .offset:         8
        .size:           8
        .value_kind:     by_value
      - .offset:         16
        .size:           8
        .value_kind:     by_value
      - .offset:         24
        .size:           4
        .value_kind:     by_value
      - .actual_access:  read_only
        .address_space:  global
        .offset:         32
        .size:           8
        .value_kind:     global_buffer
      - .actual_access:  read_only
        .address_space:  global
        .offset:         40
        .size:           8
        .value_kind:     global_buffer
      - .actual_access:  read_only
        .address_space:  global
        .offset:         48
        .size:           8
        .value_kind:     global_buffer
      - .offset:         56
        .size:           8
        .value_kind:     by_value
      - .offset:         64
        .size:           4
        .value_kind:     by_value
      - .actual_access:  write_only
        .address_space:  global
        .offset:         72
        .size:           8
        .value_kind:     global_buffer
      - .actual_access:  write_only
        .address_space:  global
        .offset:         80
        .size:           8
        .value_kind:     global_buffer
      - .actual_access:  write_only
        .address_space:  global
        .offset:         88
        .size:           8
        .value_kind:     global_buffer
    .group_segment_fixed_size: 0
    .kernarg_segment_align: 8
    .kernarg_segment_size: 96
    .language:       OpenCL C
    .language_version:
      - 2
      - 0
    .max_flat_workgroup_size: 256
    .name:           _ZN9rocsparseL32bsr2csr_block_per_row_2_7_kernelILj256ELj5E21rocsparse_complex_numIfEllEEv20rocsparse_direction_T3_S4_21rocsparse_index_base_PKT1_PKT2_PKS4_S4_S5_PS6_PS9_PS4_
    .private_segment_fixed_size: 0
    .sgpr_count:     21
    .sgpr_spill_count: 0
    .symbol:         _ZN9rocsparseL32bsr2csr_block_per_row_2_7_kernelILj256ELj5E21rocsparse_complex_numIfEllEEv20rocsparse_direction_T3_S4_21rocsparse_index_base_PKT1_PKT2_PKS4_S4_S5_PS6_PS9_PS4_.kd
    .uniform_work_group_size: 1
    .uses_dynamic_stack: false
    .vgpr_count:     37
    .vgpr_spill_count: 0
    .wavefront_size: 32
    .workgroup_processor_mode: 1
  - .args:
      - .offset:         0
        .size:           4
        .value_kind:     by_value
      - .offset:         8
        .size:           8
        .value_kind:     by_value
      - .offset:         16
        .size:           8
        .value_kind:     by_value
      - .offset:         24
        .size:           4
        .value_kind:     by_value
      - .actual_access:  read_only
        .address_space:  global
        .offset:         32
        .size:           8
        .value_kind:     global_buffer
      - .actual_access:  read_only
        .address_space:  global
        .offset:         40
        .size:           8
        .value_kind:     global_buffer
      - .actual_access:  read_only
        .address_space:  global
        .offset:         48
        .size:           8
        .value_kind:     global_buffer
      - .offset:         56
        .size:           8
        .value_kind:     by_value
      - .offset:         64
        .size:           4
        .value_kind:     by_value
      - .actual_access:  write_only
        .address_space:  global
        .offset:         72
        .size:           8
        .value_kind:     global_buffer
      - .actual_access:  write_only
        .address_space:  global
        .offset:         80
        .size:           8
        .value_kind:     global_buffer
      - .actual_access:  write_only
        .address_space:  global
        .offset:         88
        .size:           8
        .value_kind:     global_buffer
    .group_segment_fixed_size: 0
    .kernarg_segment_align: 8
    .kernarg_segment_size: 96
    .language:       OpenCL C
    .language_version:
      - 2
      - 0
    .max_flat_workgroup_size: 256
    .name:           _ZN9rocsparseL32bsr2csr_block_per_row_2_7_kernelILj256ELj6E21rocsparse_complex_numIfEllEEv20rocsparse_direction_T3_S4_21rocsparse_index_base_PKT1_PKT2_PKS4_S4_S5_PS6_PS9_PS4_
    .private_segment_fixed_size: 0
    .sgpr_count:     21
    .sgpr_spill_count: 0
    .symbol:         _ZN9rocsparseL32bsr2csr_block_per_row_2_7_kernelILj256ELj6E21rocsparse_complex_numIfEllEEv20rocsparse_direction_T3_S4_21rocsparse_index_base_PKT1_PKT2_PKS4_S4_S5_PS6_PS9_PS4_.kd
    .uniform_work_group_size: 1
    .uses_dynamic_stack: false
    .vgpr_count:     38
    .vgpr_spill_count: 0
    .wavefront_size: 32
    .workgroup_processor_mode: 1
  - .args:
      - .offset:         0
        .size:           4
        .value_kind:     by_value
      - .offset:         8
        .size:           8
        .value_kind:     by_value
      - .offset:         16
        .size:           8
        .value_kind:     by_value
      - .offset:         24
        .size:           4
        .value_kind:     by_value
      - .actual_access:  read_only
        .address_space:  global
        .offset:         32
        .size:           8
        .value_kind:     global_buffer
      - .actual_access:  read_only
        .address_space:  global
        .offset:         40
        .size:           8
        .value_kind:     global_buffer
      - .actual_access:  read_only
        .address_space:  global
        .offset:         48
        .size:           8
        .value_kind:     global_buffer
      - .offset:         56
        .size:           8
        .value_kind:     by_value
      - .offset:         64
        .size:           4
        .value_kind:     by_value
      - .actual_access:  write_only
        .address_space:  global
        .offset:         72
        .size:           8
        .value_kind:     global_buffer
      - .actual_access:  write_only
        .address_space:  global
        .offset:         80
        .size:           8
        .value_kind:     global_buffer
      - .actual_access:  write_only
        .address_space:  global
        .offset:         88
        .size:           8
        .value_kind:     global_buffer
    .group_segment_fixed_size: 0
    .kernarg_segment_align: 8
    .kernarg_segment_size: 96
    .language:       OpenCL C
    .language_version:
      - 2
      - 0
    .max_flat_workgroup_size: 256
    .name:           _ZN9rocsparseL32bsr2csr_block_per_row_2_7_kernelILj256ELj7E21rocsparse_complex_numIfEllEEv20rocsparse_direction_T3_S4_21rocsparse_index_base_PKT1_PKT2_PKS4_S4_S5_PS6_PS9_PS4_
    .private_segment_fixed_size: 0
    .sgpr_count:     21
    .sgpr_spill_count: 0
    .symbol:         _ZN9rocsparseL32bsr2csr_block_per_row_2_7_kernelILj256ELj7E21rocsparse_complex_numIfEllEEv20rocsparse_direction_T3_S4_21rocsparse_index_base_PKT1_PKT2_PKS4_S4_S5_PS6_PS9_PS4_.kd
    .uniform_work_group_size: 1
    .uses_dynamic_stack: false
    .vgpr_count:     42
    .vgpr_spill_count: 0
    .wavefront_size: 32
    .workgroup_processor_mode: 1
  - .args:
      - .offset:         0
        .size:           4
        .value_kind:     by_value
      - .offset:         8
        .size:           8
        .value_kind:     by_value
      - .offset:         16
        .size:           8
        .value_kind:     by_value
      - .offset:         24
        .size:           4
        .value_kind:     by_value
      - .actual_access:  read_only
        .address_space:  global
        .offset:         32
        .size:           8
        .value_kind:     global_buffer
      - .actual_access:  read_only
        .address_space:  global
        .offset:         40
        .size:           8
        .value_kind:     global_buffer
      - .actual_access:  read_only
        .address_space:  global
        .offset:         48
        .size:           8
        .value_kind:     global_buffer
      - .offset:         56
        .size:           8
        .value_kind:     by_value
      - .offset:         64
        .size:           4
        .value_kind:     by_value
      - .actual_access:  write_only
        .address_space:  global
        .offset:         72
        .size:           8
        .value_kind:     global_buffer
      - .actual_access:  write_only
        .address_space:  global
        .offset:         80
        .size:           8
        .value_kind:     global_buffer
      - .actual_access:  write_only
        .address_space:  global
        .offset:         88
        .size:           8
        .value_kind:     global_buffer
    .group_segment_fixed_size: 0
    .kernarg_segment_align: 8
    .kernarg_segment_size: 96
    .language:       OpenCL C
    .language_version:
      - 2
      - 0
    .max_flat_workgroup_size: 1024
    .name:           _ZN9rocsparseL33bsr2csr_block_per_row_8_32_kernelILj1024ELj8E21rocsparse_complex_numIfEllEEv20rocsparse_direction_T3_S4_21rocsparse_index_base_PKT1_PKT2_PKS4_S4_S5_PS6_PS9_PS4_
    .private_segment_fixed_size: 0
    .sgpr_count:     25
    .sgpr_spill_count: 0
    .symbol:         _ZN9rocsparseL33bsr2csr_block_per_row_8_32_kernelILj1024ELj8E21rocsparse_complex_numIfEllEEv20rocsparse_direction_T3_S4_21rocsparse_index_base_PKT1_PKT2_PKS4_S4_S5_PS6_PS9_PS4_.kd
    .uniform_work_group_size: 1
    .uses_dynamic_stack: false
    .vgpr_count:     20
    .vgpr_spill_count: 0
    .wavefront_size: 32
    .workgroup_processor_mode: 1
  - .args:
      - .offset:         0
        .size:           4
        .value_kind:     by_value
      - .offset:         8
        .size:           8
        .value_kind:     by_value
      - .offset:         16
        .size:           8
        .value_kind:     by_value
      - .offset:         24
        .size:           4
        .value_kind:     by_value
      - .actual_access:  read_only
        .address_space:  global
        .offset:         32
        .size:           8
        .value_kind:     global_buffer
      - .actual_access:  read_only
        .address_space:  global
        .offset:         40
        .size:           8
        .value_kind:     global_buffer
      - .actual_access:  read_only
        .address_space:  global
        .offset:         48
        .size:           8
        .value_kind:     global_buffer
      - .offset:         56
        .size:           8
        .value_kind:     by_value
      - .offset:         64
        .size:           4
        .value_kind:     by_value
      - .actual_access:  write_only
        .address_space:  global
        .offset:         72
        .size:           8
        .value_kind:     global_buffer
      - .actual_access:  write_only
        .address_space:  global
        .offset:         80
        .size:           8
        .value_kind:     global_buffer
      - .actual_access:  write_only
        .address_space:  global
        .offset:         88
        .size:           8
        .value_kind:     global_buffer
    .group_segment_fixed_size: 0
    .kernarg_segment_align: 8
    .kernarg_segment_size: 96
    .language:       OpenCL C
    .language_version:
      - 2
      - 0
    .max_flat_workgroup_size: 1024
    .name:           _ZN9rocsparseL33bsr2csr_block_per_row_8_32_kernelILj1024ELj16E21rocsparse_complex_numIfEllEEv20rocsparse_direction_T3_S4_21rocsparse_index_base_PKT1_PKT2_PKS4_S4_S5_PS6_PS9_PS4_
    .private_segment_fixed_size: 0
    .sgpr_count:     25
    .sgpr_spill_count: 0
    .symbol:         _ZN9rocsparseL33bsr2csr_block_per_row_8_32_kernelILj1024ELj16E21rocsparse_complex_numIfEllEEv20rocsparse_direction_T3_S4_21rocsparse_index_base_PKT1_PKT2_PKS4_S4_S5_PS6_PS9_PS4_.kd
    .uniform_work_group_size: 1
    .uses_dynamic_stack: false
    .vgpr_count:     20
    .vgpr_spill_count: 0
    .wavefront_size: 32
    .workgroup_processor_mode: 1
  - .args:
      - .offset:         0
        .size:           4
        .value_kind:     by_value
      - .offset:         8
        .size:           8
        .value_kind:     by_value
      - .offset:         16
        .size:           8
        .value_kind:     by_value
      - .offset:         24
        .size:           4
        .value_kind:     by_value
      - .actual_access:  read_only
        .address_space:  global
        .offset:         32
        .size:           8
        .value_kind:     global_buffer
      - .actual_access:  read_only
        .address_space:  global
        .offset:         40
        .size:           8
        .value_kind:     global_buffer
      - .actual_access:  read_only
        .address_space:  global
        .offset:         48
        .size:           8
        .value_kind:     global_buffer
      - .offset:         56
        .size:           8
        .value_kind:     by_value
      - .offset:         64
        .size:           4
        .value_kind:     by_value
      - .actual_access:  write_only
        .address_space:  global
        .offset:         72
        .size:           8
        .value_kind:     global_buffer
      - .actual_access:  write_only
        .address_space:  global
        .offset:         80
        .size:           8
        .value_kind:     global_buffer
      - .actual_access:  write_only
        .address_space:  global
        .offset:         88
        .size:           8
        .value_kind:     global_buffer
    .group_segment_fixed_size: 0
    .kernarg_segment_align: 8
    .kernarg_segment_size: 96
    .language:       OpenCL C
    .language_version:
      - 2
      - 0
    .max_flat_workgroup_size: 1024
    .name:           _ZN9rocsparseL33bsr2csr_block_per_row_8_32_kernelILj1024ELj32E21rocsparse_complex_numIfEllEEv20rocsparse_direction_T3_S4_21rocsparse_index_base_PKT1_PKT2_PKS4_S4_S5_PS6_PS9_PS4_
    .private_segment_fixed_size: 0
    .sgpr_count:     30
    .sgpr_spill_count: 0
    .symbol:         _ZN9rocsparseL33bsr2csr_block_per_row_8_32_kernelILj1024ELj32E21rocsparse_complex_numIfEllEEv20rocsparse_direction_T3_S4_21rocsparse_index_base_PKT1_PKT2_PKS4_S4_S5_PS6_PS9_PS4_.kd
    .uniform_work_group_size: 1
    .uses_dynamic_stack: false
    .vgpr_count:     14
    .vgpr_spill_count: 0
    .wavefront_size: 32
    .workgroup_processor_mode: 1
  - .args:
      - .offset:         0
        .size:           4
        .value_kind:     by_value
      - .offset:         8
        .size:           8
        .value_kind:     by_value
      - .offset:         16
        .size:           8
        .value_kind:     by_value
      - .offset:         24
        .size:           4
        .value_kind:     by_value
      - .actual_access:  read_only
        .address_space:  global
        .offset:         32
        .size:           8
        .value_kind:     global_buffer
      - .actual_access:  read_only
        .address_space:  global
        .offset:         40
        .size:           8
        .value_kind:     global_buffer
      - .actual_access:  read_only
        .address_space:  global
        .offset:         48
        .size:           8
        .value_kind:     global_buffer
      - .offset:         56
        .size:           8
        .value_kind:     by_value
      - .offset:         64
        .size:           4
        .value_kind:     by_value
      - .actual_access:  write_only
        .address_space:  global
        .offset:         72
        .size:           8
        .value_kind:     global_buffer
      - .actual_access:  write_only
        .address_space:  global
        .offset:         80
        .size:           8
        .value_kind:     global_buffer
      - .actual_access:  write_only
        .address_space:  global
        .offset:         88
        .size:           8
        .value_kind:     global_buffer
    .group_segment_fixed_size: 0
    .kernarg_segment_align: 8
    .kernarg_segment_size: 96
    .language:       OpenCL C
    .language_version:
      - 2
      - 0
    .max_flat_workgroup_size: 1024
    .name:           _ZN9rocsparseL35bsr2csr_block_per_row_33_256_kernelILj1024ELj64ELj32E21rocsparse_complex_numIfEllEEv20rocsparse_direction_T4_S4_21rocsparse_index_base_PKT2_PKT3_PKS4_S4_S5_PS6_PS9_PS4_
    .private_segment_fixed_size: 0
    .sgpr_count:     40
    .sgpr_spill_count: 0
    .symbol:         _ZN9rocsparseL35bsr2csr_block_per_row_33_256_kernelILj1024ELj64ELj32E21rocsparse_complex_numIfEllEEv20rocsparse_direction_T4_S4_21rocsparse_index_base_PKT2_PKT3_PKS4_S4_S5_PS6_PS9_PS4_.kd
    .uniform_work_group_size: 1
    .uses_dynamic_stack: false
    .vgpr_count:     28
    .vgpr_spill_count: 0
    .wavefront_size: 32
    .workgroup_processor_mode: 1
  - .args:
      - .offset:         0
        .size:           4
        .value_kind:     by_value
      - .offset:         8
        .size:           8
        .value_kind:     by_value
      - .offset:         16
        .size:           8
        .value_kind:     by_value
      - .offset:         24
        .size:           4
        .value_kind:     by_value
      - .actual_access:  read_only
        .address_space:  global
        .offset:         32
        .size:           8
        .value_kind:     global_buffer
      - .actual_access:  read_only
        .address_space:  global
        .offset:         40
        .size:           8
        .value_kind:     global_buffer
      - .actual_access:  read_only
        .address_space:  global
        .offset:         48
        .size:           8
        .value_kind:     global_buffer
      - .offset:         56
        .size:           8
        .value_kind:     by_value
      - .offset:         64
        .size:           4
        .value_kind:     by_value
      - .actual_access:  write_only
        .address_space:  global
        .offset:         72
        .size:           8
        .value_kind:     global_buffer
      - .actual_access:  write_only
        .address_space:  global
        .offset:         80
        .size:           8
        .value_kind:     global_buffer
      - .actual_access:  write_only
        .address_space:  global
        .offset:         88
        .size:           8
        .value_kind:     global_buffer
    .group_segment_fixed_size: 0
    .kernarg_segment_align: 8
    .kernarg_segment_size: 96
    .language:       OpenCL C
    .language_version:
      - 2
      - 0
    .max_flat_workgroup_size: 1024
    .name:           _ZN9rocsparseL35bsr2csr_block_per_row_33_256_kernelILj1024ELj128ELj32E21rocsparse_complex_numIfEllEEv20rocsparse_direction_T4_S4_21rocsparse_index_base_PKT2_PKT3_PKS4_S4_S5_PS6_PS9_PS4_
    .private_segment_fixed_size: 0
    .sgpr_count:     51
    .sgpr_spill_count: 0
    .symbol:         _ZN9rocsparseL35bsr2csr_block_per_row_33_256_kernelILj1024ELj128ELj32E21rocsparse_complex_numIfEllEEv20rocsparse_direction_T4_S4_21rocsparse_index_base_PKT2_PKT3_PKS4_S4_S5_PS6_PS9_PS4_.kd
    .uniform_work_group_size: 1
    .uses_dynamic_stack: false
    .vgpr_count:     45
    .vgpr_spill_count: 0
    .wavefront_size: 32
    .workgroup_processor_mode: 1
  - .args:
      - .offset:         0
        .size:           4
        .value_kind:     by_value
      - .offset:         8
        .size:           8
        .value_kind:     by_value
      - .offset:         16
        .size:           8
        .value_kind:     by_value
      - .offset:         24
        .size:           4
        .value_kind:     by_value
      - .actual_access:  read_only
        .address_space:  global
        .offset:         32
        .size:           8
        .value_kind:     global_buffer
      - .actual_access:  read_only
        .address_space:  global
        .offset:         40
        .size:           8
        .value_kind:     global_buffer
      - .actual_access:  read_only
        .address_space:  global
        .offset:         48
        .size:           8
        .value_kind:     global_buffer
      - .offset:         56
        .size:           8
        .value_kind:     by_value
      - .offset:         64
        .size:           4
        .value_kind:     by_value
      - .actual_access:  write_only
        .address_space:  global
        .offset:         72
        .size:           8
        .value_kind:     global_buffer
      - .actual_access:  write_only
        .address_space:  global
        .offset:         80
        .size:           8
        .value_kind:     global_buffer
      - .actual_access:  write_only
        .address_space:  global
        .offset:         88
        .size:           8
        .value_kind:     global_buffer
    .group_segment_fixed_size: 0
    .kernarg_segment_align: 8
    .kernarg_segment_size: 96
    .language:       OpenCL C
    .language_version:
      - 2
      - 0
    .max_flat_workgroup_size: 1024
    .name:           _ZN9rocsparseL35bsr2csr_block_per_row_33_256_kernelILj1024ELj256ELj32E21rocsparse_complex_numIfEllEEv20rocsparse_direction_T4_S4_21rocsparse_index_base_PKT2_PKT3_PKS4_S4_S5_PS6_PS9_PS4_
    .private_segment_fixed_size: 0
    .sgpr_count:     102
    .sgpr_spill_count: 0
    .symbol:         _ZN9rocsparseL35bsr2csr_block_per_row_33_256_kernelILj1024ELj256ELj32E21rocsparse_complex_numIfEllEEv20rocsparse_direction_T4_S4_21rocsparse_index_base_PKT2_PKT3_PKS4_S4_S5_PS6_PS9_PS4_.kd
    .uniform_work_group_size: 1
    .uses_dynamic_stack: false
    .vgpr_count:     72
    .vgpr_spill_count: 0
    .wavefront_size: 32
    .workgroup_processor_mode: 1
  - .args:
      - .offset:         0
        .size:           4
        .value_kind:     by_value
      - .offset:         4
        .size:           4
        .value_kind:     by_value
      - .offset:         8
        .size:           4
        .value_kind:     by_value
      - .actual_access:  read_only
        .address_space:  global
        .offset:         16
        .size:           8
        .value_kind:     global_buffer
      - .actual_access:  read_only
        .address_space:  global
        .offset:         24
        .size:           8
        .value_kind:     global_buffer
      - .actual_access:  read_only
        .address_space:  global
        .offset:         32
        .size:           8
        .value_kind:     global_buffer
      - .offset:         40
        .size:           4
        .value_kind:     by_value
      - .actual_access:  write_only
        .address_space:  global
        .offset:         48
        .size:           8
        .value_kind:     global_buffer
      - .actual_access:  write_only
        .address_space:  global
        .offset:         56
        .size:           8
        .value_kind:     global_buffer
      - .actual_access:  write_only
        .address_space:  global
        .offset:         64
        .size:           8
        .value_kind:     global_buffer
      - .offset:         72
        .size:           4
        .value_kind:     hidden_block_count_x
      - .offset:         76
        .size:           4
        .value_kind:     hidden_block_count_y
      - .offset:         80
        .size:           4
        .value_kind:     hidden_block_count_z
      - .offset:         84
        .size:           2
        .value_kind:     hidden_group_size_x
      - .offset:         86
        .size:           2
        .value_kind:     hidden_group_size_y
      - .offset:         88
        .size:           2
        .value_kind:     hidden_group_size_z
      - .offset:         90
        .size:           2
        .value_kind:     hidden_remainder_x
      - .offset:         92
        .size:           2
        .value_kind:     hidden_remainder_y
      - .offset:         94
        .size:           2
        .value_kind:     hidden_remainder_z
      - .offset:         112
        .size:           8
        .value_kind:     hidden_global_offset_x
      - .offset:         120
        .size:           8
        .value_kind:     hidden_global_offset_y
      - .offset:         128
        .size:           8
        .value_kind:     hidden_global_offset_z
      - .offset:         136
        .size:           2
        .value_kind:     hidden_grid_dims
    .group_segment_fixed_size: 0
    .kernarg_segment_align: 8
    .kernarg_segment_size: 328
    .language:       OpenCL C
    .language_version:
      - 2
      - 0
    .max_flat_workgroup_size: 1024
    .name:           _ZN9rocsparseL35bsr2csr_block_dim_equals_one_kernelILj1024EdiiEEvT2_S1_21rocsparse_index_base_PKT0_PKT1_PKS1_S2_PS3_PS6_PS1_
    .private_segment_fixed_size: 0
    .sgpr_count:     23
    .sgpr_spill_count: 0
    .symbol:         _ZN9rocsparseL35bsr2csr_block_dim_equals_one_kernelILj1024EdiiEEvT2_S1_21rocsparse_index_base_PKT0_PKT1_PKS1_S2_PS3_PS6_PS1_.kd
    .uniform_work_group_size: 1
    .uses_dynamic_stack: false
    .vgpr_count:     9
    .vgpr_spill_count: 0
    .wavefront_size: 32
    .workgroup_processor_mode: 1
  - .args:
      - .offset:         0
        .size:           4
        .value_kind:     by_value
      - .offset:         4
        .size:           4
        .value_kind:     by_value
      - .offset:         8
        .size:           4
        .value_kind:     by_value
      - .offset:         12
        .size:           4
        .value_kind:     by_value
      - .actual_access:  read_only
        .address_space:  global
        .offset:         16
        .size:           8
        .value_kind:     global_buffer
      - .actual_access:  read_only
        .address_space:  global
        .offset:         24
        .size:           8
        .value_kind:     global_buffer
      - .actual_access:  read_only
        .address_space:  global
        .offset:         32
        .size:           8
        .value_kind:     global_buffer
      - .offset:         40
        .size:           4
        .value_kind:     by_value
      - .offset:         44
        .size:           4
        .value_kind:     by_value
      - .actual_access:  write_only
        .address_space:  global
        .offset:         48
        .size:           8
        .value_kind:     global_buffer
      - .actual_access:  write_only
        .address_space:  global
        .offset:         56
        .size:           8
        .value_kind:     global_buffer
      - .actual_access:  write_only
        .address_space:  global
        .offset:         64
        .size:           8
        .value_kind:     global_buffer
    .group_segment_fixed_size: 0
    .kernarg_segment_align: 8
    .kernarg_segment_size: 72
    .language:       OpenCL C
    .language_version:
      - 2
      - 0
    .max_flat_workgroup_size: 256
    .name:           _ZN9rocsparseL32bsr2csr_block_per_row_2_7_kernelILj256ELj2EdiiEEv20rocsparse_direction_T3_S2_21rocsparse_index_base_PKT1_PKT2_PKS2_S2_S3_PS4_PS7_PS2_
    .private_segment_fixed_size: 0
    .sgpr_count:     16
    .sgpr_spill_count: 0
    .symbol:         _ZN9rocsparseL32bsr2csr_block_per_row_2_7_kernelILj256ELj2EdiiEEv20rocsparse_direction_T3_S2_21rocsparse_index_base_PKT1_PKT2_PKS2_S2_S3_PS4_PS7_PS2_.kd
    .uniform_work_group_size: 1
    .uses_dynamic_stack: false
    .vgpr_count:     17
    .vgpr_spill_count: 0
    .wavefront_size: 32
    .workgroup_processor_mode: 1
  - .args:
      - .offset:         0
        .size:           4
        .value_kind:     by_value
      - .offset:         4
        .size:           4
        .value_kind:     by_value
      - .offset:         8
        .size:           4
        .value_kind:     by_value
      - .offset:         12
        .size:           4
        .value_kind:     by_value
      - .actual_access:  read_only
        .address_space:  global
        .offset:         16
        .size:           8
        .value_kind:     global_buffer
      - .actual_access:  read_only
        .address_space:  global
        .offset:         24
        .size:           8
        .value_kind:     global_buffer
      - .actual_access:  read_only
        .address_space:  global
        .offset:         32
        .size:           8
        .value_kind:     global_buffer
      - .offset:         40
        .size:           4
        .value_kind:     by_value
      - .offset:         44
        .size:           4
        .value_kind:     by_value
      - .actual_access:  write_only
        .address_space:  global
        .offset:         48
        .size:           8
        .value_kind:     global_buffer
      - .actual_access:  write_only
        .address_space:  global
        .offset:         56
        .size:           8
        .value_kind:     global_buffer
      - .actual_access:  write_only
        .address_space:  global
        .offset:         64
        .size:           8
        .value_kind:     global_buffer
    .group_segment_fixed_size: 0
    .kernarg_segment_align: 8
    .kernarg_segment_size: 72
    .language:       OpenCL C
    .language_version:
      - 2
      - 0
    .max_flat_workgroup_size: 256
    .name:           _ZN9rocsparseL32bsr2csr_block_per_row_2_7_kernelILj256ELj3EdiiEEv20rocsparse_direction_T3_S2_21rocsparse_index_base_PKT1_PKT2_PKS2_S2_S3_PS4_PS7_PS2_
    .private_segment_fixed_size: 0
    .sgpr_count:     17
    .sgpr_spill_count: 0
    .symbol:         _ZN9rocsparseL32bsr2csr_block_per_row_2_7_kernelILj256ELj3EdiiEEv20rocsparse_direction_T3_S2_21rocsparse_index_base_PKT1_PKT2_PKS2_S2_S3_PS4_PS7_PS2_.kd
    .uniform_work_group_size: 1
    .uses_dynamic_stack: false
    .vgpr_count:     20
    .vgpr_spill_count: 0
    .wavefront_size: 32
    .workgroup_processor_mode: 1
  - .args:
      - .offset:         0
        .size:           4
        .value_kind:     by_value
      - .offset:         4
        .size:           4
        .value_kind:     by_value
      - .offset:         8
        .size:           4
        .value_kind:     by_value
      - .offset:         12
        .size:           4
        .value_kind:     by_value
      - .actual_access:  read_only
        .address_space:  global
        .offset:         16
        .size:           8
        .value_kind:     global_buffer
      - .actual_access:  read_only
        .address_space:  global
        .offset:         24
        .size:           8
        .value_kind:     global_buffer
      - .actual_access:  read_only
        .address_space:  global
        .offset:         32
        .size:           8
        .value_kind:     global_buffer
      - .offset:         40
        .size:           4
        .value_kind:     by_value
      - .offset:         44
        .size:           4
        .value_kind:     by_value
      - .actual_access:  write_only
        .address_space:  global
        .offset:         48
        .size:           8
        .value_kind:     global_buffer
      - .actual_access:  write_only
        .address_space:  global
        .offset:         56
        .size:           8
        .value_kind:     global_buffer
      - .actual_access:  write_only
        .address_space:  global
        .offset:         64
        .size:           8
        .value_kind:     global_buffer
    .group_segment_fixed_size: 0
    .kernarg_segment_align: 8
    .kernarg_segment_size: 72
    .language:       OpenCL C
    .language_version:
      - 2
      - 0
    .max_flat_workgroup_size: 256
    .name:           _ZN9rocsparseL32bsr2csr_block_per_row_2_7_kernelILj256ELj4EdiiEEv20rocsparse_direction_T3_S2_21rocsparse_index_base_PKT1_PKT2_PKS2_S2_S3_PS4_PS7_PS2_
    .private_segment_fixed_size: 0
    .sgpr_count:     16
    .sgpr_spill_count: 0
    .symbol:         _ZN9rocsparseL32bsr2csr_block_per_row_2_7_kernelILj256ELj4EdiiEEv20rocsparse_direction_T3_S2_21rocsparse_index_base_PKT1_PKT2_PKS2_S2_S3_PS4_PS7_PS2_.kd
    .uniform_work_group_size: 1
    .uses_dynamic_stack: false
    .vgpr_count:     24
    .vgpr_spill_count: 0
    .wavefront_size: 32
    .workgroup_processor_mode: 1
  - .args:
      - .offset:         0
        .size:           4
        .value_kind:     by_value
      - .offset:         4
        .size:           4
        .value_kind:     by_value
      - .offset:         8
        .size:           4
        .value_kind:     by_value
      - .offset:         12
        .size:           4
        .value_kind:     by_value
      - .actual_access:  read_only
        .address_space:  global
        .offset:         16
        .size:           8
        .value_kind:     global_buffer
      - .actual_access:  read_only
        .address_space:  global
        .offset:         24
        .size:           8
        .value_kind:     global_buffer
      - .actual_access:  read_only
        .address_space:  global
        .offset:         32
        .size:           8
        .value_kind:     global_buffer
      - .offset:         40
        .size:           4
        .value_kind:     by_value
      - .offset:         44
        .size:           4
        .value_kind:     by_value
      - .actual_access:  write_only
        .address_space:  global
        .offset:         48
        .size:           8
        .value_kind:     global_buffer
      - .actual_access:  write_only
        .address_space:  global
        .offset:         56
        .size:           8
        .value_kind:     global_buffer
      - .actual_access:  write_only
        .address_space:  global
        .offset:         64
        .size:           8
        .value_kind:     global_buffer
    .group_segment_fixed_size: 0
    .kernarg_segment_align: 8
    .kernarg_segment_size: 72
    .language:       OpenCL C
    .language_version:
      - 2
      - 0
    .max_flat_workgroup_size: 256
    .name:           _ZN9rocsparseL32bsr2csr_block_per_row_2_7_kernelILj256ELj5EdiiEEv20rocsparse_direction_T3_S2_21rocsparse_index_base_PKT1_PKT2_PKS2_S2_S3_PS4_PS7_PS2_
    .private_segment_fixed_size: 0
    .sgpr_count:     17
    .sgpr_spill_count: 0
    .symbol:         _ZN9rocsparseL32bsr2csr_block_per_row_2_7_kernelILj256ELj5EdiiEEv20rocsparse_direction_T3_S2_21rocsparse_index_base_PKT1_PKT2_PKS2_S2_S3_PS4_PS7_PS2_.kd
    .uniform_work_group_size: 1
    .uses_dynamic_stack: false
    .vgpr_count:     25
    .vgpr_spill_count: 0
    .wavefront_size: 32
    .workgroup_processor_mode: 1
  - .args:
      - .offset:         0
        .size:           4
        .value_kind:     by_value
      - .offset:         4
        .size:           4
        .value_kind:     by_value
      - .offset:         8
        .size:           4
        .value_kind:     by_value
      - .offset:         12
        .size:           4
        .value_kind:     by_value
      - .actual_access:  read_only
        .address_space:  global
        .offset:         16
        .size:           8
        .value_kind:     global_buffer
      - .actual_access:  read_only
        .address_space:  global
        .offset:         24
        .size:           8
        .value_kind:     global_buffer
      - .actual_access:  read_only
        .address_space:  global
        .offset:         32
        .size:           8
        .value_kind:     global_buffer
      - .offset:         40
        .size:           4
        .value_kind:     by_value
      - .offset:         44
        .size:           4
        .value_kind:     by_value
      - .actual_access:  write_only
        .address_space:  global
        .offset:         48
        .size:           8
        .value_kind:     global_buffer
      - .actual_access:  write_only
        .address_space:  global
        .offset:         56
        .size:           8
        .value_kind:     global_buffer
      - .actual_access:  write_only
        .address_space:  global
        .offset:         64
        .size:           8
        .value_kind:     global_buffer
    .group_segment_fixed_size: 0
    .kernarg_segment_align: 8
    .kernarg_segment_size: 72
    .language:       OpenCL C
    .language_version:
      - 2
      - 0
    .max_flat_workgroup_size: 256
    .name:           _ZN9rocsparseL32bsr2csr_block_per_row_2_7_kernelILj256ELj6EdiiEEv20rocsparse_direction_T3_S2_21rocsparse_index_base_PKT1_PKT2_PKS2_S2_S3_PS4_PS7_PS2_
    .private_segment_fixed_size: 0
    .sgpr_count:     16
    .sgpr_spill_count: 0
    .symbol:         _ZN9rocsparseL32bsr2csr_block_per_row_2_7_kernelILj256ELj6EdiiEEv20rocsparse_direction_T3_S2_21rocsparse_index_base_PKT1_PKT2_PKS2_S2_S3_PS4_PS7_PS2_.kd
    .uniform_work_group_size: 1
    .uses_dynamic_stack: false
    .vgpr_count:     29
    .vgpr_spill_count: 0
    .wavefront_size: 32
    .workgroup_processor_mode: 1
  - .args:
      - .offset:         0
        .size:           4
        .value_kind:     by_value
      - .offset:         4
        .size:           4
        .value_kind:     by_value
      - .offset:         8
        .size:           4
        .value_kind:     by_value
      - .offset:         12
        .size:           4
        .value_kind:     by_value
      - .actual_access:  read_only
        .address_space:  global
        .offset:         16
        .size:           8
        .value_kind:     global_buffer
      - .actual_access:  read_only
        .address_space:  global
        .offset:         24
        .size:           8
        .value_kind:     global_buffer
      - .actual_access:  read_only
        .address_space:  global
        .offset:         32
        .size:           8
        .value_kind:     global_buffer
      - .offset:         40
        .size:           4
        .value_kind:     by_value
      - .offset:         44
        .size:           4
        .value_kind:     by_value
      - .actual_access:  write_only
        .address_space:  global
        .offset:         48
        .size:           8
        .value_kind:     global_buffer
      - .actual_access:  write_only
        .address_space:  global
        .offset:         56
        .size:           8
        .value_kind:     global_buffer
      - .actual_access:  write_only
        .address_space:  global
        .offset:         64
        .size:           8
        .value_kind:     global_buffer
    .group_segment_fixed_size: 0
    .kernarg_segment_align: 8
    .kernarg_segment_size: 72
    .language:       OpenCL C
    .language_version:
      - 2
      - 0
    .max_flat_workgroup_size: 256
    .name:           _ZN9rocsparseL32bsr2csr_block_per_row_2_7_kernelILj256ELj7EdiiEEv20rocsparse_direction_T3_S2_21rocsparse_index_base_PKT1_PKT2_PKS2_S2_S3_PS4_PS7_PS2_
    .private_segment_fixed_size: 0
    .sgpr_count:     16
    .sgpr_spill_count: 0
    .symbol:         _ZN9rocsparseL32bsr2csr_block_per_row_2_7_kernelILj256ELj7EdiiEEv20rocsparse_direction_T3_S2_21rocsparse_index_base_PKT1_PKT2_PKS2_S2_S3_PS4_PS7_PS2_.kd
    .uniform_work_group_size: 1
    .uses_dynamic_stack: false
    .vgpr_count:     30
    .vgpr_spill_count: 0
    .wavefront_size: 32
    .workgroup_processor_mode: 1
  - .args:
      - .offset:         0
        .size:           4
        .value_kind:     by_value
      - .offset:         4
        .size:           4
        .value_kind:     by_value
      - .offset:         8
        .size:           4
        .value_kind:     by_value
      - .offset:         12
        .size:           4
        .value_kind:     by_value
      - .actual_access:  read_only
        .address_space:  global
        .offset:         16
        .size:           8
        .value_kind:     global_buffer
      - .actual_access:  read_only
        .address_space:  global
        .offset:         24
        .size:           8
        .value_kind:     global_buffer
      - .actual_access:  read_only
        .address_space:  global
        .offset:         32
        .size:           8
        .value_kind:     global_buffer
      - .offset:         40
        .size:           4
        .value_kind:     by_value
      - .offset:         44
        .size:           4
        .value_kind:     by_value
      - .actual_access:  write_only
        .address_space:  global
        .offset:         48
        .size:           8
        .value_kind:     global_buffer
      - .actual_access:  write_only
        .address_space:  global
        .offset:         56
        .size:           8
        .value_kind:     global_buffer
      - .actual_access:  write_only
        .address_space:  global
        .offset:         64
        .size:           8
        .value_kind:     global_buffer
    .group_segment_fixed_size: 0
    .kernarg_segment_align: 8
    .kernarg_segment_size: 72
    .language:       OpenCL C
    .language_version:
      - 2
      - 0
    .max_flat_workgroup_size: 1024
    .name:           _ZN9rocsparseL33bsr2csr_block_per_row_8_32_kernelILj1024ELj8EdiiEEv20rocsparse_direction_T3_S2_21rocsparse_index_base_PKT1_PKT2_PKS2_S2_S3_PS4_PS7_PS2_
    .private_segment_fixed_size: 0
    .sgpr_count:     19
    .sgpr_spill_count: 0
    .symbol:         _ZN9rocsparseL33bsr2csr_block_per_row_8_32_kernelILj1024ELj8EdiiEEv20rocsparse_direction_T3_S2_21rocsparse_index_base_PKT1_PKT2_PKS2_S2_S3_PS4_PS7_PS2_.kd
    .uniform_work_group_size: 1
    .uses_dynamic_stack: false
    .vgpr_count:     15
    .vgpr_spill_count: 0
    .wavefront_size: 32
    .workgroup_processor_mode: 1
  - .args:
      - .offset:         0
        .size:           4
        .value_kind:     by_value
      - .offset:         4
        .size:           4
        .value_kind:     by_value
      - .offset:         8
        .size:           4
        .value_kind:     by_value
      - .offset:         12
        .size:           4
        .value_kind:     by_value
      - .actual_access:  read_only
        .address_space:  global
        .offset:         16
        .size:           8
        .value_kind:     global_buffer
      - .actual_access:  read_only
        .address_space:  global
        .offset:         24
        .size:           8
        .value_kind:     global_buffer
      - .actual_access:  read_only
        .address_space:  global
        .offset:         32
        .size:           8
        .value_kind:     global_buffer
      - .offset:         40
        .size:           4
        .value_kind:     by_value
      - .offset:         44
        .size:           4
        .value_kind:     by_value
      - .actual_access:  write_only
        .address_space:  global
        .offset:         48
        .size:           8
        .value_kind:     global_buffer
      - .actual_access:  write_only
        .address_space:  global
        .offset:         56
        .size:           8
        .value_kind:     global_buffer
      - .actual_access:  write_only
        .address_space:  global
        .offset:         64
        .size:           8
        .value_kind:     global_buffer
    .group_segment_fixed_size: 0
    .kernarg_segment_align: 8
    .kernarg_segment_size: 72
    .language:       OpenCL C
    .language_version:
      - 2
      - 0
    .max_flat_workgroup_size: 1024
    .name:           _ZN9rocsparseL33bsr2csr_block_per_row_8_32_kernelILj1024ELj16EdiiEEv20rocsparse_direction_T3_S2_21rocsparse_index_base_PKT1_PKT2_PKS2_S2_S3_PS4_PS7_PS2_
    .private_segment_fixed_size: 0
    .sgpr_count:     19
    .sgpr_spill_count: 0
    .symbol:         _ZN9rocsparseL33bsr2csr_block_per_row_8_32_kernelILj1024ELj16EdiiEEv20rocsparse_direction_T3_S2_21rocsparse_index_base_PKT1_PKT2_PKS2_S2_S3_PS4_PS7_PS2_.kd
    .uniform_work_group_size: 1
    .uses_dynamic_stack: false
    .vgpr_count:     15
    .vgpr_spill_count: 0
    .wavefront_size: 32
    .workgroup_processor_mode: 1
  - .args:
      - .offset:         0
        .size:           4
        .value_kind:     by_value
      - .offset:         4
        .size:           4
        .value_kind:     by_value
      - .offset:         8
        .size:           4
        .value_kind:     by_value
      - .offset:         12
        .size:           4
        .value_kind:     by_value
      - .actual_access:  read_only
        .address_space:  global
        .offset:         16
        .size:           8
        .value_kind:     global_buffer
      - .actual_access:  read_only
        .address_space:  global
        .offset:         24
        .size:           8
        .value_kind:     global_buffer
      - .actual_access:  read_only
        .address_space:  global
        .offset:         32
        .size:           8
        .value_kind:     global_buffer
      - .offset:         40
        .size:           4
        .value_kind:     by_value
      - .offset:         44
        .size:           4
        .value_kind:     by_value
      - .actual_access:  write_only
        .address_space:  global
        .offset:         48
        .size:           8
        .value_kind:     global_buffer
      - .actual_access:  write_only
        .address_space:  global
        .offset:         56
        .size:           8
        .value_kind:     global_buffer
      - .actual_access:  write_only
        .address_space:  global
        .offset:         64
        .size:           8
        .value_kind:     global_buffer
    .group_segment_fixed_size: 0
    .kernarg_segment_align: 8
    .kernarg_segment_size: 72
    .language:       OpenCL C
    .language_version:
      - 2
      - 0
    .max_flat_workgroup_size: 1024
    .name:           _ZN9rocsparseL33bsr2csr_block_per_row_8_32_kernelILj1024ELj32EdiiEEv20rocsparse_direction_T3_S2_21rocsparse_index_base_PKT1_PKT2_PKS2_S2_S3_PS4_PS7_PS2_
    .private_segment_fixed_size: 0
    .sgpr_count:     20
    .sgpr_spill_count: 0
    .symbol:         _ZN9rocsparseL33bsr2csr_block_per_row_8_32_kernelILj1024ELj32EdiiEEv20rocsparse_direction_T3_S2_21rocsparse_index_base_PKT1_PKT2_PKS2_S2_S3_PS4_PS7_PS2_.kd
    .uniform_work_group_size: 1
    .uses_dynamic_stack: false
    .vgpr_count:     12
    .vgpr_spill_count: 0
    .wavefront_size: 32
    .workgroup_processor_mode: 1
  - .args:
      - .offset:         0
        .size:           4
        .value_kind:     by_value
      - .offset:         4
        .size:           4
        .value_kind:     by_value
      - .offset:         8
        .size:           4
        .value_kind:     by_value
      - .offset:         12
        .size:           4
        .value_kind:     by_value
      - .actual_access:  read_only
        .address_space:  global
        .offset:         16
        .size:           8
        .value_kind:     global_buffer
      - .actual_access:  read_only
        .address_space:  global
        .offset:         24
        .size:           8
        .value_kind:     global_buffer
      - .actual_access:  read_only
        .address_space:  global
        .offset:         32
        .size:           8
        .value_kind:     global_buffer
      - .offset:         40
        .size:           4
        .value_kind:     by_value
      - .offset:         44
        .size:           4
        .value_kind:     by_value
      - .actual_access:  write_only
        .address_space:  global
        .offset:         48
        .size:           8
        .value_kind:     global_buffer
      - .actual_access:  write_only
        .address_space:  global
        .offset:         56
        .size:           8
        .value_kind:     global_buffer
      - .actual_access:  write_only
        .address_space:  global
        .offset:         64
        .size:           8
        .value_kind:     global_buffer
    .group_segment_fixed_size: 0
    .kernarg_segment_align: 8
    .kernarg_segment_size: 72
    .language:       OpenCL C
    .language_version:
      - 2
      - 0
    .max_flat_workgroup_size: 1024
    .name:           _ZN9rocsparseL35bsr2csr_block_per_row_33_256_kernelILj1024ELj64ELj32EdiiEEv20rocsparse_direction_T4_S2_21rocsparse_index_base_PKT2_PKT3_PKS2_S2_S3_PS4_PS7_PS2_
    .private_segment_fixed_size: 0
    .sgpr_count:     26
    .sgpr_spill_count: 0
    .symbol:         _ZN9rocsparseL35bsr2csr_block_per_row_33_256_kernelILj1024ELj64ELj32EdiiEEv20rocsparse_direction_T4_S2_21rocsparse_index_base_PKT2_PKT3_PKS2_S2_S3_PS4_PS7_PS2_.kd
    .uniform_work_group_size: 1
    .uses_dynamic_stack: false
    .vgpr_count:     19
    .vgpr_spill_count: 0
    .wavefront_size: 32
    .workgroup_processor_mode: 1
  - .args:
      - .offset:         0
        .size:           4
        .value_kind:     by_value
      - .offset:         4
        .size:           4
        .value_kind:     by_value
      - .offset:         8
        .size:           4
        .value_kind:     by_value
      - .offset:         12
        .size:           4
        .value_kind:     by_value
      - .actual_access:  read_only
        .address_space:  global
        .offset:         16
        .size:           8
        .value_kind:     global_buffer
      - .actual_access:  read_only
        .address_space:  global
        .offset:         24
        .size:           8
        .value_kind:     global_buffer
      - .actual_access:  read_only
        .address_space:  global
        .offset:         32
        .size:           8
        .value_kind:     global_buffer
      - .offset:         40
        .size:           4
        .value_kind:     by_value
      - .offset:         44
        .size:           4
        .value_kind:     by_value
      - .actual_access:  write_only
        .address_space:  global
        .offset:         48
        .size:           8
        .value_kind:     global_buffer
      - .actual_access:  write_only
        .address_space:  global
        .offset:         56
        .size:           8
        .value_kind:     global_buffer
      - .actual_access:  write_only
        .address_space:  global
        .offset:         64
        .size:           8
        .value_kind:     global_buffer
    .group_segment_fixed_size: 0
    .kernarg_segment_align: 8
    .kernarg_segment_size: 72
    .language:       OpenCL C
    .language_version:
      - 2
      - 0
    .max_flat_workgroup_size: 1024
    .name:           _ZN9rocsparseL35bsr2csr_block_per_row_33_256_kernelILj1024ELj128ELj32EdiiEEv20rocsparse_direction_T4_S2_21rocsparse_index_base_PKT2_PKT3_PKS2_S2_S3_PS4_PS7_PS2_
    .private_segment_fixed_size: 0
    .sgpr_count:     42
    .sgpr_spill_count: 0
    .symbol:         _ZN9rocsparseL35bsr2csr_block_per_row_33_256_kernelILj1024ELj128ELj32EdiiEEv20rocsparse_direction_T4_S2_21rocsparse_index_base_PKT2_PKT3_PKS2_S2_S3_PS4_PS7_PS2_.kd
    .uniform_work_group_size: 1
    .uses_dynamic_stack: false
    .vgpr_count:     30
    .vgpr_spill_count: 0
    .wavefront_size: 32
    .workgroup_processor_mode: 1
  - .args:
      - .offset:         0
        .size:           4
        .value_kind:     by_value
      - .offset:         4
        .size:           4
        .value_kind:     by_value
      - .offset:         8
        .size:           4
        .value_kind:     by_value
      - .offset:         12
        .size:           4
        .value_kind:     by_value
      - .actual_access:  read_only
        .address_space:  global
        .offset:         16
        .size:           8
        .value_kind:     global_buffer
      - .actual_access:  read_only
        .address_space:  global
        .offset:         24
        .size:           8
        .value_kind:     global_buffer
      - .actual_access:  read_only
        .address_space:  global
        .offset:         32
        .size:           8
        .value_kind:     global_buffer
      - .offset:         40
        .size:           4
        .value_kind:     by_value
      - .offset:         44
        .size:           4
        .value_kind:     by_value
      - .actual_access:  write_only
        .address_space:  global
        .offset:         48
        .size:           8
        .value_kind:     global_buffer
      - .actual_access:  write_only
        .address_space:  global
        .offset:         56
        .size:           8
        .value_kind:     global_buffer
      - .actual_access:  write_only
        .address_space:  global
        .offset:         64
        .size:           8
        .value_kind:     global_buffer
    .group_segment_fixed_size: 0
    .kernarg_segment_align: 8
    .kernarg_segment_size: 72
    .language:       OpenCL C
    .language_version:
      - 2
      - 0
    .max_flat_workgroup_size: 1024
    .name:           _ZN9rocsparseL35bsr2csr_block_per_row_33_256_kernelILj1024ELj256ELj32EdiiEEv20rocsparse_direction_T4_S2_21rocsparse_index_base_PKT2_PKT3_PKS2_S2_S3_PS4_PS7_PS2_
    .private_segment_fixed_size: 0
    .sgpr_count:     89
    .sgpr_spill_count: 0
    .symbol:         _ZN9rocsparseL35bsr2csr_block_per_row_33_256_kernelILj1024ELj256ELj32EdiiEEv20rocsparse_direction_T4_S2_21rocsparse_index_base_PKT2_PKT3_PKS2_S2_S3_PS4_PS7_PS2_.kd
    .uniform_work_group_size: 1
    .uses_dynamic_stack: false
    .vgpr_count:     47
    .vgpr_spill_count: 0
    .wavefront_size: 32
    .workgroup_processor_mode: 1
  - .args:
      - .offset:         0
        .size:           4
        .value_kind:     by_value
      - .offset:         4
        .size:           4
        .value_kind:     by_value
      - .offset:         8
        .size:           4
        .value_kind:     by_value
      - .actual_access:  read_only
        .address_space:  global
        .offset:         16
        .size:           8
        .value_kind:     global_buffer
      - .actual_access:  read_only
        .address_space:  global
        .offset:         24
        .size:           8
        .value_kind:     global_buffer
      - .actual_access:  read_only
        .address_space:  global
        .offset:         32
        .size:           8
        .value_kind:     global_buffer
      - .offset:         40
        .size:           4
        .value_kind:     by_value
      - .actual_access:  write_only
        .address_space:  global
        .offset:         48
        .size:           8
        .value_kind:     global_buffer
      - .actual_access:  write_only
        .address_space:  global
        .offset:         56
        .size:           8
        .value_kind:     global_buffer
      - .actual_access:  write_only
        .address_space:  global
        .offset:         64
        .size:           8
        .value_kind:     global_buffer
      - .offset:         72
        .size:           4
        .value_kind:     hidden_block_count_x
      - .offset:         76
        .size:           4
        .value_kind:     hidden_block_count_y
      - .offset:         80
        .size:           4
        .value_kind:     hidden_block_count_z
      - .offset:         84
        .size:           2
        .value_kind:     hidden_group_size_x
      - .offset:         86
        .size:           2
        .value_kind:     hidden_group_size_y
      - .offset:         88
        .size:           2
        .value_kind:     hidden_group_size_z
      - .offset:         90
        .size:           2
        .value_kind:     hidden_remainder_x
      - .offset:         92
        .size:           2
        .value_kind:     hidden_remainder_y
      - .offset:         94
        .size:           2
        .value_kind:     hidden_remainder_z
      - .offset:         112
        .size:           8
        .value_kind:     hidden_global_offset_x
      - .offset:         120
        .size:           8
        .value_kind:     hidden_global_offset_y
      - .offset:         128
        .size:           8
        .value_kind:     hidden_global_offset_z
      - .offset:         136
        .size:           2
        .value_kind:     hidden_grid_dims
    .group_segment_fixed_size: 0
    .kernarg_segment_align: 8
    .kernarg_segment_size: 328
    .language:       OpenCL C
    .language_version:
      - 2
      - 0
    .max_flat_workgroup_size: 1024
    .name:           _ZN9rocsparseL35bsr2csr_block_dim_equals_one_kernelILj1024EdliEEvT2_S1_21rocsparse_index_base_PKT0_PKT1_PKS1_S2_PS3_PS6_PS1_
    .private_segment_fixed_size: 0
    .sgpr_count:     26
    .sgpr_spill_count: 0
    .symbol:         _ZN9rocsparseL35bsr2csr_block_dim_equals_one_kernelILj1024EdliEEvT2_S1_21rocsparse_index_base_PKT0_PKT1_PKS1_S2_PS3_PS6_PS1_.kd
    .uniform_work_group_size: 1
    .uses_dynamic_stack: false
    .vgpr_count:     11
    .vgpr_spill_count: 0
    .wavefront_size: 32
    .workgroup_processor_mode: 1
  - .args:
      - .offset:         0
        .size:           4
        .value_kind:     by_value
      - .offset:         4
        .size:           4
        .value_kind:     by_value
      - .offset:         8
        .size:           4
        .value_kind:     by_value
      - .offset:         12
        .size:           4
        .value_kind:     by_value
      - .actual_access:  read_only
        .address_space:  global
        .offset:         16
        .size:           8
        .value_kind:     global_buffer
      - .actual_access:  read_only
        .address_space:  global
        .offset:         24
        .size:           8
        .value_kind:     global_buffer
      - .actual_access:  read_only
        .address_space:  global
        .offset:         32
        .size:           8
        .value_kind:     global_buffer
      - .offset:         40
        .size:           4
        .value_kind:     by_value
      - .offset:         44
        .size:           4
        .value_kind:     by_value
      - .actual_access:  write_only
        .address_space:  global
        .offset:         48
        .size:           8
        .value_kind:     global_buffer
      - .actual_access:  write_only
        .address_space:  global
        .offset:         56
        .size:           8
        .value_kind:     global_buffer
      - .actual_access:  write_only
        .address_space:  global
        .offset:         64
        .size:           8
        .value_kind:     global_buffer
    .group_segment_fixed_size: 0
    .kernarg_segment_align: 8
    .kernarg_segment_size: 72
    .language:       OpenCL C
    .language_version:
      - 2
      - 0
    .max_flat_workgroup_size: 256
    .name:           _ZN9rocsparseL32bsr2csr_block_per_row_2_7_kernelILj256ELj2EdliEEv20rocsparse_direction_T3_S2_21rocsparse_index_base_PKT1_PKT2_PKS2_S2_S3_PS4_PS7_PS2_
    .private_segment_fixed_size: 0
    .sgpr_count:     20
    .sgpr_spill_count: 0
    .symbol:         _ZN9rocsparseL32bsr2csr_block_per_row_2_7_kernelILj256ELj2EdliEEv20rocsparse_direction_T3_S2_21rocsparse_index_base_PKT1_PKT2_PKS2_S2_S3_PS4_PS7_PS2_.kd
    .uniform_work_group_size: 1
    .uses_dynamic_stack: false
    .vgpr_count:     21
    .vgpr_spill_count: 0
    .wavefront_size: 32
    .workgroup_processor_mode: 1
  - .args:
      - .offset:         0
        .size:           4
        .value_kind:     by_value
      - .offset:         4
        .size:           4
        .value_kind:     by_value
      - .offset:         8
        .size:           4
        .value_kind:     by_value
      - .offset:         12
        .size:           4
        .value_kind:     by_value
      - .actual_access:  read_only
        .address_space:  global
        .offset:         16
        .size:           8
        .value_kind:     global_buffer
      - .actual_access:  read_only
        .address_space:  global
        .offset:         24
        .size:           8
        .value_kind:     global_buffer
      - .actual_access:  read_only
        .address_space:  global
        .offset:         32
        .size:           8
        .value_kind:     global_buffer
      - .offset:         40
        .size:           4
        .value_kind:     by_value
      - .offset:         44
        .size:           4
        .value_kind:     by_value
      - .actual_access:  write_only
        .address_space:  global
        .offset:         48
        .size:           8
        .value_kind:     global_buffer
      - .actual_access:  write_only
        .address_space:  global
        .offset:         56
        .size:           8
        .value_kind:     global_buffer
      - .actual_access:  write_only
        .address_space:  global
        .offset:         64
        .size:           8
        .value_kind:     global_buffer
    .group_segment_fixed_size: 0
    .kernarg_segment_align: 8
    .kernarg_segment_size: 72
    .language:       OpenCL C
    .language_version:
      - 2
      - 0
    .max_flat_workgroup_size: 256
    .name:           _ZN9rocsparseL32bsr2csr_block_per_row_2_7_kernelILj256ELj3EdliEEv20rocsparse_direction_T3_S2_21rocsparse_index_base_PKT1_PKT2_PKS2_S2_S3_PS4_PS7_PS2_
    .private_segment_fixed_size: 0
    .sgpr_count:     17
    .sgpr_spill_count: 0
    .symbol:         _ZN9rocsparseL32bsr2csr_block_per_row_2_7_kernelILj256ELj3EdliEEv20rocsparse_direction_T3_S2_21rocsparse_index_base_PKT1_PKT2_PKS2_S2_S3_PS4_PS7_PS2_.kd
    .uniform_work_group_size: 1
    .uses_dynamic_stack: false
    .vgpr_count:     25
    .vgpr_spill_count: 0
    .wavefront_size: 32
    .workgroup_processor_mode: 1
  - .args:
      - .offset:         0
        .size:           4
        .value_kind:     by_value
      - .offset:         4
        .size:           4
        .value_kind:     by_value
      - .offset:         8
        .size:           4
        .value_kind:     by_value
      - .offset:         12
        .size:           4
        .value_kind:     by_value
      - .actual_access:  read_only
        .address_space:  global
        .offset:         16
        .size:           8
        .value_kind:     global_buffer
      - .actual_access:  read_only
        .address_space:  global
        .offset:         24
        .size:           8
        .value_kind:     global_buffer
      - .actual_access:  read_only
        .address_space:  global
        .offset:         32
        .size:           8
        .value_kind:     global_buffer
      - .offset:         40
        .size:           4
        .value_kind:     by_value
      - .offset:         44
        .size:           4
        .value_kind:     by_value
      - .actual_access:  write_only
        .address_space:  global
        .offset:         48
        .size:           8
        .value_kind:     global_buffer
      - .actual_access:  write_only
        .address_space:  global
        .offset:         56
        .size:           8
        .value_kind:     global_buffer
      - .actual_access:  write_only
        .address_space:  global
        .offset:         64
        .size:           8
        .value_kind:     global_buffer
    .group_segment_fixed_size: 0
    .kernarg_segment_align: 8
    .kernarg_segment_size: 72
    .language:       OpenCL C
    .language_version:
      - 2
      - 0
    .max_flat_workgroup_size: 256
    .name:           _ZN9rocsparseL32bsr2csr_block_per_row_2_7_kernelILj256ELj4EdliEEv20rocsparse_direction_T3_S2_21rocsparse_index_base_PKT1_PKT2_PKS2_S2_S3_PS4_PS7_PS2_
    .private_segment_fixed_size: 0
    .sgpr_count:     22
    .sgpr_spill_count: 0
    .symbol:         _ZN9rocsparseL32bsr2csr_block_per_row_2_7_kernelILj256ELj4EdliEEv20rocsparse_direction_T3_S2_21rocsparse_index_base_PKT1_PKT2_PKS2_S2_S3_PS4_PS7_PS2_.kd
    .uniform_work_group_size: 1
    .uses_dynamic_stack: false
    .vgpr_count:     31
    .vgpr_spill_count: 0
    .wavefront_size: 32
    .workgroup_processor_mode: 1
  - .args:
      - .offset:         0
        .size:           4
        .value_kind:     by_value
      - .offset:         4
        .size:           4
        .value_kind:     by_value
      - .offset:         8
        .size:           4
        .value_kind:     by_value
      - .offset:         12
        .size:           4
        .value_kind:     by_value
      - .actual_access:  read_only
        .address_space:  global
        .offset:         16
        .size:           8
        .value_kind:     global_buffer
      - .actual_access:  read_only
        .address_space:  global
        .offset:         24
        .size:           8
        .value_kind:     global_buffer
      - .actual_access:  read_only
        .address_space:  global
        .offset:         32
        .size:           8
        .value_kind:     global_buffer
      - .offset:         40
        .size:           4
        .value_kind:     by_value
      - .offset:         44
        .size:           4
        .value_kind:     by_value
      - .actual_access:  write_only
        .address_space:  global
        .offset:         48
        .size:           8
        .value_kind:     global_buffer
      - .actual_access:  write_only
        .address_space:  global
        .offset:         56
        .size:           8
        .value_kind:     global_buffer
      - .actual_access:  write_only
        .address_space:  global
        .offset:         64
        .size:           8
        .value_kind:     global_buffer
    .group_segment_fixed_size: 0
    .kernarg_segment_align: 8
    .kernarg_segment_size: 72
    .language:       OpenCL C
    .language_version:
      - 2
      - 0
    .max_flat_workgroup_size: 256
    .name:           _ZN9rocsparseL32bsr2csr_block_per_row_2_7_kernelILj256ELj5EdliEEv20rocsparse_direction_T3_S2_21rocsparse_index_base_PKT1_PKT2_PKS2_S2_S3_PS4_PS7_PS2_
    .private_segment_fixed_size: 0
    .sgpr_count:     17
    .sgpr_spill_count: 0
    .symbol:         _ZN9rocsparseL32bsr2csr_block_per_row_2_7_kernelILj256ELj5EdliEEv20rocsparse_direction_T3_S2_21rocsparse_index_base_PKT1_PKT2_PKS2_S2_S3_PS4_PS7_PS2_.kd
    .uniform_work_group_size: 1
    .uses_dynamic_stack: false
    .vgpr_count:     35
    .vgpr_spill_count: 0
    .wavefront_size: 32
    .workgroup_processor_mode: 1
  - .args:
      - .offset:         0
        .size:           4
        .value_kind:     by_value
      - .offset:         4
        .size:           4
        .value_kind:     by_value
      - .offset:         8
        .size:           4
        .value_kind:     by_value
      - .offset:         12
        .size:           4
        .value_kind:     by_value
      - .actual_access:  read_only
        .address_space:  global
        .offset:         16
        .size:           8
        .value_kind:     global_buffer
      - .actual_access:  read_only
        .address_space:  global
        .offset:         24
        .size:           8
        .value_kind:     global_buffer
      - .actual_access:  read_only
        .address_space:  global
        .offset:         32
        .size:           8
        .value_kind:     global_buffer
      - .offset:         40
        .size:           4
        .value_kind:     by_value
      - .offset:         44
        .size:           4
        .value_kind:     by_value
      - .actual_access:  write_only
        .address_space:  global
        .offset:         48
        .size:           8
        .value_kind:     global_buffer
      - .actual_access:  write_only
        .address_space:  global
        .offset:         56
        .size:           8
        .value_kind:     global_buffer
      - .actual_access:  write_only
        .address_space:  global
        .offset:         64
        .size:           8
        .value_kind:     global_buffer
    .group_segment_fixed_size: 0
    .kernarg_segment_align: 8
    .kernarg_segment_size: 72
    .language:       OpenCL C
    .language_version:
      - 2
      - 0
    .max_flat_workgroup_size: 256
    .name:           _ZN9rocsparseL32bsr2csr_block_per_row_2_7_kernelILj256ELj6EdliEEv20rocsparse_direction_T3_S2_21rocsparse_index_base_PKT1_PKT2_PKS2_S2_S3_PS4_PS7_PS2_
    .private_segment_fixed_size: 0
    .sgpr_count:     17
    .sgpr_spill_count: 0
    .symbol:         _ZN9rocsparseL32bsr2csr_block_per_row_2_7_kernelILj256ELj6EdliEEv20rocsparse_direction_T3_S2_21rocsparse_index_base_PKT1_PKT2_PKS2_S2_S3_PS4_PS7_PS2_.kd
    .uniform_work_group_size: 1
    .uses_dynamic_stack: false
    .vgpr_count:     39
    .vgpr_spill_count: 0
    .wavefront_size: 32
    .workgroup_processor_mode: 1
  - .args:
      - .offset:         0
        .size:           4
        .value_kind:     by_value
      - .offset:         4
        .size:           4
        .value_kind:     by_value
      - .offset:         8
        .size:           4
        .value_kind:     by_value
      - .offset:         12
        .size:           4
        .value_kind:     by_value
      - .actual_access:  read_only
        .address_space:  global
        .offset:         16
        .size:           8
        .value_kind:     global_buffer
      - .actual_access:  read_only
        .address_space:  global
        .offset:         24
        .size:           8
        .value_kind:     global_buffer
      - .actual_access:  read_only
        .address_space:  global
        .offset:         32
        .size:           8
        .value_kind:     global_buffer
      - .offset:         40
        .size:           4
        .value_kind:     by_value
      - .offset:         44
        .size:           4
        .value_kind:     by_value
      - .actual_access:  write_only
        .address_space:  global
        .offset:         48
        .size:           8
        .value_kind:     global_buffer
      - .actual_access:  write_only
        .address_space:  global
        .offset:         56
        .size:           8
        .value_kind:     global_buffer
      - .actual_access:  write_only
        .address_space:  global
        .offset:         64
        .size:           8
        .value_kind:     global_buffer
    .group_segment_fixed_size: 0
    .kernarg_segment_align: 8
    .kernarg_segment_size: 72
    .language:       OpenCL C
    .language_version:
      - 2
      - 0
    .max_flat_workgroup_size: 256
    .name:           _ZN9rocsparseL32bsr2csr_block_per_row_2_7_kernelILj256ELj7EdliEEv20rocsparse_direction_T3_S2_21rocsparse_index_base_PKT1_PKT2_PKS2_S2_S3_PS4_PS7_PS2_
    .private_segment_fixed_size: 0
    .sgpr_count:     17
    .sgpr_spill_count: 0
    .symbol:         _ZN9rocsparseL32bsr2csr_block_per_row_2_7_kernelILj256ELj7EdliEEv20rocsparse_direction_T3_S2_21rocsparse_index_base_PKT1_PKT2_PKS2_S2_S3_PS4_PS7_PS2_.kd
    .uniform_work_group_size: 1
    .uses_dynamic_stack: false
    .vgpr_count:     43
    .vgpr_spill_count: 0
    .wavefront_size: 32
    .workgroup_processor_mode: 1
  - .args:
      - .offset:         0
        .size:           4
        .value_kind:     by_value
      - .offset:         4
        .size:           4
        .value_kind:     by_value
      - .offset:         8
        .size:           4
        .value_kind:     by_value
      - .offset:         12
        .size:           4
        .value_kind:     by_value
      - .actual_access:  read_only
        .address_space:  global
        .offset:         16
        .size:           8
        .value_kind:     global_buffer
      - .actual_access:  read_only
        .address_space:  global
        .offset:         24
        .size:           8
        .value_kind:     global_buffer
      - .actual_access:  read_only
        .address_space:  global
        .offset:         32
        .size:           8
        .value_kind:     global_buffer
      - .offset:         40
        .size:           4
        .value_kind:     by_value
      - .offset:         44
        .size:           4
        .value_kind:     by_value
      - .actual_access:  write_only
        .address_space:  global
        .offset:         48
        .size:           8
        .value_kind:     global_buffer
      - .actual_access:  write_only
        .address_space:  global
        .offset:         56
        .size:           8
        .value_kind:     global_buffer
      - .actual_access:  write_only
        .address_space:  global
        .offset:         64
        .size:           8
        .value_kind:     global_buffer
    .group_segment_fixed_size: 0
    .kernarg_segment_align: 8
    .kernarg_segment_size: 72
    .language:       OpenCL C
    .language_version:
      - 2
      - 0
    .max_flat_workgroup_size: 1024
    .name:           _ZN9rocsparseL33bsr2csr_block_per_row_8_32_kernelILj1024ELj8EdliEEv20rocsparse_direction_T3_S2_21rocsparse_index_base_PKT1_PKT2_PKS2_S2_S3_PS4_PS7_PS2_
    .private_segment_fixed_size: 0
    .sgpr_count:     24
    .sgpr_spill_count: 0
    .symbol:         _ZN9rocsparseL33bsr2csr_block_per_row_8_32_kernelILj1024ELj8EdliEEv20rocsparse_direction_T3_S2_21rocsparse_index_base_PKT1_PKT2_PKS2_S2_S3_PS4_PS7_PS2_.kd
    .uniform_work_group_size: 1
    .uses_dynamic_stack: false
    .vgpr_count:     17
    .vgpr_spill_count: 0
    .wavefront_size: 32
    .workgroup_processor_mode: 1
  - .args:
      - .offset:         0
        .size:           4
        .value_kind:     by_value
      - .offset:         4
        .size:           4
        .value_kind:     by_value
      - .offset:         8
        .size:           4
        .value_kind:     by_value
      - .offset:         12
        .size:           4
        .value_kind:     by_value
      - .actual_access:  read_only
        .address_space:  global
        .offset:         16
        .size:           8
        .value_kind:     global_buffer
      - .actual_access:  read_only
        .address_space:  global
        .offset:         24
        .size:           8
        .value_kind:     global_buffer
      - .actual_access:  read_only
        .address_space:  global
        .offset:         32
        .size:           8
        .value_kind:     global_buffer
      - .offset:         40
        .size:           4
        .value_kind:     by_value
      - .offset:         44
        .size:           4
        .value_kind:     by_value
      - .actual_access:  write_only
        .address_space:  global
        .offset:         48
        .size:           8
        .value_kind:     global_buffer
      - .actual_access:  write_only
        .address_space:  global
        .offset:         56
        .size:           8
        .value_kind:     global_buffer
      - .actual_access:  write_only
        .address_space:  global
        .offset:         64
        .size:           8
        .value_kind:     global_buffer
    .group_segment_fixed_size: 0
    .kernarg_segment_align: 8
    .kernarg_segment_size: 72
    .language:       OpenCL C
    .language_version:
      - 2
      - 0
    .max_flat_workgroup_size: 1024
    .name:           _ZN9rocsparseL33bsr2csr_block_per_row_8_32_kernelILj1024ELj16EdliEEv20rocsparse_direction_T3_S2_21rocsparse_index_base_PKT1_PKT2_PKS2_S2_S3_PS4_PS7_PS2_
    .private_segment_fixed_size: 0
    .sgpr_count:     24
    .sgpr_spill_count: 0
    .symbol:         _ZN9rocsparseL33bsr2csr_block_per_row_8_32_kernelILj1024ELj16EdliEEv20rocsparse_direction_T3_S2_21rocsparse_index_base_PKT1_PKT2_PKS2_S2_S3_PS4_PS7_PS2_.kd
    .uniform_work_group_size: 1
    .uses_dynamic_stack: false
    .vgpr_count:     17
    .vgpr_spill_count: 0
    .wavefront_size: 32
    .workgroup_processor_mode: 1
  - .args:
      - .offset:         0
        .size:           4
        .value_kind:     by_value
      - .offset:         4
        .size:           4
        .value_kind:     by_value
      - .offset:         8
        .size:           4
        .value_kind:     by_value
      - .offset:         12
        .size:           4
        .value_kind:     by_value
      - .actual_access:  read_only
        .address_space:  global
        .offset:         16
        .size:           8
        .value_kind:     global_buffer
      - .actual_access:  read_only
        .address_space:  global
        .offset:         24
        .size:           8
        .value_kind:     global_buffer
      - .actual_access:  read_only
        .address_space:  global
        .offset:         32
        .size:           8
        .value_kind:     global_buffer
      - .offset:         40
        .size:           4
        .value_kind:     by_value
      - .offset:         44
        .size:           4
        .value_kind:     by_value
      - .actual_access:  write_only
        .address_space:  global
        .offset:         48
        .size:           8
        .value_kind:     global_buffer
      - .actual_access:  write_only
        .address_space:  global
        .offset:         56
        .size:           8
        .value_kind:     global_buffer
      - .actual_access:  write_only
        .address_space:  global
        .offset:         64
        .size:           8
        .value_kind:     global_buffer
    .group_segment_fixed_size: 0
    .kernarg_segment_align: 8
    .kernarg_segment_size: 72
    .language:       OpenCL C
    .language_version:
      - 2
      - 0
    .max_flat_workgroup_size: 1024
    .name:           _ZN9rocsparseL33bsr2csr_block_per_row_8_32_kernelILj1024ELj32EdliEEv20rocsparse_direction_T3_S2_21rocsparse_index_base_PKT1_PKT2_PKS2_S2_S3_PS4_PS7_PS2_
    .private_segment_fixed_size: 0
    .sgpr_count:     29
    .sgpr_spill_count: 0
    .symbol:         _ZN9rocsparseL33bsr2csr_block_per_row_8_32_kernelILj1024ELj32EdliEEv20rocsparse_direction_T3_S2_21rocsparse_index_base_PKT1_PKT2_PKS2_S2_S3_PS4_PS7_PS2_.kd
    .uniform_work_group_size: 1
    .uses_dynamic_stack: false
    .vgpr_count:     11
    .vgpr_spill_count: 0
    .wavefront_size: 32
    .workgroup_processor_mode: 1
  - .args:
      - .offset:         0
        .size:           4
        .value_kind:     by_value
      - .offset:         4
        .size:           4
        .value_kind:     by_value
      - .offset:         8
        .size:           4
        .value_kind:     by_value
      - .offset:         12
        .size:           4
        .value_kind:     by_value
      - .actual_access:  read_only
        .address_space:  global
        .offset:         16
        .size:           8
        .value_kind:     global_buffer
      - .actual_access:  read_only
        .address_space:  global
        .offset:         24
        .size:           8
        .value_kind:     global_buffer
      - .actual_access:  read_only
        .address_space:  global
        .offset:         32
        .size:           8
        .value_kind:     global_buffer
      - .offset:         40
        .size:           4
        .value_kind:     by_value
      - .offset:         44
        .size:           4
        .value_kind:     by_value
      - .actual_access:  write_only
        .address_space:  global
        .offset:         48
        .size:           8
        .value_kind:     global_buffer
      - .actual_access:  write_only
        .address_space:  global
        .offset:         56
        .size:           8
        .value_kind:     global_buffer
      - .actual_access:  write_only
        .address_space:  global
        .offset:         64
        .size:           8
        .value_kind:     global_buffer
    .group_segment_fixed_size: 0
    .kernarg_segment_align: 8
    .kernarg_segment_size: 72
    .language:       OpenCL C
    .language_version:
      - 2
      - 0
    .max_flat_workgroup_size: 1024
    .name:           _ZN9rocsparseL35bsr2csr_block_per_row_33_256_kernelILj1024ELj64ELj32EdliEEv20rocsparse_direction_T4_S2_21rocsparse_index_base_PKT2_PKT3_PKS2_S2_S3_PS4_PS7_PS2_
    .private_segment_fixed_size: 0
    .sgpr_count:     38
    .sgpr_spill_count: 0
    .symbol:         _ZN9rocsparseL35bsr2csr_block_per_row_33_256_kernelILj1024ELj64ELj32EdliEEv20rocsparse_direction_T4_S2_21rocsparse_index_base_PKT2_PKT3_PKS2_S2_S3_PS4_PS7_PS2_.kd
    .uniform_work_group_size: 1
    .uses_dynamic_stack: false
    .vgpr_count:     28
    .vgpr_spill_count: 0
    .wavefront_size: 32
    .workgroup_processor_mode: 1
  - .args:
      - .offset:         0
        .size:           4
        .value_kind:     by_value
      - .offset:         4
        .size:           4
        .value_kind:     by_value
      - .offset:         8
        .size:           4
        .value_kind:     by_value
      - .offset:         12
        .size:           4
        .value_kind:     by_value
      - .actual_access:  read_only
        .address_space:  global
        .offset:         16
        .size:           8
        .value_kind:     global_buffer
      - .actual_access:  read_only
        .address_space:  global
        .offset:         24
        .size:           8
        .value_kind:     global_buffer
      - .actual_access:  read_only
        .address_space:  global
        .offset:         32
        .size:           8
        .value_kind:     global_buffer
      - .offset:         40
        .size:           4
        .value_kind:     by_value
      - .offset:         44
        .size:           4
        .value_kind:     by_value
      - .actual_access:  write_only
        .address_space:  global
        .offset:         48
        .size:           8
        .value_kind:     global_buffer
      - .actual_access:  write_only
        .address_space:  global
        .offset:         56
        .size:           8
        .value_kind:     global_buffer
      - .actual_access:  write_only
        .address_space:  global
        .offset:         64
        .size:           8
        .value_kind:     global_buffer
    .group_segment_fixed_size: 0
    .kernarg_segment_align: 8
    .kernarg_segment_size: 72
    .language:       OpenCL C
    .language_version:
      - 2
      - 0
    .max_flat_workgroup_size: 1024
    .name:           _ZN9rocsparseL35bsr2csr_block_per_row_33_256_kernelILj1024ELj128ELj32EdliEEv20rocsparse_direction_T4_S2_21rocsparse_index_base_PKT2_PKT3_PKS2_S2_S3_PS4_PS7_PS2_
    .private_segment_fixed_size: 0
    .sgpr_count:     52
    .sgpr_spill_count: 0
    .symbol:         _ZN9rocsparseL35bsr2csr_block_per_row_33_256_kernelILj1024ELj128ELj32EdliEEv20rocsparse_direction_T4_S2_21rocsparse_index_base_PKT2_PKT3_PKS2_S2_S3_PS4_PS7_PS2_.kd
    .uniform_work_group_size: 1
    .uses_dynamic_stack: false
    .vgpr_count:     46
    .vgpr_spill_count: 0
    .wavefront_size: 32
    .workgroup_processor_mode: 1
  - .args:
      - .offset:         0
        .size:           4
        .value_kind:     by_value
      - .offset:         4
        .size:           4
        .value_kind:     by_value
      - .offset:         8
        .size:           4
        .value_kind:     by_value
      - .offset:         12
        .size:           4
        .value_kind:     by_value
      - .actual_access:  read_only
        .address_space:  global
        .offset:         16
        .size:           8
        .value_kind:     global_buffer
      - .actual_access:  read_only
        .address_space:  global
        .offset:         24
        .size:           8
        .value_kind:     global_buffer
      - .actual_access:  read_only
        .address_space:  global
        .offset:         32
        .size:           8
        .value_kind:     global_buffer
      - .offset:         40
        .size:           4
        .value_kind:     by_value
      - .offset:         44
        .size:           4
        .value_kind:     by_value
      - .actual_access:  write_only
        .address_space:  global
        .offset:         48
        .size:           8
        .value_kind:     global_buffer
      - .actual_access:  write_only
        .address_space:  global
        .offset:         56
        .size:           8
        .value_kind:     global_buffer
      - .actual_access:  write_only
        .address_space:  global
        .offset:         64
        .size:           8
        .value_kind:     global_buffer
    .group_segment_fixed_size: 0
    .kernarg_segment_align: 8
    .kernarg_segment_size: 72
    .language:       OpenCL C
    .language_version:
      - 2
      - 0
    .max_flat_workgroup_size: 1024
    .name:           _ZN9rocsparseL35bsr2csr_block_per_row_33_256_kernelILj1024ELj256ELj32EdliEEv20rocsparse_direction_T4_S2_21rocsparse_index_base_PKT2_PKT3_PKS2_S2_S3_PS4_PS7_PS2_
    .private_segment_fixed_size: 0
    .sgpr_count:     94
    .sgpr_spill_count: 0
    .symbol:         _ZN9rocsparseL35bsr2csr_block_per_row_33_256_kernelILj1024ELj256ELj32EdliEEv20rocsparse_direction_T4_S2_21rocsparse_index_base_PKT2_PKT3_PKS2_S2_S3_PS4_PS7_PS2_.kd
    .uniform_work_group_size: 1
    .uses_dynamic_stack: false
    .vgpr_count:     78
    .vgpr_spill_count: 0
    .wavefront_size: 32
    .workgroup_processor_mode: 1
  - .args:
      - .offset:         0
        .size:           8
        .value_kind:     by_value
      - .offset:         8
        .size:           8
        .value_kind:     by_value
      - .offset:         16
        .size:           4
        .value_kind:     by_value
      - .actual_access:  read_only
        .address_space:  global
        .offset:         24
        .size:           8
        .value_kind:     global_buffer
      - .actual_access:  read_only
        .address_space:  global
        .offset:         32
        .size:           8
        .value_kind:     global_buffer
      - .actual_access:  read_only
        .address_space:  global
        .offset:         40
        .size:           8
        .value_kind:     global_buffer
      - .offset:         48
        .size:           4
        .value_kind:     by_value
      - .actual_access:  write_only
        .address_space:  global
        .offset:         56
        .size:           8
        .value_kind:     global_buffer
      - .actual_access:  write_only
        .address_space:  global
        .offset:         64
        .size:           8
        .value_kind:     global_buffer
      - .actual_access:  write_only
        .address_space:  global
        .offset:         72
        .size:           8
        .value_kind:     global_buffer
      - .offset:         80
        .size:           4
        .value_kind:     hidden_block_count_x
      - .offset:         84
        .size:           4
        .value_kind:     hidden_block_count_y
      - .offset:         88
        .size:           4
        .value_kind:     hidden_block_count_z
      - .offset:         92
        .size:           2
        .value_kind:     hidden_group_size_x
      - .offset:         94
        .size:           2
        .value_kind:     hidden_group_size_y
      - .offset:         96
        .size:           2
        .value_kind:     hidden_group_size_z
      - .offset:         98
        .size:           2
        .value_kind:     hidden_remainder_x
      - .offset:         100
        .size:           2
        .value_kind:     hidden_remainder_y
      - .offset:         102
        .size:           2
        .value_kind:     hidden_remainder_z
      - .offset:         120
        .size:           8
        .value_kind:     hidden_global_offset_x
      - .offset:         128
        .size:           8
        .value_kind:     hidden_global_offset_y
      - .offset:         136
        .size:           8
        .value_kind:     hidden_global_offset_z
      - .offset:         144
        .size:           2
        .value_kind:     hidden_grid_dims
    .group_segment_fixed_size: 0
    .kernarg_segment_align: 8
    .kernarg_segment_size: 336
    .language:       OpenCL C
    .language_version:
      - 2
      - 0
    .max_flat_workgroup_size: 1024
    .name:           _ZN9rocsparseL35bsr2csr_block_dim_equals_one_kernelILj1024EdilEEvT2_S1_21rocsparse_index_base_PKT0_PKT1_PKS1_S2_PS3_PS6_PS1_
    .private_segment_fixed_size: 0
    .sgpr_count:     24
    .sgpr_spill_count: 0
    .symbol:         _ZN9rocsparseL35bsr2csr_block_dim_equals_one_kernelILj1024EdilEEvT2_S1_21rocsparse_index_base_PKT0_PKT1_PKS1_S2_PS3_PS6_PS1_.kd
    .uniform_work_group_size: 1
    .uses_dynamic_stack: false
    .vgpr_count:     12
    .vgpr_spill_count: 0
    .wavefront_size: 32
    .workgroup_processor_mode: 1
  - .args:
      - .offset:         0
        .size:           4
        .value_kind:     by_value
      - .offset:         8
        .size:           8
        .value_kind:     by_value
      - .offset:         16
        .size:           8
        .value_kind:     by_value
      - .offset:         24
        .size:           4
        .value_kind:     by_value
      - .actual_access:  read_only
        .address_space:  global
        .offset:         32
        .size:           8
        .value_kind:     global_buffer
      - .actual_access:  read_only
        .address_space:  global
        .offset:         40
        .size:           8
        .value_kind:     global_buffer
      - .actual_access:  read_only
        .address_space:  global
        .offset:         48
        .size:           8
        .value_kind:     global_buffer
      - .offset:         56
        .size:           8
        .value_kind:     by_value
      - .offset:         64
        .size:           4
        .value_kind:     by_value
      - .actual_access:  write_only
        .address_space:  global
        .offset:         72
        .size:           8
        .value_kind:     global_buffer
      - .actual_access:  write_only
        .address_space:  global
        .offset:         80
        .size:           8
        .value_kind:     global_buffer
      - .actual_access:  write_only
        .address_space:  global
        .offset:         88
        .size:           8
        .value_kind:     global_buffer
    .group_segment_fixed_size: 0
    .kernarg_segment_align: 8
    .kernarg_segment_size: 96
    .language:       OpenCL C
    .language_version:
      - 2
      - 0
    .max_flat_workgroup_size: 256
    .name:           _ZN9rocsparseL32bsr2csr_block_per_row_2_7_kernelILj256ELj2EdilEEv20rocsparse_direction_T3_S2_21rocsparse_index_base_PKT1_PKT2_PKS2_S2_S3_PS4_PS7_PS2_
    .private_segment_fixed_size: 0
    .sgpr_count:     17
    .sgpr_spill_count: 0
    .symbol:         _ZN9rocsparseL32bsr2csr_block_per_row_2_7_kernelILj256ELj2EdilEEv20rocsparse_direction_T3_S2_21rocsparse_index_base_PKT1_PKT2_PKS2_S2_S3_PS4_PS7_PS2_.kd
    .uniform_work_group_size: 1
    .uses_dynamic_stack: false
    .vgpr_count:     21
    .vgpr_spill_count: 0
    .wavefront_size: 32
    .workgroup_processor_mode: 1
  - .args:
      - .offset:         0
        .size:           4
        .value_kind:     by_value
      - .offset:         8
        .size:           8
        .value_kind:     by_value
      - .offset:         16
        .size:           8
        .value_kind:     by_value
      - .offset:         24
        .size:           4
        .value_kind:     by_value
      - .actual_access:  read_only
        .address_space:  global
        .offset:         32
        .size:           8
        .value_kind:     global_buffer
      - .actual_access:  read_only
        .address_space:  global
        .offset:         40
        .size:           8
        .value_kind:     global_buffer
      - .actual_access:  read_only
        .address_space:  global
        .offset:         48
        .size:           8
        .value_kind:     global_buffer
      - .offset:         56
        .size:           8
        .value_kind:     by_value
      - .offset:         64
        .size:           4
        .value_kind:     by_value
      - .actual_access:  write_only
        .address_space:  global
        .offset:         72
        .size:           8
        .value_kind:     global_buffer
      - .actual_access:  write_only
        .address_space:  global
        .offset:         80
        .size:           8
        .value_kind:     global_buffer
      - .actual_access:  write_only
        .address_space:  global
        .offset:         88
        .size:           8
        .value_kind:     global_buffer
    .group_segment_fixed_size: 0
    .kernarg_segment_align: 8
    .kernarg_segment_size: 96
    .language:       OpenCL C
    .language_version:
      - 2
      - 0
    .max_flat_workgroup_size: 256
    .name:           _ZN9rocsparseL32bsr2csr_block_per_row_2_7_kernelILj256ELj3EdilEEv20rocsparse_direction_T3_S2_21rocsparse_index_base_PKT1_PKT2_PKS2_S2_S3_PS4_PS7_PS2_
    .private_segment_fixed_size: 0
    .sgpr_count:     16
    .sgpr_spill_count: 0
    .symbol:         _ZN9rocsparseL32bsr2csr_block_per_row_2_7_kernelILj256ELj3EdilEEv20rocsparse_direction_T3_S2_21rocsparse_index_base_PKT1_PKT2_PKS2_S2_S3_PS4_PS7_PS2_.kd
    .uniform_work_group_size: 1
    .uses_dynamic_stack: false
    .vgpr_count:     26
    .vgpr_spill_count: 0
    .wavefront_size: 32
    .workgroup_processor_mode: 1
  - .args:
      - .offset:         0
        .size:           4
        .value_kind:     by_value
      - .offset:         8
        .size:           8
        .value_kind:     by_value
      - .offset:         16
        .size:           8
        .value_kind:     by_value
      - .offset:         24
        .size:           4
        .value_kind:     by_value
      - .actual_access:  read_only
        .address_space:  global
        .offset:         32
        .size:           8
        .value_kind:     global_buffer
      - .actual_access:  read_only
        .address_space:  global
        .offset:         40
        .size:           8
        .value_kind:     global_buffer
      - .actual_access:  read_only
        .address_space:  global
        .offset:         48
        .size:           8
        .value_kind:     global_buffer
      - .offset:         56
        .size:           8
        .value_kind:     by_value
      - .offset:         64
        .size:           4
        .value_kind:     by_value
      - .actual_access:  write_only
        .address_space:  global
        .offset:         72
        .size:           8
        .value_kind:     global_buffer
      - .actual_access:  write_only
        .address_space:  global
        .offset:         80
        .size:           8
        .value_kind:     global_buffer
      - .actual_access:  write_only
        .address_space:  global
        .offset:         88
        .size:           8
        .value_kind:     global_buffer
    .group_segment_fixed_size: 0
    .kernarg_segment_align: 8
    .kernarg_segment_size: 96
    .language:       OpenCL C
    .language_version:
      - 2
      - 0
    .max_flat_workgroup_size: 256
    .name:           _ZN9rocsparseL32bsr2csr_block_per_row_2_7_kernelILj256ELj4EdilEEv20rocsparse_direction_T3_S2_21rocsparse_index_base_PKT1_PKT2_PKS2_S2_S3_PS4_PS7_PS2_
    .private_segment_fixed_size: 0
    .sgpr_count:     16
    .sgpr_spill_count: 0
    .symbol:         _ZN9rocsparseL32bsr2csr_block_per_row_2_7_kernelILj256ELj4EdilEEv20rocsparse_direction_T3_S2_21rocsparse_index_base_PKT1_PKT2_PKS2_S2_S3_PS4_PS7_PS2_.kd
    .uniform_work_group_size: 1
    .uses_dynamic_stack: false
    .vgpr_count:     31
    .vgpr_spill_count: 0
    .wavefront_size: 32
    .workgroup_processor_mode: 1
  - .args:
      - .offset:         0
        .size:           4
        .value_kind:     by_value
      - .offset:         8
        .size:           8
        .value_kind:     by_value
      - .offset:         16
        .size:           8
        .value_kind:     by_value
      - .offset:         24
        .size:           4
        .value_kind:     by_value
      - .actual_access:  read_only
        .address_space:  global
        .offset:         32
        .size:           8
        .value_kind:     global_buffer
      - .actual_access:  read_only
        .address_space:  global
        .offset:         40
        .size:           8
        .value_kind:     global_buffer
      - .actual_access:  read_only
        .address_space:  global
        .offset:         48
        .size:           8
        .value_kind:     global_buffer
      - .offset:         56
        .size:           8
        .value_kind:     by_value
      - .offset:         64
        .size:           4
        .value_kind:     by_value
      - .actual_access:  write_only
        .address_space:  global
        .offset:         72
        .size:           8
        .value_kind:     global_buffer
      - .actual_access:  write_only
        .address_space:  global
        .offset:         80
        .size:           8
        .value_kind:     global_buffer
      - .actual_access:  write_only
        .address_space:  global
        .offset:         88
        .size:           8
        .value_kind:     global_buffer
    .group_segment_fixed_size: 0
    .kernarg_segment_align: 8
    .kernarg_segment_size: 96
    .language:       OpenCL C
    .language_version:
      - 2
      - 0
    .max_flat_workgroup_size: 256
    .name:           _ZN9rocsparseL32bsr2csr_block_per_row_2_7_kernelILj256ELj5EdilEEv20rocsparse_direction_T3_S2_21rocsparse_index_base_PKT1_PKT2_PKS2_S2_S3_PS4_PS7_PS2_
    .private_segment_fixed_size: 0
    .sgpr_count:     17
    .sgpr_spill_count: 0
    .symbol:         _ZN9rocsparseL32bsr2csr_block_per_row_2_7_kernelILj256ELj5EdilEEv20rocsparse_direction_T3_S2_21rocsparse_index_base_PKT1_PKT2_PKS2_S2_S3_PS4_PS7_PS2_.kd
    .uniform_work_group_size: 1
    .uses_dynamic_stack: false
    .vgpr_count:     32
    .vgpr_spill_count: 0
    .wavefront_size: 32
    .workgroup_processor_mode: 1
  - .args:
      - .offset:         0
        .size:           4
        .value_kind:     by_value
      - .offset:         8
        .size:           8
        .value_kind:     by_value
      - .offset:         16
        .size:           8
        .value_kind:     by_value
      - .offset:         24
        .size:           4
        .value_kind:     by_value
      - .actual_access:  read_only
        .address_space:  global
        .offset:         32
        .size:           8
        .value_kind:     global_buffer
      - .actual_access:  read_only
        .address_space:  global
        .offset:         40
        .size:           8
        .value_kind:     global_buffer
      - .actual_access:  read_only
        .address_space:  global
        .offset:         48
        .size:           8
        .value_kind:     global_buffer
      - .offset:         56
        .size:           8
        .value_kind:     by_value
      - .offset:         64
        .size:           4
        .value_kind:     by_value
      - .actual_access:  write_only
        .address_space:  global
        .offset:         72
        .size:           8
        .value_kind:     global_buffer
      - .actual_access:  write_only
        .address_space:  global
        .offset:         80
        .size:           8
        .value_kind:     global_buffer
      - .actual_access:  write_only
        .address_space:  global
        .offset:         88
        .size:           8
        .value_kind:     global_buffer
    .group_segment_fixed_size: 0
    .kernarg_segment_align: 8
    .kernarg_segment_size: 96
    .language:       OpenCL C
    .language_version:
      - 2
      - 0
    .max_flat_workgroup_size: 256
    .name:           _ZN9rocsparseL32bsr2csr_block_per_row_2_7_kernelILj256ELj6EdilEEv20rocsparse_direction_T3_S2_21rocsparse_index_base_PKT1_PKT2_PKS2_S2_S3_PS4_PS7_PS2_
    .private_segment_fixed_size: 0
    .sgpr_count:     18
    .sgpr_spill_count: 0
    .symbol:         _ZN9rocsparseL32bsr2csr_block_per_row_2_7_kernelILj256ELj6EdilEEv20rocsparse_direction_T3_S2_21rocsparse_index_base_PKT1_PKT2_PKS2_S2_S3_PS4_PS7_PS2_.kd
    .uniform_work_group_size: 1
    .uses_dynamic_stack: false
    .vgpr_count:     37
    .vgpr_spill_count: 0
    .wavefront_size: 32
    .workgroup_processor_mode: 1
  - .args:
      - .offset:         0
        .size:           4
        .value_kind:     by_value
      - .offset:         8
        .size:           8
        .value_kind:     by_value
      - .offset:         16
        .size:           8
        .value_kind:     by_value
      - .offset:         24
        .size:           4
        .value_kind:     by_value
      - .actual_access:  read_only
        .address_space:  global
        .offset:         32
        .size:           8
        .value_kind:     global_buffer
      - .actual_access:  read_only
        .address_space:  global
        .offset:         40
        .size:           8
        .value_kind:     global_buffer
      - .actual_access:  read_only
        .address_space:  global
        .offset:         48
        .size:           8
        .value_kind:     global_buffer
      - .offset:         56
        .size:           8
        .value_kind:     by_value
      - .offset:         64
        .size:           4
        .value_kind:     by_value
      - .actual_access:  write_only
        .address_space:  global
        .offset:         72
        .size:           8
        .value_kind:     global_buffer
      - .actual_access:  write_only
        .address_space:  global
        .offset:         80
        .size:           8
        .value_kind:     global_buffer
      - .actual_access:  write_only
        .address_space:  global
        .offset:         88
        .size:           8
        .value_kind:     global_buffer
    .group_segment_fixed_size: 0
    .kernarg_segment_align: 8
    .kernarg_segment_size: 96
    .language:       OpenCL C
    .language_version:
      - 2
      - 0
    .max_flat_workgroup_size: 256
    .name:           _ZN9rocsparseL32bsr2csr_block_per_row_2_7_kernelILj256ELj7EdilEEv20rocsparse_direction_T3_S2_21rocsparse_index_base_PKT1_PKT2_PKS2_S2_S3_PS4_PS7_PS2_
    .private_segment_fixed_size: 0
    .sgpr_count:     19
    .sgpr_spill_count: 0
    .symbol:         _ZN9rocsparseL32bsr2csr_block_per_row_2_7_kernelILj256ELj7EdilEEv20rocsparse_direction_T3_S2_21rocsparse_index_base_PKT1_PKT2_PKS2_S2_S3_PS4_PS7_PS2_.kd
    .uniform_work_group_size: 1
    .uses_dynamic_stack: false
    .vgpr_count:     41
    .vgpr_spill_count: 0
    .wavefront_size: 32
    .workgroup_processor_mode: 1
  - .args:
      - .offset:         0
        .size:           4
        .value_kind:     by_value
      - .offset:         8
        .size:           8
        .value_kind:     by_value
      - .offset:         16
        .size:           8
        .value_kind:     by_value
      - .offset:         24
        .size:           4
        .value_kind:     by_value
      - .actual_access:  read_only
        .address_space:  global
        .offset:         32
        .size:           8
        .value_kind:     global_buffer
      - .actual_access:  read_only
        .address_space:  global
        .offset:         40
        .size:           8
        .value_kind:     global_buffer
      - .actual_access:  read_only
        .address_space:  global
        .offset:         48
        .size:           8
        .value_kind:     global_buffer
      - .offset:         56
        .size:           8
        .value_kind:     by_value
      - .offset:         64
        .size:           4
        .value_kind:     by_value
      - .actual_access:  write_only
        .address_space:  global
        .offset:         72
        .size:           8
        .value_kind:     global_buffer
      - .actual_access:  write_only
        .address_space:  global
        .offset:         80
        .size:           8
        .value_kind:     global_buffer
      - .actual_access:  write_only
        .address_space:  global
        .offset:         88
        .size:           8
        .value_kind:     global_buffer
    .group_segment_fixed_size: 0
    .kernarg_segment_align: 8
    .kernarg_segment_size: 96
    .language:       OpenCL C
    .language_version:
      - 2
      - 0
    .max_flat_workgroup_size: 1024
    .name:           _ZN9rocsparseL33bsr2csr_block_per_row_8_32_kernelILj1024ELj8EdilEEv20rocsparse_direction_T3_S2_21rocsparse_index_base_PKT1_PKT2_PKS2_S2_S3_PS4_PS7_PS2_
    .private_segment_fixed_size: 0
    .sgpr_count:     22
    .sgpr_spill_count: 0
    .symbol:         _ZN9rocsparseL33bsr2csr_block_per_row_8_32_kernelILj1024ELj8EdilEEv20rocsparse_direction_T3_S2_21rocsparse_index_base_PKT1_PKT2_PKS2_S2_S3_PS4_PS7_PS2_.kd
    .uniform_work_group_size: 1
    .uses_dynamic_stack: false
    .vgpr_count:     18
    .vgpr_spill_count: 0
    .wavefront_size: 32
    .workgroup_processor_mode: 1
  - .args:
      - .offset:         0
        .size:           4
        .value_kind:     by_value
      - .offset:         8
        .size:           8
        .value_kind:     by_value
      - .offset:         16
        .size:           8
        .value_kind:     by_value
      - .offset:         24
        .size:           4
        .value_kind:     by_value
      - .actual_access:  read_only
        .address_space:  global
        .offset:         32
        .size:           8
        .value_kind:     global_buffer
      - .actual_access:  read_only
        .address_space:  global
        .offset:         40
        .size:           8
        .value_kind:     global_buffer
      - .actual_access:  read_only
        .address_space:  global
        .offset:         48
        .size:           8
        .value_kind:     global_buffer
      - .offset:         56
        .size:           8
        .value_kind:     by_value
      - .offset:         64
        .size:           4
        .value_kind:     by_value
      - .actual_access:  write_only
        .address_space:  global
        .offset:         72
        .size:           8
        .value_kind:     global_buffer
      - .actual_access:  write_only
        .address_space:  global
        .offset:         80
        .size:           8
        .value_kind:     global_buffer
      - .actual_access:  write_only
        .address_space:  global
        .offset:         88
        .size:           8
        .value_kind:     global_buffer
    .group_segment_fixed_size: 0
    .kernarg_segment_align: 8
    .kernarg_segment_size: 96
    .language:       OpenCL C
    .language_version:
      - 2
      - 0
    .max_flat_workgroup_size: 1024
    .name:           _ZN9rocsparseL33bsr2csr_block_per_row_8_32_kernelILj1024ELj16EdilEEv20rocsparse_direction_T3_S2_21rocsparse_index_base_PKT1_PKT2_PKS2_S2_S3_PS4_PS7_PS2_
    .private_segment_fixed_size: 0
    .sgpr_count:     22
    .sgpr_spill_count: 0
    .symbol:         _ZN9rocsparseL33bsr2csr_block_per_row_8_32_kernelILj1024ELj16EdilEEv20rocsparse_direction_T3_S2_21rocsparse_index_base_PKT1_PKT2_PKS2_S2_S3_PS4_PS7_PS2_.kd
    .uniform_work_group_size: 1
    .uses_dynamic_stack: false
    .vgpr_count:     18
    .vgpr_spill_count: 0
    .wavefront_size: 32
    .workgroup_processor_mode: 1
  - .args:
      - .offset:         0
        .size:           4
        .value_kind:     by_value
      - .offset:         8
        .size:           8
        .value_kind:     by_value
      - .offset:         16
        .size:           8
        .value_kind:     by_value
      - .offset:         24
        .size:           4
        .value_kind:     by_value
      - .actual_access:  read_only
        .address_space:  global
        .offset:         32
        .size:           8
        .value_kind:     global_buffer
      - .actual_access:  read_only
        .address_space:  global
        .offset:         40
        .size:           8
        .value_kind:     global_buffer
      - .actual_access:  read_only
        .address_space:  global
        .offset:         48
        .size:           8
        .value_kind:     global_buffer
      - .offset:         56
        .size:           8
        .value_kind:     by_value
      - .offset:         64
        .size:           4
        .value_kind:     by_value
      - .actual_access:  write_only
        .address_space:  global
        .offset:         72
        .size:           8
        .value_kind:     global_buffer
      - .actual_access:  write_only
        .address_space:  global
        .offset:         80
        .size:           8
        .value_kind:     global_buffer
      - .actual_access:  write_only
        .address_space:  global
        .offset:         88
        .size:           8
        .value_kind:     global_buffer
    .group_segment_fixed_size: 0
    .kernarg_segment_align: 8
    .kernarg_segment_size: 96
    .language:       OpenCL C
    .language_version:
      - 2
      - 0
    .max_flat_workgroup_size: 1024
    .name:           _ZN9rocsparseL33bsr2csr_block_per_row_8_32_kernelILj1024ELj32EdilEEv20rocsparse_direction_T3_S2_21rocsparse_index_base_PKT1_PKT2_PKS2_S2_S3_PS4_PS7_PS2_
    .private_segment_fixed_size: 0
    .sgpr_count:     21
    .sgpr_spill_count: 0
    .symbol:         _ZN9rocsparseL33bsr2csr_block_per_row_8_32_kernelILj1024ELj32EdilEEv20rocsparse_direction_T3_S2_21rocsparse_index_base_PKT1_PKT2_PKS2_S2_S3_PS4_PS7_PS2_.kd
    .uniform_work_group_size: 1
    .uses_dynamic_stack: false
    .vgpr_count:     15
    .vgpr_spill_count: 0
    .wavefront_size: 32
    .workgroup_processor_mode: 1
  - .args:
      - .offset:         0
        .size:           4
        .value_kind:     by_value
      - .offset:         8
        .size:           8
        .value_kind:     by_value
      - .offset:         16
        .size:           8
        .value_kind:     by_value
      - .offset:         24
        .size:           4
        .value_kind:     by_value
      - .actual_access:  read_only
        .address_space:  global
        .offset:         32
        .size:           8
        .value_kind:     global_buffer
      - .actual_access:  read_only
        .address_space:  global
        .offset:         40
        .size:           8
        .value_kind:     global_buffer
      - .actual_access:  read_only
        .address_space:  global
        .offset:         48
        .size:           8
        .value_kind:     global_buffer
      - .offset:         56
        .size:           8
        .value_kind:     by_value
      - .offset:         64
        .size:           4
        .value_kind:     by_value
      - .actual_access:  write_only
        .address_space:  global
        .offset:         72
        .size:           8
        .value_kind:     global_buffer
      - .actual_access:  write_only
        .address_space:  global
        .offset:         80
        .size:           8
        .value_kind:     global_buffer
      - .actual_access:  write_only
        .address_space:  global
        .offset:         88
        .size:           8
        .value_kind:     global_buffer
    .group_segment_fixed_size: 0
    .kernarg_segment_align: 8
    .kernarg_segment_size: 96
    .language:       OpenCL C
    .language_version:
      - 2
      - 0
    .max_flat_workgroup_size: 1024
    .name:           _ZN9rocsparseL35bsr2csr_block_per_row_33_256_kernelILj1024ELj64ELj32EdilEEv20rocsparse_direction_T4_S2_21rocsparse_index_base_PKT2_PKT3_PKS2_S2_S3_PS4_PS7_PS2_
    .private_segment_fixed_size: 0
    .sgpr_count:     28
    .sgpr_spill_count: 0
    .symbol:         _ZN9rocsparseL35bsr2csr_block_per_row_33_256_kernelILj1024ELj64ELj32EdilEEv20rocsparse_direction_T4_S2_21rocsparse_index_base_PKT2_PKT3_PKS2_S2_S3_PS4_PS7_PS2_.kd
    .uniform_work_group_size: 1
    .uses_dynamic_stack: false
    .vgpr_count:     22
    .vgpr_spill_count: 0
    .wavefront_size: 32
    .workgroup_processor_mode: 1
  - .args:
      - .offset:         0
        .size:           4
        .value_kind:     by_value
      - .offset:         8
        .size:           8
        .value_kind:     by_value
      - .offset:         16
        .size:           8
        .value_kind:     by_value
      - .offset:         24
        .size:           4
        .value_kind:     by_value
      - .actual_access:  read_only
        .address_space:  global
        .offset:         32
        .size:           8
        .value_kind:     global_buffer
      - .actual_access:  read_only
        .address_space:  global
        .offset:         40
        .size:           8
        .value_kind:     global_buffer
      - .actual_access:  read_only
        .address_space:  global
        .offset:         48
        .size:           8
        .value_kind:     global_buffer
      - .offset:         56
        .size:           8
        .value_kind:     by_value
      - .offset:         64
        .size:           4
        .value_kind:     by_value
      - .actual_access:  write_only
        .address_space:  global
        .offset:         72
        .size:           8
        .value_kind:     global_buffer
      - .actual_access:  write_only
        .address_space:  global
        .offset:         80
        .size:           8
        .value_kind:     global_buffer
      - .actual_access:  write_only
        .address_space:  global
        .offset:         88
        .size:           8
        .value_kind:     global_buffer
    .group_segment_fixed_size: 0
    .kernarg_segment_align: 8
    .kernarg_segment_size: 96
    .language:       OpenCL C
    .language_version:
      - 2
      - 0
    .max_flat_workgroup_size: 1024
    .name:           _ZN9rocsparseL35bsr2csr_block_per_row_33_256_kernelILj1024ELj128ELj32EdilEEv20rocsparse_direction_T4_S2_21rocsparse_index_base_PKT2_PKT3_PKS2_S2_S3_PS4_PS7_PS2_
    .private_segment_fixed_size: 0
    .sgpr_count:     44
    .sgpr_spill_count: 0
    .symbol:         _ZN9rocsparseL35bsr2csr_block_per_row_33_256_kernelILj1024ELj128ELj32EdilEEv20rocsparse_direction_T4_S2_21rocsparse_index_base_PKT2_PKT3_PKS2_S2_S3_PS4_PS7_PS2_.kd
    .uniform_work_group_size: 1
    .uses_dynamic_stack: false
    .vgpr_count:     46
    .vgpr_spill_count: 0
    .wavefront_size: 32
    .workgroup_processor_mode: 1
  - .args:
      - .offset:         0
        .size:           4
        .value_kind:     by_value
      - .offset:         8
        .size:           8
        .value_kind:     by_value
      - .offset:         16
        .size:           8
        .value_kind:     by_value
      - .offset:         24
        .size:           4
        .value_kind:     by_value
      - .actual_access:  read_only
        .address_space:  global
        .offset:         32
        .size:           8
        .value_kind:     global_buffer
      - .actual_access:  read_only
        .address_space:  global
        .offset:         40
        .size:           8
        .value_kind:     global_buffer
      - .actual_access:  read_only
        .address_space:  global
        .offset:         48
        .size:           8
        .value_kind:     global_buffer
      - .offset:         56
        .size:           8
        .value_kind:     by_value
      - .offset:         64
        .size:           4
        .value_kind:     by_value
      - .actual_access:  write_only
        .address_space:  global
        .offset:         72
        .size:           8
        .value_kind:     global_buffer
      - .actual_access:  write_only
        .address_space:  global
        .offset:         80
        .size:           8
        .value_kind:     global_buffer
      - .actual_access:  write_only
        .address_space:  global
        .offset:         88
        .size:           8
        .value_kind:     global_buffer
    .group_segment_fixed_size: 0
    .kernarg_segment_align: 8
    .kernarg_segment_size: 96
    .language:       OpenCL C
    .language_version:
      - 2
      - 0
    .max_flat_workgroup_size: 1024
    .name:           _ZN9rocsparseL35bsr2csr_block_per_row_33_256_kernelILj1024ELj256ELj32EdilEEv20rocsparse_direction_T4_S2_21rocsparse_index_base_PKT2_PKT3_PKS2_S2_S3_PS4_PS7_PS2_
    .private_segment_fixed_size: 0
    .sgpr_count:     91
    .sgpr_spill_count: 0
    .symbol:         _ZN9rocsparseL35bsr2csr_block_per_row_33_256_kernelILj1024ELj256ELj32EdilEEv20rocsparse_direction_T4_S2_21rocsparse_index_base_PKT2_PKT3_PKS2_S2_S3_PS4_PS7_PS2_.kd
    .uniform_work_group_size: 1
    .uses_dynamic_stack: false
    .vgpr_count:     79
    .vgpr_spill_count: 0
    .wavefront_size: 32
    .workgroup_processor_mode: 1
  - .args:
      - .offset:         0
        .size:           8
        .value_kind:     by_value
      - .offset:         8
        .size:           8
        .value_kind:     by_value
      - .offset:         16
        .size:           4
        .value_kind:     by_value
      - .actual_access:  read_only
        .address_space:  global
        .offset:         24
        .size:           8
        .value_kind:     global_buffer
      - .actual_access:  read_only
        .address_space:  global
        .offset:         32
        .size:           8
        .value_kind:     global_buffer
      - .actual_access:  read_only
        .address_space:  global
        .offset:         40
        .size:           8
        .value_kind:     global_buffer
      - .offset:         48
        .size:           4
        .value_kind:     by_value
      - .actual_access:  write_only
        .address_space:  global
        .offset:         56
        .size:           8
        .value_kind:     global_buffer
      - .actual_access:  write_only
        .address_space:  global
        .offset:         64
        .size:           8
        .value_kind:     global_buffer
      - .actual_access:  write_only
        .address_space:  global
        .offset:         72
        .size:           8
        .value_kind:     global_buffer
      - .offset:         80
        .size:           4
        .value_kind:     hidden_block_count_x
      - .offset:         84
        .size:           4
        .value_kind:     hidden_block_count_y
      - .offset:         88
        .size:           4
        .value_kind:     hidden_block_count_z
      - .offset:         92
        .size:           2
        .value_kind:     hidden_group_size_x
      - .offset:         94
        .size:           2
        .value_kind:     hidden_group_size_y
      - .offset:         96
        .size:           2
        .value_kind:     hidden_group_size_z
      - .offset:         98
        .size:           2
        .value_kind:     hidden_remainder_x
      - .offset:         100
        .size:           2
        .value_kind:     hidden_remainder_y
      - .offset:         102
        .size:           2
        .value_kind:     hidden_remainder_z
      - .offset:         120
        .size:           8
        .value_kind:     hidden_global_offset_x
      - .offset:         128
        .size:           8
        .value_kind:     hidden_global_offset_y
      - .offset:         136
        .size:           8
        .value_kind:     hidden_global_offset_z
      - .offset:         144
        .size:           2
        .value_kind:     hidden_grid_dims
    .group_segment_fixed_size: 0
    .kernarg_segment_align: 8
    .kernarg_segment_size: 336
    .language:       OpenCL C
    .language_version:
      - 2
      - 0
    .max_flat_workgroup_size: 1024
    .name:           _ZN9rocsparseL35bsr2csr_block_dim_equals_one_kernelILj1024EdllEEvT2_S1_21rocsparse_index_base_PKT0_PKT1_PKS1_S2_PS3_PS6_PS1_
    .private_segment_fixed_size: 0
    .sgpr_count:     26
    .sgpr_spill_count: 0
    .symbol:         _ZN9rocsparseL35bsr2csr_block_dim_equals_one_kernelILj1024EdllEEvT2_S1_21rocsparse_index_base_PKT0_PKT1_PKS1_S2_PS3_PS6_PS1_.kd
    .uniform_work_group_size: 1
    .uses_dynamic_stack: false
    .vgpr_count:     12
    .vgpr_spill_count: 0
    .wavefront_size: 32
    .workgroup_processor_mode: 1
  - .args:
      - .offset:         0
        .size:           4
        .value_kind:     by_value
      - .offset:         8
        .size:           8
        .value_kind:     by_value
      - .offset:         16
        .size:           8
        .value_kind:     by_value
      - .offset:         24
        .size:           4
        .value_kind:     by_value
      - .actual_access:  read_only
        .address_space:  global
        .offset:         32
        .size:           8
        .value_kind:     global_buffer
      - .actual_access:  read_only
        .address_space:  global
        .offset:         40
        .size:           8
        .value_kind:     global_buffer
      - .actual_access:  read_only
        .address_space:  global
        .offset:         48
        .size:           8
        .value_kind:     global_buffer
      - .offset:         56
        .size:           8
        .value_kind:     by_value
      - .offset:         64
        .size:           4
        .value_kind:     by_value
      - .actual_access:  write_only
        .address_space:  global
        .offset:         72
        .size:           8
        .value_kind:     global_buffer
      - .actual_access:  write_only
        .address_space:  global
        .offset:         80
        .size:           8
        .value_kind:     global_buffer
      - .actual_access:  write_only
        .address_space:  global
        .offset:         88
        .size:           8
        .value_kind:     global_buffer
    .group_segment_fixed_size: 0
    .kernarg_segment_align: 8
    .kernarg_segment_size: 96
    .language:       OpenCL C
    .language_version:
      - 2
      - 0
    .max_flat_workgroup_size: 256
    .name:           _ZN9rocsparseL32bsr2csr_block_per_row_2_7_kernelILj256ELj2EdllEEv20rocsparse_direction_T3_S2_21rocsparse_index_base_PKT1_PKT2_PKS2_S2_S3_PS4_PS7_PS2_
    .private_segment_fixed_size: 0
    .sgpr_count:     22
    .sgpr_spill_count: 0
    .symbol:         _ZN9rocsparseL32bsr2csr_block_per_row_2_7_kernelILj256ELj2EdllEEv20rocsparse_direction_T3_S2_21rocsparse_index_base_PKT1_PKT2_PKS2_S2_S3_PS4_PS7_PS2_.kd
    .uniform_work_group_size: 1
    .uses_dynamic_stack: false
    .vgpr_count:     22
    .vgpr_spill_count: 0
    .wavefront_size: 32
    .workgroup_processor_mode: 1
  - .args:
      - .offset:         0
        .size:           4
        .value_kind:     by_value
      - .offset:         8
        .size:           8
        .value_kind:     by_value
      - .offset:         16
        .size:           8
        .value_kind:     by_value
      - .offset:         24
        .size:           4
        .value_kind:     by_value
      - .actual_access:  read_only
        .address_space:  global
        .offset:         32
        .size:           8
        .value_kind:     global_buffer
      - .actual_access:  read_only
        .address_space:  global
        .offset:         40
        .size:           8
        .value_kind:     global_buffer
      - .actual_access:  read_only
        .address_space:  global
        .offset:         48
        .size:           8
        .value_kind:     global_buffer
      - .offset:         56
        .size:           8
        .value_kind:     by_value
      - .offset:         64
        .size:           4
        .value_kind:     by_value
      - .actual_access:  write_only
        .address_space:  global
        .offset:         72
        .size:           8
        .value_kind:     global_buffer
      - .actual_access:  write_only
        .address_space:  global
        .offset:         80
        .size:           8
        .value_kind:     global_buffer
      - .actual_access:  write_only
        .address_space:  global
        .offset:         88
        .size:           8
        .value_kind:     global_buffer
    .group_segment_fixed_size: 0
    .kernarg_segment_align: 8
    .kernarg_segment_size: 96
    .language:       OpenCL C
    .language_version:
      - 2
      - 0
    .max_flat_workgroup_size: 256
    .name:           _ZN9rocsparseL32bsr2csr_block_per_row_2_7_kernelILj256ELj3EdllEEv20rocsparse_direction_T3_S2_21rocsparse_index_base_PKT1_PKT2_PKS2_S2_S3_PS4_PS7_PS2_
    .private_segment_fixed_size: 0
    .sgpr_count:     21
    .sgpr_spill_count: 0
    .symbol:         _ZN9rocsparseL32bsr2csr_block_per_row_2_7_kernelILj256ELj3EdllEEv20rocsparse_direction_T3_S2_21rocsparse_index_base_PKT1_PKT2_PKS2_S2_S3_PS4_PS7_PS2_.kd
    .uniform_work_group_size: 1
    .uses_dynamic_stack: false
    .vgpr_count:     27
    .vgpr_spill_count: 0
    .wavefront_size: 32
    .workgroup_processor_mode: 1
  - .args:
      - .offset:         0
        .size:           4
        .value_kind:     by_value
      - .offset:         8
        .size:           8
        .value_kind:     by_value
      - .offset:         16
        .size:           8
        .value_kind:     by_value
      - .offset:         24
        .size:           4
        .value_kind:     by_value
      - .actual_access:  read_only
        .address_space:  global
        .offset:         32
        .size:           8
        .value_kind:     global_buffer
      - .actual_access:  read_only
        .address_space:  global
        .offset:         40
        .size:           8
        .value_kind:     global_buffer
      - .actual_access:  read_only
        .address_space:  global
        .offset:         48
        .size:           8
        .value_kind:     global_buffer
      - .offset:         56
        .size:           8
        .value_kind:     by_value
      - .offset:         64
        .size:           4
        .value_kind:     by_value
      - .actual_access:  write_only
        .address_space:  global
        .offset:         72
        .size:           8
        .value_kind:     global_buffer
      - .actual_access:  write_only
        .address_space:  global
        .offset:         80
        .size:           8
        .value_kind:     global_buffer
      - .actual_access:  write_only
        .address_space:  global
        .offset:         88
        .size:           8
        .value_kind:     global_buffer
    .group_segment_fixed_size: 0
    .kernarg_segment_align: 8
    .kernarg_segment_size: 96
    .language:       OpenCL C
    .language_version:
      - 2
      - 0
    .max_flat_workgroup_size: 256
    .name:           _ZN9rocsparseL32bsr2csr_block_per_row_2_7_kernelILj256ELj4EdllEEv20rocsparse_direction_T3_S2_21rocsparse_index_base_PKT1_PKT2_PKS2_S2_S3_PS4_PS7_PS2_
    .private_segment_fixed_size: 0
    .sgpr_count:     24
    .sgpr_spill_count: 0
    .symbol:         _ZN9rocsparseL32bsr2csr_block_per_row_2_7_kernelILj256ELj4EdllEEv20rocsparse_direction_T3_S2_21rocsparse_index_base_PKT1_PKT2_PKS2_S2_S3_PS4_PS7_PS2_.kd
    .uniform_work_group_size: 1
    .uses_dynamic_stack: false
    .vgpr_count:     30
    .vgpr_spill_count: 0
    .wavefront_size: 32
    .workgroup_processor_mode: 1
  - .args:
      - .offset:         0
        .size:           4
        .value_kind:     by_value
      - .offset:         8
        .size:           8
        .value_kind:     by_value
      - .offset:         16
        .size:           8
        .value_kind:     by_value
      - .offset:         24
        .size:           4
        .value_kind:     by_value
      - .actual_access:  read_only
        .address_space:  global
        .offset:         32
        .size:           8
        .value_kind:     global_buffer
      - .actual_access:  read_only
        .address_space:  global
        .offset:         40
        .size:           8
        .value_kind:     global_buffer
      - .actual_access:  read_only
        .address_space:  global
        .offset:         48
        .size:           8
        .value_kind:     global_buffer
      - .offset:         56
        .size:           8
        .value_kind:     by_value
      - .offset:         64
        .size:           4
        .value_kind:     by_value
      - .actual_access:  write_only
        .address_space:  global
        .offset:         72
        .size:           8
        .value_kind:     global_buffer
      - .actual_access:  write_only
        .address_space:  global
        .offset:         80
        .size:           8
        .value_kind:     global_buffer
      - .actual_access:  write_only
        .address_space:  global
        .offset:         88
        .size:           8
        .value_kind:     global_buffer
    .group_segment_fixed_size: 0
    .kernarg_segment_align: 8
    .kernarg_segment_size: 96
    .language:       OpenCL C
    .language_version:
      - 2
      - 0
    .max_flat_workgroup_size: 256
    .name:           _ZN9rocsparseL32bsr2csr_block_per_row_2_7_kernelILj256ELj5EdllEEv20rocsparse_direction_T3_S2_21rocsparse_index_base_PKT1_PKT2_PKS2_S2_S3_PS4_PS7_PS2_
    .private_segment_fixed_size: 0
    .sgpr_count:     21
    .sgpr_spill_count: 0
    .symbol:         _ZN9rocsparseL32bsr2csr_block_per_row_2_7_kernelILj256ELj5EdllEEv20rocsparse_direction_T3_S2_21rocsparse_index_base_PKT1_PKT2_PKS2_S2_S3_PS4_PS7_PS2_.kd
    .uniform_work_group_size: 1
    .uses_dynamic_stack: false
    .vgpr_count:     37
    .vgpr_spill_count: 0
    .wavefront_size: 32
    .workgroup_processor_mode: 1
  - .args:
      - .offset:         0
        .size:           4
        .value_kind:     by_value
      - .offset:         8
        .size:           8
        .value_kind:     by_value
      - .offset:         16
        .size:           8
        .value_kind:     by_value
      - .offset:         24
        .size:           4
        .value_kind:     by_value
      - .actual_access:  read_only
        .address_space:  global
        .offset:         32
        .size:           8
        .value_kind:     global_buffer
      - .actual_access:  read_only
        .address_space:  global
        .offset:         40
        .size:           8
        .value_kind:     global_buffer
      - .actual_access:  read_only
        .address_space:  global
        .offset:         48
        .size:           8
        .value_kind:     global_buffer
      - .offset:         56
        .size:           8
        .value_kind:     by_value
      - .offset:         64
        .size:           4
        .value_kind:     by_value
      - .actual_access:  write_only
        .address_space:  global
        .offset:         72
        .size:           8
        .value_kind:     global_buffer
      - .actual_access:  write_only
        .address_space:  global
        .offset:         80
        .size:           8
        .value_kind:     global_buffer
      - .actual_access:  write_only
        .address_space:  global
        .offset:         88
        .size:           8
        .value_kind:     global_buffer
    .group_segment_fixed_size: 0
    .kernarg_segment_align: 8
    .kernarg_segment_size: 96
    .language:       OpenCL C
    .language_version:
      - 2
      - 0
    .max_flat_workgroup_size: 256
    .name:           _ZN9rocsparseL32bsr2csr_block_per_row_2_7_kernelILj256ELj6EdllEEv20rocsparse_direction_T3_S2_21rocsparse_index_base_PKT1_PKT2_PKS2_S2_S3_PS4_PS7_PS2_
    .private_segment_fixed_size: 0
    .sgpr_count:     21
    .sgpr_spill_count: 0
    .symbol:         _ZN9rocsparseL32bsr2csr_block_per_row_2_7_kernelILj256ELj6EdllEEv20rocsparse_direction_T3_S2_21rocsparse_index_base_PKT1_PKT2_PKS2_S2_S3_PS4_PS7_PS2_.kd
    .uniform_work_group_size: 1
    .uses_dynamic_stack: false
    .vgpr_count:     38
    .vgpr_spill_count: 0
    .wavefront_size: 32
    .workgroup_processor_mode: 1
  - .args:
      - .offset:         0
        .size:           4
        .value_kind:     by_value
      - .offset:         8
        .size:           8
        .value_kind:     by_value
      - .offset:         16
        .size:           8
        .value_kind:     by_value
      - .offset:         24
        .size:           4
        .value_kind:     by_value
      - .actual_access:  read_only
        .address_space:  global
        .offset:         32
        .size:           8
        .value_kind:     global_buffer
      - .actual_access:  read_only
        .address_space:  global
        .offset:         40
        .size:           8
        .value_kind:     global_buffer
      - .actual_access:  read_only
        .address_space:  global
        .offset:         48
        .size:           8
        .value_kind:     global_buffer
      - .offset:         56
        .size:           8
        .value_kind:     by_value
      - .offset:         64
        .size:           4
        .value_kind:     by_value
      - .actual_access:  write_only
        .address_space:  global
        .offset:         72
        .size:           8
        .value_kind:     global_buffer
      - .actual_access:  write_only
        .address_space:  global
        .offset:         80
        .size:           8
        .value_kind:     global_buffer
      - .actual_access:  write_only
        .address_space:  global
        .offset:         88
        .size:           8
        .value_kind:     global_buffer
    .group_segment_fixed_size: 0
    .kernarg_segment_align: 8
    .kernarg_segment_size: 96
    .language:       OpenCL C
    .language_version:
      - 2
      - 0
    .max_flat_workgroup_size: 256
    .name:           _ZN9rocsparseL32bsr2csr_block_per_row_2_7_kernelILj256ELj7EdllEEv20rocsparse_direction_T3_S2_21rocsparse_index_base_PKT1_PKT2_PKS2_S2_S3_PS4_PS7_PS2_
    .private_segment_fixed_size: 0
    .sgpr_count:     21
    .sgpr_spill_count: 0
    .symbol:         _ZN9rocsparseL32bsr2csr_block_per_row_2_7_kernelILj256ELj7EdllEEv20rocsparse_direction_T3_S2_21rocsparse_index_base_PKT1_PKT2_PKS2_S2_S3_PS4_PS7_PS2_.kd
    .uniform_work_group_size: 1
    .uses_dynamic_stack: false
    .vgpr_count:     42
    .vgpr_spill_count: 0
    .wavefront_size: 32
    .workgroup_processor_mode: 1
  - .args:
      - .offset:         0
        .size:           4
        .value_kind:     by_value
      - .offset:         8
        .size:           8
        .value_kind:     by_value
      - .offset:         16
        .size:           8
        .value_kind:     by_value
      - .offset:         24
        .size:           4
        .value_kind:     by_value
      - .actual_access:  read_only
        .address_space:  global
        .offset:         32
        .size:           8
        .value_kind:     global_buffer
      - .actual_access:  read_only
        .address_space:  global
        .offset:         40
        .size:           8
        .value_kind:     global_buffer
      - .actual_access:  read_only
        .address_space:  global
        .offset:         48
        .size:           8
        .value_kind:     global_buffer
      - .offset:         56
        .size:           8
        .value_kind:     by_value
      - .offset:         64
        .size:           4
        .value_kind:     by_value
      - .actual_access:  write_only
        .address_space:  global
        .offset:         72
        .size:           8
        .value_kind:     global_buffer
      - .actual_access:  write_only
        .address_space:  global
        .offset:         80
        .size:           8
        .value_kind:     global_buffer
      - .actual_access:  write_only
        .address_space:  global
        .offset:         88
        .size:           8
        .value_kind:     global_buffer
    .group_segment_fixed_size: 0
    .kernarg_segment_align: 8
    .kernarg_segment_size: 96
    .language:       OpenCL C
    .language_version:
      - 2
      - 0
    .max_flat_workgroup_size: 1024
    .name:           _ZN9rocsparseL33bsr2csr_block_per_row_8_32_kernelILj1024ELj8EdllEEv20rocsparse_direction_T3_S2_21rocsparse_index_base_PKT1_PKT2_PKS2_S2_S3_PS4_PS7_PS2_
    .private_segment_fixed_size: 0
    .sgpr_count:     25
    .sgpr_spill_count: 0
    .symbol:         _ZN9rocsparseL33bsr2csr_block_per_row_8_32_kernelILj1024ELj8EdllEEv20rocsparse_direction_T3_S2_21rocsparse_index_base_PKT1_PKT2_PKS2_S2_S3_PS4_PS7_PS2_.kd
    .uniform_work_group_size: 1
    .uses_dynamic_stack: false
    .vgpr_count:     20
    .vgpr_spill_count: 0
    .wavefront_size: 32
    .workgroup_processor_mode: 1
  - .args:
      - .offset:         0
        .size:           4
        .value_kind:     by_value
      - .offset:         8
        .size:           8
        .value_kind:     by_value
      - .offset:         16
        .size:           8
        .value_kind:     by_value
      - .offset:         24
        .size:           4
        .value_kind:     by_value
      - .actual_access:  read_only
        .address_space:  global
        .offset:         32
        .size:           8
        .value_kind:     global_buffer
      - .actual_access:  read_only
        .address_space:  global
        .offset:         40
        .size:           8
        .value_kind:     global_buffer
      - .actual_access:  read_only
        .address_space:  global
        .offset:         48
        .size:           8
        .value_kind:     global_buffer
      - .offset:         56
        .size:           8
        .value_kind:     by_value
      - .offset:         64
        .size:           4
        .value_kind:     by_value
      - .actual_access:  write_only
        .address_space:  global
        .offset:         72
        .size:           8
        .value_kind:     global_buffer
      - .actual_access:  write_only
        .address_space:  global
        .offset:         80
        .size:           8
        .value_kind:     global_buffer
      - .actual_access:  write_only
        .address_space:  global
        .offset:         88
        .size:           8
        .value_kind:     global_buffer
    .group_segment_fixed_size: 0
    .kernarg_segment_align: 8
    .kernarg_segment_size: 96
    .language:       OpenCL C
    .language_version:
      - 2
      - 0
    .max_flat_workgroup_size: 1024
    .name:           _ZN9rocsparseL33bsr2csr_block_per_row_8_32_kernelILj1024ELj16EdllEEv20rocsparse_direction_T3_S2_21rocsparse_index_base_PKT1_PKT2_PKS2_S2_S3_PS4_PS7_PS2_
    .private_segment_fixed_size: 0
    .sgpr_count:     25
    .sgpr_spill_count: 0
    .symbol:         _ZN9rocsparseL33bsr2csr_block_per_row_8_32_kernelILj1024ELj16EdllEEv20rocsparse_direction_T3_S2_21rocsparse_index_base_PKT1_PKT2_PKS2_S2_S3_PS4_PS7_PS2_.kd
    .uniform_work_group_size: 1
    .uses_dynamic_stack: false
    .vgpr_count:     20
    .vgpr_spill_count: 0
    .wavefront_size: 32
    .workgroup_processor_mode: 1
  - .args:
      - .offset:         0
        .size:           4
        .value_kind:     by_value
      - .offset:         8
        .size:           8
        .value_kind:     by_value
      - .offset:         16
        .size:           8
        .value_kind:     by_value
      - .offset:         24
        .size:           4
        .value_kind:     by_value
      - .actual_access:  read_only
        .address_space:  global
        .offset:         32
        .size:           8
        .value_kind:     global_buffer
      - .actual_access:  read_only
        .address_space:  global
        .offset:         40
        .size:           8
        .value_kind:     global_buffer
      - .actual_access:  read_only
        .address_space:  global
        .offset:         48
        .size:           8
        .value_kind:     global_buffer
      - .offset:         56
        .size:           8
        .value_kind:     by_value
      - .offset:         64
        .size:           4
        .value_kind:     by_value
      - .actual_access:  write_only
        .address_space:  global
        .offset:         72
        .size:           8
        .value_kind:     global_buffer
      - .actual_access:  write_only
        .address_space:  global
        .offset:         80
        .size:           8
        .value_kind:     global_buffer
      - .actual_access:  write_only
        .address_space:  global
        .offset:         88
        .size:           8
        .value_kind:     global_buffer
    .group_segment_fixed_size: 0
    .kernarg_segment_align: 8
    .kernarg_segment_size: 96
    .language:       OpenCL C
    .language_version:
      - 2
      - 0
    .max_flat_workgroup_size: 1024
    .name:           _ZN9rocsparseL33bsr2csr_block_per_row_8_32_kernelILj1024ELj32EdllEEv20rocsparse_direction_T3_S2_21rocsparse_index_base_PKT1_PKT2_PKS2_S2_S3_PS4_PS7_PS2_
    .private_segment_fixed_size: 0
    .sgpr_count:     30
    .sgpr_spill_count: 0
    .symbol:         _ZN9rocsparseL33bsr2csr_block_per_row_8_32_kernelILj1024ELj32EdllEEv20rocsparse_direction_T3_S2_21rocsparse_index_base_PKT1_PKT2_PKS2_S2_S3_PS4_PS7_PS2_.kd
    .uniform_work_group_size: 1
    .uses_dynamic_stack: false
    .vgpr_count:     14
    .vgpr_spill_count: 0
    .wavefront_size: 32
    .workgroup_processor_mode: 1
  - .args:
      - .offset:         0
        .size:           4
        .value_kind:     by_value
      - .offset:         8
        .size:           8
        .value_kind:     by_value
      - .offset:         16
        .size:           8
        .value_kind:     by_value
      - .offset:         24
        .size:           4
        .value_kind:     by_value
      - .actual_access:  read_only
        .address_space:  global
        .offset:         32
        .size:           8
        .value_kind:     global_buffer
      - .actual_access:  read_only
        .address_space:  global
        .offset:         40
        .size:           8
        .value_kind:     global_buffer
      - .actual_access:  read_only
        .address_space:  global
        .offset:         48
        .size:           8
        .value_kind:     global_buffer
      - .offset:         56
        .size:           8
        .value_kind:     by_value
      - .offset:         64
        .size:           4
        .value_kind:     by_value
      - .actual_access:  write_only
        .address_space:  global
        .offset:         72
        .size:           8
        .value_kind:     global_buffer
      - .actual_access:  write_only
        .address_space:  global
        .offset:         80
        .size:           8
        .value_kind:     global_buffer
      - .actual_access:  write_only
        .address_space:  global
        .offset:         88
        .size:           8
        .value_kind:     global_buffer
    .group_segment_fixed_size: 0
    .kernarg_segment_align: 8
    .kernarg_segment_size: 96
    .language:       OpenCL C
    .language_version:
      - 2
      - 0
    .max_flat_workgroup_size: 1024
    .name:           _ZN9rocsparseL35bsr2csr_block_per_row_33_256_kernelILj1024ELj64ELj32EdllEEv20rocsparse_direction_T4_S2_21rocsparse_index_base_PKT2_PKT3_PKS2_S2_S3_PS4_PS7_PS2_
    .private_segment_fixed_size: 0
    .sgpr_count:     40
    .sgpr_spill_count: 0
    .symbol:         _ZN9rocsparseL35bsr2csr_block_per_row_33_256_kernelILj1024ELj64ELj32EdllEEv20rocsparse_direction_T4_S2_21rocsparse_index_base_PKT2_PKT3_PKS2_S2_S3_PS4_PS7_PS2_.kd
    .uniform_work_group_size: 1
    .uses_dynamic_stack: false
    .vgpr_count:     28
    .vgpr_spill_count: 0
    .wavefront_size: 32
    .workgroup_processor_mode: 1
  - .args:
      - .offset:         0
        .size:           4
        .value_kind:     by_value
      - .offset:         8
        .size:           8
        .value_kind:     by_value
      - .offset:         16
        .size:           8
        .value_kind:     by_value
      - .offset:         24
        .size:           4
        .value_kind:     by_value
      - .actual_access:  read_only
        .address_space:  global
        .offset:         32
        .size:           8
        .value_kind:     global_buffer
      - .actual_access:  read_only
        .address_space:  global
        .offset:         40
        .size:           8
        .value_kind:     global_buffer
      - .actual_access:  read_only
        .address_space:  global
        .offset:         48
        .size:           8
        .value_kind:     global_buffer
      - .offset:         56
        .size:           8
        .value_kind:     by_value
      - .offset:         64
        .size:           4
        .value_kind:     by_value
      - .actual_access:  write_only
        .address_space:  global
        .offset:         72
        .size:           8
        .value_kind:     global_buffer
      - .actual_access:  write_only
        .address_space:  global
        .offset:         80
        .size:           8
        .value_kind:     global_buffer
      - .actual_access:  write_only
        .address_space:  global
        .offset:         88
        .size:           8
        .value_kind:     global_buffer
    .group_segment_fixed_size: 0
    .kernarg_segment_align: 8
    .kernarg_segment_size: 96
    .language:       OpenCL C
    .language_version:
      - 2
      - 0
    .max_flat_workgroup_size: 1024
    .name:           _ZN9rocsparseL35bsr2csr_block_per_row_33_256_kernelILj1024ELj128ELj32EdllEEv20rocsparse_direction_T4_S2_21rocsparse_index_base_PKT2_PKT3_PKS2_S2_S3_PS4_PS7_PS2_
    .private_segment_fixed_size: 0
    .sgpr_count:     51
    .sgpr_spill_count: 0
    .symbol:         _ZN9rocsparseL35bsr2csr_block_per_row_33_256_kernelILj1024ELj128ELj32EdllEEv20rocsparse_direction_T4_S2_21rocsparse_index_base_PKT2_PKT3_PKS2_S2_S3_PS4_PS7_PS2_.kd
    .uniform_work_group_size: 1
    .uses_dynamic_stack: false
    .vgpr_count:     45
    .vgpr_spill_count: 0
    .wavefront_size: 32
    .workgroup_processor_mode: 1
  - .args:
      - .offset:         0
        .size:           4
        .value_kind:     by_value
      - .offset:         8
        .size:           8
        .value_kind:     by_value
      - .offset:         16
        .size:           8
        .value_kind:     by_value
      - .offset:         24
        .size:           4
        .value_kind:     by_value
      - .actual_access:  read_only
        .address_space:  global
        .offset:         32
        .size:           8
        .value_kind:     global_buffer
      - .actual_access:  read_only
        .address_space:  global
        .offset:         40
        .size:           8
        .value_kind:     global_buffer
      - .actual_access:  read_only
        .address_space:  global
        .offset:         48
        .size:           8
        .value_kind:     global_buffer
      - .offset:         56
        .size:           8
        .value_kind:     by_value
      - .offset:         64
        .size:           4
        .value_kind:     by_value
      - .actual_access:  write_only
        .address_space:  global
        .offset:         72
        .size:           8
        .value_kind:     global_buffer
      - .actual_access:  write_only
        .address_space:  global
        .offset:         80
        .size:           8
        .value_kind:     global_buffer
      - .actual_access:  write_only
        .address_space:  global
        .offset:         88
        .size:           8
        .value_kind:     global_buffer
    .group_segment_fixed_size: 0
    .kernarg_segment_align: 8
    .kernarg_segment_size: 96
    .language:       OpenCL C
    .language_version:
      - 2
      - 0
    .max_flat_workgroup_size: 1024
    .name:           _ZN9rocsparseL35bsr2csr_block_per_row_33_256_kernelILj1024ELj256ELj32EdllEEv20rocsparse_direction_T4_S2_21rocsparse_index_base_PKT2_PKT3_PKS2_S2_S3_PS4_PS7_PS2_
    .private_segment_fixed_size: 0
    .sgpr_count:     102
    .sgpr_spill_count: 0
    .symbol:         _ZN9rocsparseL35bsr2csr_block_per_row_33_256_kernelILj1024ELj256ELj32EdllEEv20rocsparse_direction_T4_S2_21rocsparse_index_base_PKT2_PKT3_PKS2_S2_S3_PS4_PS7_PS2_.kd
    .uniform_work_group_size: 1
    .uses_dynamic_stack: false
    .vgpr_count:     72
    .vgpr_spill_count: 0
    .wavefront_size: 32
    .workgroup_processor_mode: 1
  - .args:
      - .offset:         0
        .size:           4
        .value_kind:     by_value
      - .offset:         4
        .size:           4
        .value_kind:     by_value
      - .offset:         8
        .size:           4
        .value_kind:     by_value
      - .actual_access:  read_only
        .address_space:  global
        .offset:         16
        .size:           8
        .value_kind:     global_buffer
      - .actual_access:  read_only
        .address_space:  global
        .offset:         24
        .size:           8
        .value_kind:     global_buffer
      - .actual_access:  read_only
        .address_space:  global
        .offset:         32
        .size:           8
        .value_kind:     global_buffer
      - .offset:         40
        .size:           4
        .value_kind:     by_value
      - .actual_access:  write_only
        .address_space:  global
        .offset:         48
        .size:           8
        .value_kind:     global_buffer
      - .actual_access:  write_only
        .address_space:  global
        .offset:         56
        .size:           8
        .value_kind:     global_buffer
      - .actual_access:  write_only
        .address_space:  global
        .offset:         64
        .size:           8
        .value_kind:     global_buffer
      - .offset:         72
        .size:           4
        .value_kind:     hidden_block_count_x
      - .offset:         76
        .size:           4
        .value_kind:     hidden_block_count_y
      - .offset:         80
        .size:           4
        .value_kind:     hidden_block_count_z
      - .offset:         84
        .size:           2
        .value_kind:     hidden_group_size_x
      - .offset:         86
        .size:           2
        .value_kind:     hidden_group_size_y
      - .offset:         88
        .size:           2
        .value_kind:     hidden_group_size_z
      - .offset:         90
        .size:           2
        .value_kind:     hidden_remainder_x
      - .offset:         92
        .size:           2
        .value_kind:     hidden_remainder_y
      - .offset:         94
        .size:           2
        .value_kind:     hidden_remainder_z
      - .offset:         112
        .size:           8
        .value_kind:     hidden_global_offset_x
      - .offset:         120
        .size:           8
        .value_kind:     hidden_global_offset_y
      - .offset:         128
        .size:           8
        .value_kind:     hidden_global_offset_z
      - .offset:         136
        .size:           2
        .value_kind:     hidden_grid_dims
    .group_segment_fixed_size: 0
    .kernarg_segment_align: 8
    .kernarg_segment_size: 328
    .language:       OpenCL C
    .language_version:
      - 2
      - 0
    .max_flat_workgroup_size: 1024
    .name:           _ZN9rocsparseL35bsr2csr_block_dim_equals_one_kernelILj1024E21rocsparse_complex_numIdEiiEEvT2_S3_21rocsparse_index_base_PKT0_PKT1_PKS3_S4_PS5_PS8_PS3_
    .private_segment_fixed_size: 0
    .sgpr_count:     23
    .sgpr_spill_count: 0
    .symbol:         _ZN9rocsparseL35bsr2csr_block_dim_equals_one_kernelILj1024E21rocsparse_complex_numIdEiiEEvT2_S3_21rocsparse_index_base_PKT0_PKT1_PKS3_S4_PS5_PS8_PS3_.kd
    .uniform_work_group_size: 1
    .uses_dynamic_stack: false
    .vgpr_count:     10
    .vgpr_spill_count: 0
    .wavefront_size: 32
    .workgroup_processor_mode: 1
  - .args:
      - .offset:         0
        .size:           4
        .value_kind:     by_value
      - .offset:         4
        .size:           4
        .value_kind:     by_value
      - .offset:         8
        .size:           4
        .value_kind:     by_value
      - .offset:         12
        .size:           4
        .value_kind:     by_value
      - .actual_access:  read_only
        .address_space:  global
        .offset:         16
        .size:           8
        .value_kind:     global_buffer
      - .actual_access:  read_only
        .address_space:  global
        .offset:         24
        .size:           8
        .value_kind:     global_buffer
      - .actual_access:  read_only
        .address_space:  global
        .offset:         32
        .size:           8
        .value_kind:     global_buffer
      - .offset:         40
        .size:           4
        .value_kind:     by_value
      - .offset:         44
        .size:           4
        .value_kind:     by_value
      - .actual_access:  write_only
        .address_space:  global
        .offset:         48
        .size:           8
        .value_kind:     global_buffer
      - .actual_access:  write_only
        .address_space:  global
        .offset:         56
        .size:           8
        .value_kind:     global_buffer
      - .actual_access:  write_only
        .address_space:  global
        .offset:         64
        .size:           8
        .value_kind:     global_buffer
    .group_segment_fixed_size: 0
    .kernarg_segment_align: 8
    .kernarg_segment_size: 72
    .language:       OpenCL C
    .language_version:
      - 2
      - 0
    .max_flat_workgroup_size: 256
    .name:           _ZN9rocsparseL32bsr2csr_block_per_row_2_7_kernelILj256ELj2E21rocsparse_complex_numIdEiiEEv20rocsparse_direction_T3_S4_21rocsparse_index_base_PKT1_PKT2_PKS4_S4_S5_PS6_PS9_PS4_
    .private_segment_fixed_size: 0
    .sgpr_count:     16
    .sgpr_spill_count: 0
    .symbol:         _ZN9rocsparseL32bsr2csr_block_per_row_2_7_kernelILj256ELj2E21rocsparse_complex_numIdEiiEEv20rocsparse_direction_T3_S4_21rocsparse_index_base_PKT1_PKT2_PKS4_S4_S5_PS6_PS9_PS4_.kd
    .uniform_work_group_size: 1
    .uses_dynamic_stack: false
    .vgpr_count:     21
    .vgpr_spill_count: 0
    .wavefront_size: 32
    .workgroup_processor_mode: 1
  - .args:
      - .offset:         0
        .size:           4
        .value_kind:     by_value
      - .offset:         4
        .size:           4
        .value_kind:     by_value
      - .offset:         8
        .size:           4
        .value_kind:     by_value
      - .offset:         12
        .size:           4
        .value_kind:     by_value
      - .actual_access:  read_only
        .address_space:  global
        .offset:         16
        .size:           8
        .value_kind:     global_buffer
      - .actual_access:  read_only
        .address_space:  global
        .offset:         24
        .size:           8
        .value_kind:     global_buffer
      - .actual_access:  read_only
        .address_space:  global
        .offset:         32
        .size:           8
        .value_kind:     global_buffer
      - .offset:         40
        .size:           4
        .value_kind:     by_value
      - .offset:         44
        .size:           4
        .value_kind:     by_value
      - .actual_access:  write_only
        .address_space:  global
        .offset:         48
        .size:           8
        .value_kind:     global_buffer
      - .actual_access:  write_only
        .address_space:  global
        .offset:         56
        .size:           8
        .value_kind:     global_buffer
      - .actual_access:  write_only
        .address_space:  global
        .offset:         64
        .size:           8
        .value_kind:     global_buffer
    .group_segment_fixed_size: 0
    .kernarg_segment_align: 8
    .kernarg_segment_size: 72
    .language:       OpenCL C
    .language_version:
      - 2
      - 0
    .max_flat_workgroup_size: 256
    .name:           _ZN9rocsparseL32bsr2csr_block_per_row_2_7_kernelILj256ELj3E21rocsparse_complex_numIdEiiEEv20rocsparse_direction_T3_S4_21rocsparse_index_base_PKT1_PKT2_PKS4_S4_S5_PS6_PS9_PS4_
    .private_segment_fixed_size: 0
    .sgpr_count:     17
    .sgpr_spill_count: 0
    .symbol:         _ZN9rocsparseL32bsr2csr_block_per_row_2_7_kernelILj256ELj3E21rocsparse_complex_numIdEiiEEv20rocsparse_direction_T3_S4_21rocsparse_index_base_PKT1_PKT2_PKS4_S4_S5_PS6_PS9_PS4_.kd
    .uniform_work_group_size: 1
    .uses_dynamic_stack: false
    .vgpr_count:     27
    .vgpr_spill_count: 0
    .wavefront_size: 32
    .workgroup_processor_mode: 1
  - .args:
      - .offset:         0
        .size:           4
        .value_kind:     by_value
      - .offset:         4
        .size:           4
        .value_kind:     by_value
      - .offset:         8
        .size:           4
        .value_kind:     by_value
      - .offset:         12
        .size:           4
        .value_kind:     by_value
      - .actual_access:  read_only
        .address_space:  global
        .offset:         16
        .size:           8
        .value_kind:     global_buffer
      - .actual_access:  read_only
        .address_space:  global
        .offset:         24
        .size:           8
        .value_kind:     global_buffer
      - .actual_access:  read_only
        .address_space:  global
        .offset:         32
        .size:           8
        .value_kind:     global_buffer
      - .offset:         40
        .size:           4
        .value_kind:     by_value
      - .offset:         44
        .size:           4
        .value_kind:     by_value
      - .actual_access:  write_only
        .address_space:  global
        .offset:         48
        .size:           8
        .value_kind:     global_buffer
      - .actual_access:  write_only
        .address_space:  global
        .offset:         56
        .size:           8
        .value_kind:     global_buffer
      - .actual_access:  write_only
        .address_space:  global
        .offset:         64
        .size:           8
        .value_kind:     global_buffer
    .group_segment_fixed_size: 0
    .kernarg_segment_align: 8
    .kernarg_segment_size: 72
    .language:       OpenCL C
    .language_version:
      - 2
      - 0
    .max_flat_workgroup_size: 256
    .name:           _ZN9rocsparseL32bsr2csr_block_per_row_2_7_kernelILj256ELj4E21rocsparse_complex_numIdEiiEEv20rocsparse_direction_T3_S4_21rocsparse_index_base_PKT1_PKT2_PKS4_S4_S5_PS6_PS9_PS4_
    .private_segment_fixed_size: 0
    .sgpr_count:     16
    .sgpr_spill_count: 0
    .symbol:         _ZN9rocsparseL32bsr2csr_block_per_row_2_7_kernelILj256ELj4E21rocsparse_complex_numIdEiiEEv20rocsparse_direction_T3_S4_21rocsparse_index_base_PKT1_PKT2_PKS4_S4_S5_PS6_PS9_PS4_.kd
    .uniform_work_group_size: 1
    .uses_dynamic_stack: false
    .vgpr_count:     32
    .vgpr_spill_count: 0
    .wavefront_size: 32
    .workgroup_processor_mode: 1
  - .args:
      - .offset:         0
        .size:           4
        .value_kind:     by_value
      - .offset:         4
        .size:           4
        .value_kind:     by_value
      - .offset:         8
        .size:           4
        .value_kind:     by_value
      - .offset:         12
        .size:           4
        .value_kind:     by_value
      - .actual_access:  read_only
        .address_space:  global
        .offset:         16
        .size:           8
        .value_kind:     global_buffer
      - .actual_access:  read_only
        .address_space:  global
        .offset:         24
        .size:           8
        .value_kind:     global_buffer
      - .actual_access:  read_only
        .address_space:  global
        .offset:         32
        .size:           8
        .value_kind:     global_buffer
      - .offset:         40
        .size:           4
        .value_kind:     by_value
      - .offset:         44
        .size:           4
        .value_kind:     by_value
      - .actual_access:  write_only
        .address_space:  global
        .offset:         48
        .size:           8
        .value_kind:     global_buffer
      - .actual_access:  write_only
        .address_space:  global
        .offset:         56
        .size:           8
        .value_kind:     global_buffer
      - .actual_access:  write_only
        .address_space:  global
        .offset:         64
        .size:           8
        .value_kind:     global_buffer
    .group_segment_fixed_size: 0
    .kernarg_segment_align: 8
    .kernarg_segment_size: 72
    .language:       OpenCL C
    .language_version:
      - 2
      - 0
    .max_flat_workgroup_size: 256
    .name:           _ZN9rocsparseL32bsr2csr_block_per_row_2_7_kernelILj256ELj5E21rocsparse_complex_numIdEiiEEv20rocsparse_direction_T3_S4_21rocsparse_index_base_PKT1_PKT2_PKS4_S4_S5_PS6_PS9_PS4_
    .private_segment_fixed_size: 0
    .sgpr_count:     17
    .sgpr_spill_count: 0
    .symbol:         _ZN9rocsparseL32bsr2csr_block_per_row_2_7_kernelILj256ELj5E21rocsparse_complex_numIdEiiEEv20rocsparse_direction_T3_S4_21rocsparse_index_base_PKT1_PKT2_PKS4_S4_S5_PS6_PS9_PS4_.kd
    .uniform_work_group_size: 1
    .uses_dynamic_stack: false
    .vgpr_count:     36
    .vgpr_spill_count: 0
    .wavefront_size: 32
    .workgroup_processor_mode: 1
  - .args:
      - .offset:         0
        .size:           4
        .value_kind:     by_value
      - .offset:         4
        .size:           4
        .value_kind:     by_value
      - .offset:         8
        .size:           4
        .value_kind:     by_value
      - .offset:         12
        .size:           4
        .value_kind:     by_value
      - .actual_access:  read_only
        .address_space:  global
        .offset:         16
        .size:           8
        .value_kind:     global_buffer
      - .actual_access:  read_only
        .address_space:  global
        .offset:         24
        .size:           8
        .value_kind:     global_buffer
      - .actual_access:  read_only
        .address_space:  global
        .offset:         32
        .size:           8
        .value_kind:     global_buffer
      - .offset:         40
        .size:           4
        .value_kind:     by_value
      - .offset:         44
        .size:           4
        .value_kind:     by_value
      - .actual_access:  write_only
        .address_space:  global
        .offset:         48
        .size:           8
        .value_kind:     global_buffer
      - .actual_access:  write_only
        .address_space:  global
        .offset:         56
        .size:           8
        .value_kind:     global_buffer
      - .actual_access:  write_only
        .address_space:  global
        .offset:         64
        .size:           8
        .value_kind:     global_buffer
    .group_segment_fixed_size: 0
    .kernarg_segment_align: 8
    .kernarg_segment_size: 72
    .language:       OpenCL C
    .language_version:
      - 2
      - 0
    .max_flat_workgroup_size: 256
    .name:           _ZN9rocsparseL32bsr2csr_block_per_row_2_7_kernelILj256ELj6E21rocsparse_complex_numIdEiiEEv20rocsparse_direction_T3_S4_21rocsparse_index_base_PKT1_PKT2_PKS4_S4_S5_PS6_PS9_PS4_
    .private_segment_fixed_size: 0
    .sgpr_count:     16
    .sgpr_spill_count: 0
    .symbol:         _ZN9rocsparseL32bsr2csr_block_per_row_2_7_kernelILj256ELj6E21rocsparse_complex_numIdEiiEEv20rocsparse_direction_T3_S4_21rocsparse_index_base_PKT1_PKT2_PKS4_S4_S5_PS6_PS9_PS4_.kd
    .uniform_work_group_size: 1
    .uses_dynamic_stack: false
    .vgpr_count:     40
    .vgpr_spill_count: 0
    .wavefront_size: 32
    .workgroup_processor_mode: 1
  - .args:
      - .offset:         0
        .size:           4
        .value_kind:     by_value
      - .offset:         4
        .size:           4
        .value_kind:     by_value
      - .offset:         8
        .size:           4
        .value_kind:     by_value
      - .offset:         12
        .size:           4
        .value_kind:     by_value
      - .actual_access:  read_only
        .address_space:  global
        .offset:         16
        .size:           8
        .value_kind:     global_buffer
      - .actual_access:  read_only
        .address_space:  global
        .offset:         24
        .size:           8
        .value_kind:     global_buffer
      - .actual_access:  read_only
        .address_space:  global
        .offset:         32
        .size:           8
        .value_kind:     global_buffer
      - .offset:         40
        .size:           4
        .value_kind:     by_value
      - .offset:         44
        .size:           4
        .value_kind:     by_value
      - .actual_access:  write_only
        .address_space:  global
        .offset:         48
        .size:           8
        .value_kind:     global_buffer
      - .actual_access:  write_only
        .address_space:  global
        .offset:         56
        .size:           8
        .value_kind:     global_buffer
      - .actual_access:  write_only
        .address_space:  global
        .offset:         64
        .size:           8
        .value_kind:     global_buffer
    .group_segment_fixed_size: 0
    .kernarg_segment_align: 8
    .kernarg_segment_size: 72
    .language:       OpenCL C
    .language_version:
      - 2
      - 0
    .max_flat_workgroup_size: 256
    .name:           _ZN9rocsparseL32bsr2csr_block_per_row_2_7_kernelILj256ELj7E21rocsparse_complex_numIdEiiEEv20rocsparse_direction_T3_S4_21rocsparse_index_base_PKT1_PKT2_PKS4_S4_S5_PS6_PS9_PS4_
    .private_segment_fixed_size: 0
    .sgpr_count:     16
    .sgpr_spill_count: 0
    .symbol:         _ZN9rocsparseL32bsr2csr_block_per_row_2_7_kernelILj256ELj7E21rocsparse_complex_numIdEiiEEv20rocsparse_direction_T3_S4_21rocsparse_index_base_PKT1_PKT2_PKS4_S4_S5_PS6_PS9_PS4_.kd
    .uniform_work_group_size: 1
    .uses_dynamic_stack: false
    .vgpr_count:     44
    .vgpr_spill_count: 0
    .wavefront_size: 32
    .workgroup_processor_mode: 1
  - .args:
      - .offset:         0
        .size:           4
        .value_kind:     by_value
      - .offset:         4
        .size:           4
        .value_kind:     by_value
      - .offset:         8
        .size:           4
        .value_kind:     by_value
      - .offset:         12
        .size:           4
        .value_kind:     by_value
      - .actual_access:  read_only
        .address_space:  global
        .offset:         16
        .size:           8
        .value_kind:     global_buffer
      - .actual_access:  read_only
        .address_space:  global
        .offset:         24
        .size:           8
        .value_kind:     global_buffer
      - .actual_access:  read_only
        .address_space:  global
        .offset:         32
        .size:           8
        .value_kind:     global_buffer
      - .offset:         40
        .size:           4
        .value_kind:     by_value
      - .offset:         44
        .size:           4
        .value_kind:     by_value
      - .actual_access:  write_only
        .address_space:  global
        .offset:         48
        .size:           8
        .value_kind:     global_buffer
      - .actual_access:  write_only
        .address_space:  global
        .offset:         56
        .size:           8
        .value_kind:     global_buffer
      - .actual_access:  write_only
        .address_space:  global
        .offset:         64
        .size:           8
        .value_kind:     global_buffer
    .group_segment_fixed_size: 0
    .kernarg_segment_align: 8
    .kernarg_segment_size: 72
    .language:       OpenCL C
    .language_version:
      - 2
      - 0
    .max_flat_workgroup_size: 1024
    .name:           _ZN9rocsparseL33bsr2csr_block_per_row_8_32_kernelILj1024ELj8E21rocsparse_complex_numIdEiiEEv20rocsparse_direction_T3_S4_21rocsparse_index_base_PKT1_PKT2_PKS4_S4_S5_PS6_PS9_PS4_
    .private_segment_fixed_size: 0
    .sgpr_count:     19
    .sgpr_spill_count: 0
    .symbol:         _ZN9rocsparseL33bsr2csr_block_per_row_8_32_kernelILj1024ELj8E21rocsparse_complex_numIdEiiEEv20rocsparse_direction_T3_S4_21rocsparse_index_base_PKT1_PKT2_PKS4_S4_S5_PS6_PS9_PS4_.kd
    .uniform_work_group_size: 1
    .uses_dynamic_stack: false
    .vgpr_count:     17
    .vgpr_spill_count: 0
    .wavefront_size: 32
    .workgroup_processor_mode: 1
  - .args:
      - .offset:         0
        .size:           4
        .value_kind:     by_value
      - .offset:         4
        .size:           4
        .value_kind:     by_value
      - .offset:         8
        .size:           4
        .value_kind:     by_value
      - .offset:         12
        .size:           4
        .value_kind:     by_value
      - .actual_access:  read_only
        .address_space:  global
        .offset:         16
        .size:           8
        .value_kind:     global_buffer
      - .actual_access:  read_only
        .address_space:  global
        .offset:         24
        .size:           8
        .value_kind:     global_buffer
      - .actual_access:  read_only
        .address_space:  global
        .offset:         32
        .size:           8
        .value_kind:     global_buffer
      - .offset:         40
        .size:           4
        .value_kind:     by_value
      - .offset:         44
        .size:           4
        .value_kind:     by_value
      - .actual_access:  write_only
        .address_space:  global
        .offset:         48
        .size:           8
        .value_kind:     global_buffer
      - .actual_access:  write_only
        .address_space:  global
        .offset:         56
        .size:           8
        .value_kind:     global_buffer
      - .actual_access:  write_only
        .address_space:  global
        .offset:         64
        .size:           8
        .value_kind:     global_buffer
    .group_segment_fixed_size: 0
    .kernarg_segment_align: 8
    .kernarg_segment_size: 72
    .language:       OpenCL C
    .language_version:
      - 2
      - 0
    .max_flat_workgroup_size: 1024
    .name:           _ZN9rocsparseL33bsr2csr_block_per_row_8_32_kernelILj1024ELj16E21rocsparse_complex_numIdEiiEEv20rocsparse_direction_T3_S4_21rocsparse_index_base_PKT1_PKT2_PKS4_S4_S5_PS6_PS9_PS4_
    .private_segment_fixed_size: 0
    .sgpr_count:     19
    .sgpr_spill_count: 0
    .symbol:         _ZN9rocsparseL33bsr2csr_block_per_row_8_32_kernelILj1024ELj16E21rocsparse_complex_numIdEiiEEv20rocsparse_direction_T3_S4_21rocsparse_index_base_PKT1_PKT2_PKS4_S4_S5_PS6_PS9_PS4_.kd
    .uniform_work_group_size: 1
    .uses_dynamic_stack: false
    .vgpr_count:     17
    .vgpr_spill_count: 0
    .wavefront_size: 32
    .workgroup_processor_mode: 1
  - .args:
      - .offset:         0
        .size:           4
        .value_kind:     by_value
      - .offset:         4
        .size:           4
        .value_kind:     by_value
      - .offset:         8
        .size:           4
        .value_kind:     by_value
      - .offset:         12
        .size:           4
        .value_kind:     by_value
      - .actual_access:  read_only
        .address_space:  global
        .offset:         16
        .size:           8
        .value_kind:     global_buffer
      - .actual_access:  read_only
        .address_space:  global
        .offset:         24
        .size:           8
        .value_kind:     global_buffer
      - .actual_access:  read_only
        .address_space:  global
        .offset:         32
        .size:           8
        .value_kind:     global_buffer
      - .offset:         40
        .size:           4
        .value_kind:     by_value
      - .offset:         44
        .size:           4
        .value_kind:     by_value
      - .actual_access:  write_only
        .address_space:  global
        .offset:         48
        .size:           8
        .value_kind:     global_buffer
      - .actual_access:  write_only
        .address_space:  global
        .offset:         56
        .size:           8
        .value_kind:     global_buffer
      - .actual_access:  write_only
        .address_space:  global
        .offset:         64
        .size:           8
        .value_kind:     global_buffer
    .group_segment_fixed_size: 0
    .kernarg_segment_align: 8
    .kernarg_segment_size: 72
    .language:       OpenCL C
    .language_version:
      - 2
      - 0
    .max_flat_workgroup_size: 1024
    .name:           _ZN9rocsparseL33bsr2csr_block_per_row_8_32_kernelILj1024ELj32E21rocsparse_complex_numIdEiiEEv20rocsparse_direction_T3_S4_21rocsparse_index_base_PKT1_PKT2_PKS4_S4_S5_PS6_PS9_PS4_
    .private_segment_fixed_size: 0
    .sgpr_count:     20
    .sgpr_spill_count: 0
    .symbol:         _ZN9rocsparseL33bsr2csr_block_per_row_8_32_kernelILj1024ELj32E21rocsparse_complex_numIdEiiEEv20rocsparse_direction_T3_S4_21rocsparse_index_base_PKT1_PKT2_PKS4_S4_S5_PS6_PS9_PS4_.kd
    .uniform_work_group_size: 1
    .uses_dynamic_stack: false
    .vgpr_count:     14
    .vgpr_spill_count: 0
    .wavefront_size: 32
    .workgroup_processor_mode: 1
  - .args:
      - .offset:         0
        .size:           4
        .value_kind:     by_value
      - .offset:         4
        .size:           4
        .value_kind:     by_value
      - .offset:         8
        .size:           4
        .value_kind:     by_value
      - .offset:         12
        .size:           4
        .value_kind:     by_value
      - .actual_access:  read_only
        .address_space:  global
        .offset:         16
        .size:           8
        .value_kind:     global_buffer
      - .actual_access:  read_only
        .address_space:  global
        .offset:         24
        .size:           8
        .value_kind:     global_buffer
      - .actual_access:  read_only
        .address_space:  global
        .offset:         32
        .size:           8
        .value_kind:     global_buffer
      - .offset:         40
        .size:           4
        .value_kind:     by_value
      - .offset:         44
        .size:           4
        .value_kind:     by_value
      - .actual_access:  write_only
        .address_space:  global
        .offset:         48
        .size:           8
        .value_kind:     global_buffer
      - .actual_access:  write_only
        .address_space:  global
        .offset:         56
        .size:           8
        .value_kind:     global_buffer
      - .actual_access:  write_only
        .address_space:  global
        .offset:         64
        .size:           8
        .value_kind:     global_buffer
    .group_segment_fixed_size: 0
    .kernarg_segment_align: 8
    .kernarg_segment_size: 72
    .language:       OpenCL C
    .language_version:
      - 2
      - 0
    .max_flat_workgroup_size: 1024
    .name:           _ZN9rocsparseL35bsr2csr_block_per_row_33_256_kernelILj1024ELj64ELj32E21rocsparse_complex_numIdEiiEEv20rocsparse_direction_T4_S4_21rocsparse_index_base_PKT2_PKT3_PKS4_S4_S5_PS6_PS9_PS4_
    .private_segment_fixed_size: 0
    .sgpr_count:     26
    .sgpr_spill_count: 0
    .symbol:         _ZN9rocsparseL35bsr2csr_block_per_row_33_256_kernelILj1024ELj64ELj32E21rocsparse_complex_numIdEiiEEv20rocsparse_direction_T4_S4_21rocsparse_index_base_PKT2_PKT3_PKS4_S4_S5_PS6_PS9_PS4_.kd
    .uniform_work_group_size: 1
    .uses_dynamic_stack: false
    .vgpr_count:     21
    .vgpr_spill_count: 0
    .wavefront_size: 32
    .workgroup_processor_mode: 1
  - .args:
      - .offset:         0
        .size:           4
        .value_kind:     by_value
      - .offset:         4
        .size:           4
        .value_kind:     by_value
      - .offset:         8
        .size:           4
        .value_kind:     by_value
      - .offset:         12
        .size:           4
        .value_kind:     by_value
      - .actual_access:  read_only
        .address_space:  global
        .offset:         16
        .size:           8
        .value_kind:     global_buffer
      - .actual_access:  read_only
        .address_space:  global
        .offset:         24
        .size:           8
        .value_kind:     global_buffer
      - .actual_access:  read_only
        .address_space:  global
        .offset:         32
        .size:           8
        .value_kind:     global_buffer
      - .offset:         40
        .size:           4
        .value_kind:     by_value
      - .offset:         44
        .size:           4
        .value_kind:     by_value
      - .actual_access:  write_only
        .address_space:  global
        .offset:         48
        .size:           8
        .value_kind:     global_buffer
      - .actual_access:  write_only
        .address_space:  global
        .offset:         56
        .size:           8
        .value_kind:     global_buffer
      - .actual_access:  write_only
        .address_space:  global
        .offset:         64
        .size:           8
        .value_kind:     global_buffer
    .group_segment_fixed_size: 0
    .kernarg_segment_align: 8
    .kernarg_segment_size: 72
    .language:       OpenCL C
    .language_version:
      - 2
      - 0
    .max_flat_workgroup_size: 1024
    .name:           _ZN9rocsparseL35bsr2csr_block_per_row_33_256_kernelILj1024ELj128ELj32E21rocsparse_complex_numIdEiiEEv20rocsparse_direction_T4_S4_21rocsparse_index_base_PKT2_PKT3_PKS4_S4_S5_PS6_PS9_PS4_
    .private_segment_fixed_size: 0
    .sgpr_count:     42
    .sgpr_spill_count: 0
    .symbol:         _ZN9rocsparseL35bsr2csr_block_per_row_33_256_kernelILj1024ELj128ELj32E21rocsparse_complex_numIdEiiEEv20rocsparse_direction_T4_S4_21rocsparse_index_base_PKT2_PKT3_PKS4_S4_S5_PS6_PS9_PS4_.kd
    .uniform_work_group_size: 1
    .uses_dynamic_stack: false
    .vgpr_count:     32
    .vgpr_spill_count: 0
    .wavefront_size: 32
    .workgroup_processor_mode: 1
  - .args:
      - .offset:         0
        .size:           4
        .value_kind:     by_value
      - .offset:         4
        .size:           4
        .value_kind:     by_value
      - .offset:         8
        .size:           4
        .value_kind:     by_value
      - .offset:         12
        .size:           4
        .value_kind:     by_value
      - .actual_access:  read_only
        .address_space:  global
        .offset:         16
        .size:           8
        .value_kind:     global_buffer
      - .actual_access:  read_only
        .address_space:  global
        .offset:         24
        .size:           8
        .value_kind:     global_buffer
      - .actual_access:  read_only
        .address_space:  global
        .offset:         32
        .size:           8
        .value_kind:     global_buffer
      - .offset:         40
        .size:           4
        .value_kind:     by_value
      - .offset:         44
        .size:           4
        .value_kind:     by_value
      - .actual_access:  write_only
        .address_space:  global
        .offset:         48
        .size:           8
        .value_kind:     global_buffer
      - .actual_access:  write_only
        .address_space:  global
        .offset:         56
        .size:           8
        .value_kind:     global_buffer
      - .actual_access:  write_only
        .address_space:  global
        .offset:         64
        .size:           8
        .value_kind:     global_buffer
    .group_segment_fixed_size: 0
    .kernarg_segment_align: 8
    .kernarg_segment_size: 72
    .language:       OpenCL C
    .language_version:
      - 2
      - 0
    .max_flat_workgroup_size: 1024
    .name:           _ZN9rocsparseL35bsr2csr_block_per_row_33_256_kernelILj1024ELj256ELj32E21rocsparse_complex_numIdEiiEEv20rocsparse_direction_T4_S4_21rocsparse_index_base_PKT2_PKT3_PKS4_S4_S5_PS6_PS9_PS4_
    .private_segment_fixed_size: 0
    .sgpr_count:     89
    .sgpr_spill_count: 0
    .symbol:         _ZN9rocsparseL35bsr2csr_block_per_row_33_256_kernelILj1024ELj256ELj32E21rocsparse_complex_numIdEiiEEv20rocsparse_direction_T4_S4_21rocsparse_index_base_PKT2_PKT3_PKS4_S4_S5_PS6_PS9_PS4_.kd
    .uniform_work_group_size: 1
    .uses_dynamic_stack: false
    .vgpr_count:     49
    .vgpr_spill_count: 0
    .wavefront_size: 32
    .workgroup_processor_mode: 1
  - .args:
      - .offset:         0
        .size:           4
        .value_kind:     by_value
      - .offset:         4
        .size:           4
        .value_kind:     by_value
      - .offset:         8
        .size:           4
        .value_kind:     by_value
      - .actual_access:  read_only
        .address_space:  global
        .offset:         16
        .size:           8
        .value_kind:     global_buffer
      - .actual_access:  read_only
        .address_space:  global
        .offset:         24
        .size:           8
        .value_kind:     global_buffer
      - .actual_access:  read_only
        .address_space:  global
        .offset:         32
        .size:           8
        .value_kind:     global_buffer
      - .offset:         40
        .size:           4
        .value_kind:     by_value
      - .actual_access:  write_only
        .address_space:  global
        .offset:         48
        .size:           8
        .value_kind:     global_buffer
      - .actual_access:  write_only
        .address_space:  global
        .offset:         56
        .size:           8
        .value_kind:     global_buffer
      - .actual_access:  write_only
        .address_space:  global
        .offset:         64
        .size:           8
        .value_kind:     global_buffer
      - .offset:         72
        .size:           4
        .value_kind:     hidden_block_count_x
      - .offset:         76
        .size:           4
        .value_kind:     hidden_block_count_y
      - .offset:         80
        .size:           4
        .value_kind:     hidden_block_count_z
      - .offset:         84
        .size:           2
        .value_kind:     hidden_group_size_x
      - .offset:         86
        .size:           2
        .value_kind:     hidden_group_size_y
      - .offset:         88
        .size:           2
        .value_kind:     hidden_group_size_z
      - .offset:         90
        .size:           2
        .value_kind:     hidden_remainder_x
      - .offset:         92
        .size:           2
        .value_kind:     hidden_remainder_y
      - .offset:         94
        .size:           2
        .value_kind:     hidden_remainder_z
      - .offset:         112
        .size:           8
        .value_kind:     hidden_global_offset_x
      - .offset:         120
        .size:           8
        .value_kind:     hidden_global_offset_y
      - .offset:         128
        .size:           8
        .value_kind:     hidden_global_offset_z
      - .offset:         136
        .size:           2
        .value_kind:     hidden_grid_dims
    .group_segment_fixed_size: 0
    .kernarg_segment_align: 8
    .kernarg_segment_size: 328
    .language:       OpenCL C
    .language_version:
      - 2
      - 0
    .max_flat_workgroup_size: 1024
    .name:           _ZN9rocsparseL35bsr2csr_block_dim_equals_one_kernelILj1024E21rocsparse_complex_numIdEliEEvT2_S3_21rocsparse_index_base_PKT0_PKT1_PKS3_S4_PS5_PS8_PS3_
    .private_segment_fixed_size: 0
    .sgpr_count:     26
    .sgpr_spill_count: 0
    .symbol:         _ZN9rocsparseL35bsr2csr_block_dim_equals_one_kernelILj1024E21rocsparse_complex_numIdEliEEvT2_S3_21rocsparse_index_base_PKT0_PKT1_PKS3_S4_PS5_PS8_PS3_.kd
    .uniform_work_group_size: 1
    .uses_dynamic_stack: false
    .vgpr_count:     13
    .vgpr_spill_count: 0
    .wavefront_size: 32
    .workgroup_processor_mode: 1
  - .args:
      - .offset:         0
        .size:           4
        .value_kind:     by_value
      - .offset:         4
        .size:           4
        .value_kind:     by_value
      - .offset:         8
        .size:           4
        .value_kind:     by_value
      - .offset:         12
        .size:           4
        .value_kind:     by_value
      - .actual_access:  read_only
        .address_space:  global
        .offset:         16
        .size:           8
        .value_kind:     global_buffer
      - .actual_access:  read_only
        .address_space:  global
        .offset:         24
        .size:           8
        .value_kind:     global_buffer
      - .actual_access:  read_only
        .address_space:  global
        .offset:         32
        .size:           8
        .value_kind:     global_buffer
      - .offset:         40
        .size:           4
        .value_kind:     by_value
      - .offset:         44
        .size:           4
        .value_kind:     by_value
      - .actual_access:  write_only
        .address_space:  global
        .offset:         48
        .size:           8
        .value_kind:     global_buffer
      - .actual_access:  write_only
        .address_space:  global
        .offset:         56
        .size:           8
        .value_kind:     global_buffer
      - .actual_access:  write_only
        .address_space:  global
        .offset:         64
        .size:           8
        .value_kind:     global_buffer
    .group_segment_fixed_size: 0
    .kernarg_segment_align: 8
    .kernarg_segment_size: 72
    .language:       OpenCL C
    .language_version:
      - 2
      - 0
    .max_flat_workgroup_size: 256
    .name:           _ZN9rocsparseL32bsr2csr_block_per_row_2_7_kernelILj256ELj2E21rocsparse_complex_numIdEliEEv20rocsparse_direction_T3_S4_21rocsparse_index_base_PKT1_PKT2_PKS4_S4_S5_PS6_PS9_PS4_
    .private_segment_fixed_size: 0
    .sgpr_count:     20
    .sgpr_spill_count: 0
    .symbol:         _ZN9rocsparseL32bsr2csr_block_per_row_2_7_kernelILj256ELj2E21rocsparse_complex_numIdEliEEv20rocsparse_direction_T3_S4_21rocsparse_index_base_PKT1_PKT2_PKS4_S4_S5_PS6_PS9_PS4_.kd
    .uniform_work_group_size: 1
    .uses_dynamic_stack: false
    .vgpr_count:     22
    .vgpr_spill_count: 0
    .wavefront_size: 32
    .workgroup_processor_mode: 1
  - .args:
      - .offset:         0
        .size:           4
        .value_kind:     by_value
      - .offset:         4
        .size:           4
        .value_kind:     by_value
      - .offset:         8
        .size:           4
        .value_kind:     by_value
      - .offset:         12
        .size:           4
        .value_kind:     by_value
      - .actual_access:  read_only
        .address_space:  global
        .offset:         16
        .size:           8
        .value_kind:     global_buffer
      - .actual_access:  read_only
        .address_space:  global
        .offset:         24
        .size:           8
        .value_kind:     global_buffer
      - .actual_access:  read_only
        .address_space:  global
        .offset:         32
        .size:           8
        .value_kind:     global_buffer
      - .offset:         40
        .size:           4
        .value_kind:     by_value
      - .offset:         44
        .size:           4
        .value_kind:     by_value
      - .actual_access:  write_only
        .address_space:  global
        .offset:         48
        .size:           8
        .value_kind:     global_buffer
      - .actual_access:  write_only
        .address_space:  global
        .offset:         56
        .size:           8
        .value_kind:     global_buffer
      - .actual_access:  write_only
        .address_space:  global
        .offset:         64
        .size:           8
        .value_kind:     global_buffer
    .group_segment_fixed_size: 0
    .kernarg_segment_align: 8
    .kernarg_segment_size: 72
    .language:       OpenCL C
    .language_version:
      - 2
      - 0
    .max_flat_workgroup_size: 256
    .name:           _ZN9rocsparseL32bsr2csr_block_per_row_2_7_kernelILj256ELj3E21rocsparse_complex_numIdEliEEv20rocsparse_direction_T3_S4_21rocsparse_index_base_PKT1_PKT2_PKS4_S4_S5_PS6_PS9_PS4_
    .private_segment_fixed_size: 0
    .sgpr_count:     17
    .sgpr_spill_count: 0
    .symbol:         _ZN9rocsparseL32bsr2csr_block_per_row_2_7_kernelILj256ELj3E21rocsparse_complex_numIdEliEEv20rocsparse_direction_T3_S4_21rocsparse_index_base_PKT1_PKT2_PKS4_S4_S5_PS6_PS9_PS4_.kd
    .uniform_work_group_size: 1
    .uses_dynamic_stack: false
    .vgpr_count:     27
    .vgpr_spill_count: 0
    .wavefront_size: 32
    .workgroup_processor_mode: 1
  - .args:
      - .offset:         0
        .size:           4
        .value_kind:     by_value
      - .offset:         4
        .size:           4
        .value_kind:     by_value
      - .offset:         8
        .size:           4
        .value_kind:     by_value
      - .offset:         12
        .size:           4
        .value_kind:     by_value
      - .actual_access:  read_only
        .address_space:  global
        .offset:         16
        .size:           8
        .value_kind:     global_buffer
      - .actual_access:  read_only
        .address_space:  global
        .offset:         24
        .size:           8
        .value_kind:     global_buffer
      - .actual_access:  read_only
        .address_space:  global
        .offset:         32
        .size:           8
        .value_kind:     global_buffer
      - .offset:         40
        .size:           4
        .value_kind:     by_value
      - .offset:         44
        .size:           4
        .value_kind:     by_value
      - .actual_access:  write_only
        .address_space:  global
        .offset:         48
        .size:           8
        .value_kind:     global_buffer
      - .actual_access:  write_only
        .address_space:  global
        .offset:         56
        .size:           8
        .value_kind:     global_buffer
      - .actual_access:  write_only
        .address_space:  global
        .offset:         64
        .size:           8
        .value_kind:     global_buffer
    .group_segment_fixed_size: 0
    .kernarg_segment_align: 8
    .kernarg_segment_size: 72
    .language:       OpenCL C
    .language_version:
      - 2
      - 0
    .max_flat_workgroup_size: 256
    .name:           _ZN9rocsparseL32bsr2csr_block_per_row_2_7_kernelILj256ELj4E21rocsparse_complex_numIdEliEEv20rocsparse_direction_T3_S4_21rocsparse_index_base_PKT1_PKT2_PKS4_S4_S5_PS6_PS9_PS4_
    .private_segment_fixed_size: 0
    .sgpr_count:     22
    .sgpr_spill_count: 0
    .symbol:         _ZN9rocsparseL32bsr2csr_block_per_row_2_7_kernelILj256ELj4E21rocsparse_complex_numIdEliEEv20rocsparse_direction_T3_S4_21rocsparse_index_base_PKT1_PKT2_PKS4_S4_S5_PS6_PS9_PS4_.kd
    .uniform_work_group_size: 1
    .uses_dynamic_stack: false
    .vgpr_count:     32
    .vgpr_spill_count: 0
    .wavefront_size: 32
    .workgroup_processor_mode: 1
  - .args:
      - .offset:         0
        .size:           4
        .value_kind:     by_value
      - .offset:         4
        .size:           4
        .value_kind:     by_value
      - .offset:         8
        .size:           4
        .value_kind:     by_value
      - .offset:         12
        .size:           4
        .value_kind:     by_value
      - .actual_access:  read_only
        .address_space:  global
        .offset:         16
        .size:           8
        .value_kind:     global_buffer
      - .actual_access:  read_only
        .address_space:  global
        .offset:         24
        .size:           8
        .value_kind:     global_buffer
      - .actual_access:  read_only
        .address_space:  global
        .offset:         32
        .size:           8
        .value_kind:     global_buffer
      - .offset:         40
        .size:           4
        .value_kind:     by_value
      - .offset:         44
        .size:           4
        .value_kind:     by_value
      - .actual_access:  write_only
        .address_space:  global
        .offset:         48
        .size:           8
        .value_kind:     global_buffer
      - .actual_access:  write_only
        .address_space:  global
        .offset:         56
        .size:           8
        .value_kind:     global_buffer
      - .actual_access:  write_only
        .address_space:  global
        .offset:         64
        .size:           8
        .value_kind:     global_buffer
    .group_segment_fixed_size: 0
    .kernarg_segment_align: 8
    .kernarg_segment_size: 72
    .language:       OpenCL C
    .language_version:
      - 2
      - 0
    .max_flat_workgroup_size: 256
    .name:           _ZN9rocsparseL32bsr2csr_block_per_row_2_7_kernelILj256ELj5E21rocsparse_complex_numIdEliEEv20rocsparse_direction_T3_S4_21rocsparse_index_base_PKT1_PKT2_PKS4_S4_S5_PS6_PS9_PS4_
    .private_segment_fixed_size: 0
    .sgpr_count:     17
    .sgpr_spill_count: 0
    .symbol:         _ZN9rocsparseL32bsr2csr_block_per_row_2_7_kernelILj256ELj5E21rocsparse_complex_numIdEliEEv20rocsparse_direction_T3_S4_21rocsparse_index_base_PKT1_PKT2_PKS4_S4_S5_PS6_PS9_PS4_.kd
    .uniform_work_group_size: 1
    .uses_dynamic_stack: false
    .vgpr_count:     36
    .vgpr_spill_count: 0
    .wavefront_size: 32
    .workgroup_processor_mode: 1
  - .args:
      - .offset:         0
        .size:           4
        .value_kind:     by_value
      - .offset:         4
        .size:           4
        .value_kind:     by_value
      - .offset:         8
        .size:           4
        .value_kind:     by_value
      - .offset:         12
        .size:           4
        .value_kind:     by_value
      - .actual_access:  read_only
        .address_space:  global
        .offset:         16
        .size:           8
        .value_kind:     global_buffer
      - .actual_access:  read_only
        .address_space:  global
        .offset:         24
        .size:           8
        .value_kind:     global_buffer
      - .actual_access:  read_only
        .address_space:  global
        .offset:         32
        .size:           8
        .value_kind:     global_buffer
      - .offset:         40
        .size:           4
        .value_kind:     by_value
      - .offset:         44
        .size:           4
        .value_kind:     by_value
      - .actual_access:  write_only
        .address_space:  global
        .offset:         48
        .size:           8
        .value_kind:     global_buffer
      - .actual_access:  write_only
        .address_space:  global
        .offset:         56
        .size:           8
        .value_kind:     global_buffer
      - .actual_access:  write_only
        .address_space:  global
        .offset:         64
        .size:           8
        .value_kind:     global_buffer
    .group_segment_fixed_size: 0
    .kernarg_segment_align: 8
    .kernarg_segment_size: 72
    .language:       OpenCL C
    .language_version:
      - 2
      - 0
    .max_flat_workgroup_size: 256
    .name:           _ZN9rocsparseL32bsr2csr_block_per_row_2_7_kernelILj256ELj6E21rocsparse_complex_numIdEliEEv20rocsparse_direction_T3_S4_21rocsparse_index_base_PKT1_PKT2_PKS4_S4_S5_PS6_PS9_PS4_
    .private_segment_fixed_size: 0
    .sgpr_count:     17
    .sgpr_spill_count: 0
    .symbol:         _ZN9rocsparseL32bsr2csr_block_per_row_2_7_kernelILj256ELj6E21rocsparse_complex_numIdEliEEv20rocsparse_direction_T3_S4_21rocsparse_index_base_PKT1_PKT2_PKS4_S4_S5_PS6_PS9_PS4_.kd
    .uniform_work_group_size: 1
    .uses_dynamic_stack: false
    .vgpr_count:     40
    .vgpr_spill_count: 0
    .wavefront_size: 32
    .workgroup_processor_mode: 1
  - .args:
      - .offset:         0
        .size:           4
        .value_kind:     by_value
      - .offset:         4
        .size:           4
        .value_kind:     by_value
      - .offset:         8
        .size:           4
        .value_kind:     by_value
      - .offset:         12
        .size:           4
        .value_kind:     by_value
      - .actual_access:  read_only
        .address_space:  global
        .offset:         16
        .size:           8
        .value_kind:     global_buffer
      - .actual_access:  read_only
        .address_space:  global
        .offset:         24
        .size:           8
        .value_kind:     global_buffer
      - .actual_access:  read_only
        .address_space:  global
        .offset:         32
        .size:           8
        .value_kind:     global_buffer
      - .offset:         40
        .size:           4
        .value_kind:     by_value
      - .offset:         44
        .size:           4
        .value_kind:     by_value
      - .actual_access:  write_only
        .address_space:  global
        .offset:         48
        .size:           8
        .value_kind:     global_buffer
      - .actual_access:  write_only
        .address_space:  global
        .offset:         56
        .size:           8
        .value_kind:     global_buffer
      - .actual_access:  write_only
        .address_space:  global
        .offset:         64
        .size:           8
        .value_kind:     global_buffer
    .group_segment_fixed_size: 0
    .kernarg_segment_align: 8
    .kernarg_segment_size: 72
    .language:       OpenCL C
    .language_version:
      - 2
      - 0
    .max_flat_workgroup_size: 256
    .name:           _ZN9rocsparseL32bsr2csr_block_per_row_2_7_kernelILj256ELj7E21rocsparse_complex_numIdEliEEv20rocsparse_direction_T3_S4_21rocsparse_index_base_PKT1_PKT2_PKS4_S4_S5_PS6_PS9_PS4_
    .private_segment_fixed_size: 0
    .sgpr_count:     17
    .sgpr_spill_count: 0
    .symbol:         _ZN9rocsparseL32bsr2csr_block_per_row_2_7_kernelILj256ELj7E21rocsparse_complex_numIdEliEEv20rocsparse_direction_T3_S4_21rocsparse_index_base_PKT1_PKT2_PKS4_S4_S5_PS6_PS9_PS4_.kd
    .uniform_work_group_size: 1
    .uses_dynamic_stack: false
    .vgpr_count:     44
    .vgpr_spill_count: 0
    .wavefront_size: 32
    .workgroup_processor_mode: 1
  - .args:
      - .offset:         0
        .size:           4
        .value_kind:     by_value
      - .offset:         4
        .size:           4
        .value_kind:     by_value
      - .offset:         8
        .size:           4
        .value_kind:     by_value
      - .offset:         12
        .size:           4
        .value_kind:     by_value
      - .actual_access:  read_only
        .address_space:  global
        .offset:         16
        .size:           8
        .value_kind:     global_buffer
      - .actual_access:  read_only
        .address_space:  global
        .offset:         24
        .size:           8
        .value_kind:     global_buffer
      - .actual_access:  read_only
        .address_space:  global
        .offset:         32
        .size:           8
        .value_kind:     global_buffer
      - .offset:         40
        .size:           4
        .value_kind:     by_value
      - .offset:         44
        .size:           4
        .value_kind:     by_value
      - .actual_access:  write_only
        .address_space:  global
        .offset:         48
        .size:           8
        .value_kind:     global_buffer
      - .actual_access:  write_only
        .address_space:  global
        .offset:         56
        .size:           8
        .value_kind:     global_buffer
      - .actual_access:  write_only
        .address_space:  global
        .offset:         64
        .size:           8
        .value_kind:     global_buffer
    .group_segment_fixed_size: 0
    .kernarg_segment_align: 8
    .kernarg_segment_size: 72
    .language:       OpenCL C
    .language_version:
      - 2
      - 0
    .max_flat_workgroup_size: 1024
    .name:           _ZN9rocsparseL33bsr2csr_block_per_row_8_32_kernelILj1024ELj8E21rocsparse_complex_numIdEliEEv20rocsparse_direction_T3_S4_21rocsparse_index_base_PKT1_PKT2_PKS4_S4_S5_PS6_PS9_PS4_
    .private_segment_fixed_size: 0
    .sgpr_count:     24
    .sgpr_spill_count: 0
    .symbol:         _ZN9rocsparseL33bsr2csr_block_per_row_8_32_kernelILj1024ELj8E21rocsparse_complex_numIdEliEEv20rocsparse_direction_T3_S4_21rocsparse_index_base_PKT1_PKT2_PKS4_S4_S5_PS6_PS9_PS4_.kd
    .uniform_work_group_size: 1
    .uses_dynamic_stack: false
    .vgpr_count:     16
    .vgpr_spill_count: 0
    .wavefront_size: 32
    .workgroup_processor_mode: 1
  - .args:
      - .offset:         0
        .size:           4
        .value_kind:     by_value
      - .offset:         4
        .size:           4
        .value_kind:     by_value
      - .offset:         8
        .size:           4
        .value_kind:     by_value
      - .offset:         12
        .size:           4
        .value_kind:     by_value
      - .actual_access:  read_only
        .address_space:  global
        .offset:         16
        .size:           8
        .value_kind:     global_buffer
      - .actual_access:  read_only
        .address_space:  global
        .offset:         24
        .size:           8
        .value_kind:     global_buffer
      - .actual_access:  read_only
        .address_space:  global
        .offset:         32
        .size:           8
        .value_kind:     global_buffer
      - .offset:         40
        .size:           4
        .value_kind:     by_value
      - .offset:         44
        .size:           4
        .value_kind:     by_value
      - .actual_access:  write_only
        .address_space:  global
        .offset:         48
        .size:           8
        .value_kind:     global_buffer
      - .actual_access:  write_only
        .address_space:  global
        .offset:         56
        .size:           8
        .value_kind:     global_buffer
      - .actual_access:  write_only
        .address_space:  global
        .offset:         64
        .size:           8
        .value_kind:     global_buffer
    .group_segment_fixed_size: 0
    .kernarg_segment_align: 8
    .kernarg_segment_size: 72
    .language:       OpenCL C
    .language_version:
      - 2
      - 0
    .max_flat_workgroup_size: 1024
    .name:           _ZN9rocsparseL33bsr2csr_block_per_row_8_32_kernelILj1024ELj16E21rocsparse_complex_numIdEliEEv20rocsparse_direction_T3_S4_21rocsparse_index_base_PKT1_PKT2_PKS4_S4_S5_PS6_PS9_PS4_
    .private_segment_fixed_size: 0
    .sgpr_count:     24
    .sgpr_spill_count: 0
    .symbol:         _ZN9rocsparseL33bsr2csr_block_per_row_8_32_kernelILj1024ELj16E21rocsparse_complex_numIdEliEEv20rocsparse_direction_T3_S4_21rocsparse_index_base_PKT1_PKT2_PKS4_S4_S5_PS6_PS9_PS4_.kd
    .uniform_work_group_size: 1
    .uses_dynamic_stack: false
    .vgpr_count:     16
    .vgpr_spill_count: 0
    .wavefront_size: 32
    .workgroup_processor_mode: 1
  - .args:
      - .offset:         0
        .size:           4
        .value_kind:     by_value
      - .offset:         4
        .size:           4
        .value_kind:     by_value
      - .offset:         8
        .size:           4
        .value_kind:     by_value
      - .offset:         12
        .size:           4
        .value_kind:     by_value
      - .actual_access:  read_only
        .address_space:  global
        .offset:         16
        .size:           8
        .value_kind:     global_buffer
      - .actual_access:  read_only
        .address_space:  global
        .offset:         24
        .size:           8
        .value_kind:     global_buffer
      - .actual_access:  read_only
        .address_space:  global
        .offset:         32
        .size:           8
        .value_kind:     global_buffer
      - .offset:         40
        .size:           4
        .value_kind:     by_value
      - .offset:         44
        .size:           4
        .value_kind:     by_value
      - .actual_access:  write_only
        .address_space:  global
        .offset:         48
        .size:           8
        .value_kind:     global_buffer
      - .actual_access:  write_only
        .address_space:  global
        .offset:         56
        .size:           8
        .value_kind:     global_buffer
      - .actual_access:  write_only
        .address_space:  global
        .offset:         64
        .size:           8
        .value_kind:     global_buffer
    .group_segment_fixed_size: 0
    .kernarg_segment_align: 8
    .kernarg_segment_size: 72
    .language:       OpenCL C
    .language_version:
      - 2
      - 0
    .max_flat_workgroup_size: 1024
    .name:           _ZN9rocsparseL33bsr2csr_block_per_row_8_32_kernelILj1024ELj32E21rocsparse_complex_numIdEliEEv20rocsparse_direction_T3_S4_21rocsparse_index_base_PKT1_PKT2_PKS4_S4_S5_PS6_PS9_PS4_
    .private_segment_fixed_size: 0
    .sgpr_count:     27
    .sgpr_spill_count: 0
    .symbol:         _ZN9rocsparseL33bsr2csr_block_per_row_8_32_kernelILj1024ELj32E21rocsparse_complex_numIdEliEEv20rocsparse_direction_T3_S4_21rocsparse_index_base_PKT1_PKT2_PKS4_S4_S5_PS6_PS9_PS4_.kd
    .uniform_work_group_size: 1
    .uses_dynamic_stack: false
    .vgpr_count:     13
    .vgpr_spill_count: 0
    .wavefront_size: 32
    .workgroup_processor_mode: 1
  - .args:
      - .offset:         0
        .size:           4
        .value_kind:     by_value
      - .offset:         4
        .size:           4
        .value_kind:     by_value
      - .offset:         8
        .size:           4
        .value_kind:     by_value
      - .offset:         12
        .size:           4
        .value_kind:     by_value
      - .actual_access:  read_only
        .address_space:  global
        .offset:         16
        .size:           8
        .value_kind:     global_buffer
      - .actual_access:  read_only
        .address_space:  global
        .offset:         24
        .size:           8
        .value_kind:     global_buffer
      - .actual_access:  read_only
        .address_space:  global
        .offset:         32
        .size:           8
        .value_kind:     global_buffer
      - .offset:         40
        .size:           4
        .value_kind:     by_value
      - .offset:         44
        .size:           4
        .value_kind:     by_value
      - .actual_access:  write_only
        .address_space:  global
        .offset:         48
        .size:           8
        .value_kind:     global_buffer
      - .actual_access:  write_only
        .address_space:  global
        .offset:         56
        .size:           8
        .value_kind:     global_buffer
      - .actual_access:  write_only
        .address_space:  global
        .offset:         64
        .size:           8
        .value_kind:     global_buffer
    .group_segment_fixed_size: 0
    .kernarg_segment_align: 8
    .kernarg_segment_size: 72
    .language:       OpenCL C
    .language_version:
      - 2
      - 0
    .max_flat_workgroup_size: 1024
    .name:           _ZN9rocsparseL35bsr2csr_block_per_row_33_256_kernelILj1024ELj64ELj32E21rocsparse_complex_numIdEliEEv20rocsparse_direction_T4_S4_21rocsparse_index_base_PKT2_PKT3_PKS4_S4_S5_PS6_PS9_PS4_
    .private_segment_fixed_size: 0
    .sgpr_count:     38
    .sgpr_spill_count: 0
    .symbol:         _ZN9rocsparseL35bsr2csr_block_per_row_33_256_kernelILj1024ELj64ELj32E21rocsparse_complex_numIdEliEEv20rocsparse_direction_T4_S4_21rocsparse_index_base_PKT2_PKT3_PKS4_S4_S5_PS6_PS9_PS4_.kd
    .uniform_work_group_size: 1
    .uses_dynamic_stack: false
    .vgpr_count:     30
    .vgpr_spill_count: 0
    .wavefront_size: 32
    .workgroup_processor_mode: 1
  - .args:
      - .offset:         0
        .size:           4
        .value_kind:     by_value
      - .offset:         4
        .size:           4
        .value_kind:     by_value
      - .offset:         8
        .size:           4
        .value_kind:     by_value
      - .offset:         12
        .size:           4
        .value_kind:     by_value
      - .actual_access:  read_only
        .address_space:  global
        .offset:         16
        .size:           8
        .value_kind:     global_buffer
      - .actual_access:  read_only
        .address_space:  global
        .offset:         24
        .size:           8
        .value_kind:     global_buffer
      - .actual_access:  read_only
        .address_space:  global
        .offset:         32
        .size:           8
        .value_kind:     global_buffer
      - .offset:         40
        .size:           4
        .value_kind:     by_value
      - .offset:         44
        .size:           4
        .value_kind:     by_value
      - .actual_access:  write_only
        .address_space:  global
        .offset:         48
        .size:           8
        .value_kind:     global_buffer
      - .actual_access:  write_only
        .address_space:  global
        .offset:         56
        .size:           8
        .value_kind:     global_buffer
      - .actual_access:  write_only
        .address_space:  global
        .offset:         64
        .size:           8
        .value_kind:     global_buffer
    .group_segment_fixed_size: 0
    .kernarg_segment_align: 8
    .kernarg_segment_size: 72
    .language:       OpenCL C
    .language_version:
      - 2
      - 0
    .max_flat_workgroup_size: 1024
    .name:           _ZN9rocsparseL35bsr2csr_block_per_row_33_256_kernelILj1024ELj128ELj32E21rocsparse_complex_numIdEliEEv20rocsparse_direction_T4_S4_21rocsparse_index_base_PKT2_PKT3_PKS4_S4_S5_PS6_PS9_PS4_
    .private_segment_fixed_size: 0
    .sgpr_count:     52
    .sgpr_spill_count: 0
    .symbol:         _ZN9rocsparseL35bsr2csr_block_per_row_33_256_kernelILj1024ELj128ELj32E21rocsparse_complex_numIdEliEEv20rocsparse_direction_T4_S4_21rocsparse_index_base_PKT2_PKT3_PKS4_S4_S5_PS6_PS9_PS4_.kd
    .uniform_work_group_size: 1
    .uses_dynamic_stack: false
    .vgpr_count:     48
    .vgpr_spill_count: 0
    .wavefront_size: 32
    .workgroup_processor_mode: 1
  - .args:
      - .offset:         0
        .size:           4
        .value_kind:     by_value
      - .offset:         4
        .size:           4
        .value_kind:     by_value
      - .offset:         8
        .size:           4
        .value_kind:     by_value
      - .offset:         12
        .size:           4
        .value_kind:     by_value
      - .actual_access:  read_only
        .address_space:  global
        .offset:         16
        .size:           8
        .value_kind:     global_buffer
      - .actual_access:  read_only
        .address_space:  global
        .offset:         24
        .size:           8
        .value_kind:     global_buffer
      - .actual_access:  read_only
        .address_space:  global
        .offset:         32
        .size:           8
        .value_kind:     global_buffer
      - .offset:         40
        .size:           4
        .value_kind:     by_value
      - .offset:         44
        .size:           4
        .value_kind:     by_value
      - .actual_access:  write_only
        .address_space:  global
        .offset:         48
        .size:           8
        .value_kind:     global_buffer
      - .actual_access:  write_only
        .address_space:  global
        .offset:         56
        .size:           8
        .value_kind:     global_buffer
      - .actual_access:  write_only
        .address_space:  global
        .offset:         64
        .size:           8
        .value_kind:     global_buffer
    .group_segment_fixed_size: 0
    .kernarg_segment_align: 8
    .kernarg_segment_size: 72
    .language:       OpenCL C
    .language_version:
      - 2
      - 0
    .max_flat_workgroup_size: 1024
    .name:           _ZN9rocsparseL35bsr2csr_block_per_row_33_256_kernelILj1024ELj256ELj32E21rocsparse_complex_numIdEliEEv20rocsparse_direction_T4_S4_21rocsparse_index_base_PKT2_PKT3_PKS4_S4_S5_PS6_PS9_PS4_
    .private_segment_fixed_size: 0
    .sgpr_count:     96
    .sgpr_spill_count: 0
    .symbol:         _ZN9rocsparseL35bsr2csr_block_per_row_33_256_kernelILj1024ELj256ELj32E21rocsparse_complex_numIdEliEEv20rocsparse_direction_T4_S4_21rocsparse_index_base_PKT2_PKT3_PKS4_S4_S5_PS6_PS9_PS4_.kd
    .uniform_work_group_size: 1
    .uses_dynamic_stack: false
    .vgpr_count:     88
    .vgpr_spill_count: 0
    .wavefront_size: 32
    .workgroup_processor_mode: 1
  - .args:
      - .offset:         0
        .size:           8
        .value_kind:     by_value
      - .offset:         8
        .size:           8
        .value_kind:     by_value
      - .offset:         16
        .size:           4
        .value_kind:     by_value
      - .actual_access:  read_only
        .address_space:  global
        .offset:         24
        .size:           8
        .value_kind:     global_buffer
      - .actual_access:  read_only
        .address_space:  global
        .offset:         32
        .size:           8
        .value_kind:     global_buffer
      - .actual_access:  read_only
        .address_space:  global
        .offset:         40
        .size:           8
        .value_kind:     global_buffer
      - .offset:         48
        .size:           4
        .value_kind:     by_value
      - .actual_access:  write_only
        .address_space:  global
        .offset:         56
        .size:           8
        .value_kind:     global_buffer
      - .actual_access:  write_only
        .address_space:  global
        .offset:         64
        .size:           8
        .value_kind:     global_buffer
      - .actual_access:  write_only
        .address_space:  global
        .offset:         72
        .size:           8
        .value_kind:     global_buffer
      - .offset:         80
        .size:           4
        .value_kind:     hidden_block_count_x
      - .offset:         84
        .size:           4
        .value_kind:     hidden_block_count_y
      - .offset:         88
        .size:           4
        .value_kind:     hidden_block_count_z
      - .offset:         92
        .size:           2
        .value_kind:     hidden_group_size_x
      - .offset:         94
        .size:           2
        .value_kind:     hidden_group_size_y
      - .offset:         96
        .size:           2
        .value_kind:     hidden_group_size_z
      - .offset:         98
        .size:           2
        .value_kind:     hidden_remainder_x
      - .offset:         100
        .size:           2
        .value_kind:     hidden_remainder_y
      - .offset:         102
        .size:           2
        .value_kind:     hidden_remainder_z
      - .offset:         120
        .size:           8
        .value_kind:     hidden_global_offset_x
      - .offset:         128
        .size:           8
        .value_kind:     hidden_global_offset_y
      - .offset:         136
        .size:           8
        .value_kind:     hidden_global_offset_z
      - .offset:         144
        .size:           2
        .value_kind:     hidden_grid_dims
    .group_segment_fixed_size: 0
    .kernarg_segment_align: 8
    .kernarg_segment_size: 336
    .language:       OpenCL C
    .language_version:
      - 2
      - 0
    .max_flat_workgroup_size: 1024
    .name:           _ZN9rocsparseL35bsr2csr_block_dim_equals_one_kernelILj1024E21rocsparse_complex_numIdEilEEvT2_S3_21rocsparse_index_base_PKT0_PKT1_PKS3_S4_PS5_PS8_PS3_
    .private_segment_fixed_size: 0
    .sgpr_count:     24
    .sgpr_spill_count: 0
    .symbol:         _ZN9rocsparseL35bsr2csr_block_dim_equals_one_kernelILj1024E21rocsparse_complex_numIdEilEEvT2_S3_21rocsparse_index_base_PKT0_PKT1_PKS3_S4_PS5_PS8_PS3_.kd
    .uniform_work_group_size: 1
    .uses_dynamic_stack: false
    .vgpr_count:     16
    .vgpr_spill_count: 0
    .wavefront_size: 32
    .workgroup_processor_mode: 1
  - .args:
      - .offset:         0
        .size:           4
        .value_kind:     by_value
      - .offset:         8
        .size:           8
        .value_kind:     by_value
      - .offset:         16
        .size:           8
        .value_kind:     by_value
      - .offset:         24
        .size:           4
        .value_kind:     by_value
      - .actual_access:  read_only
        .address_space:  global
        .offset:         32
        .size:           8
        .value_kind:     global_buffer
      - .actual_access:  read_only
        .address_space:  global
        .offset:         40
        .size:           8
        .value_kind:     global_buffer
      - .actual_access:  read_only
        .address_space:  global
        .offset:         48
        .size:           8
        .value_kind:     global_buffer
      - .offset:         56
        .size:           8
        .value_kind:     by_value
      - .offset:         64
        .size:           4
        .value_kind:     by_value
      - .actual_access:  write_only
        .address_space:  global
        .offset:         72
        .size:           8
        .value_kind:     global_buffer
      - .actual_access:  write_only
        .address_space:  global
        .offset:         80
        .size:           8
        .value_kind:     global_buffer
      - .actual_access:  write_only
        .address_space:  global
        .offset:         88
        .size:           8
        .value_kind:     global_buffer
    .group_segment_fixed_size: 0
    .kernarg_segment_align: 8
    .kernarg_segment_size: 96
    .language:       OpenCL C
    .language_version:
      - 2
      - 0
    .max_flat_workgroup_size: 256
    .name:           _ZN9rocsparseL32bsr2csr_block_per_row_2_7_kernelILj256ELj2E21rocsparse_complex_numIdEilEEv20rocsparse_direction_T3_S4_21rocsparse_index_base_PKT1_PKT2_PKS4_S4_S5_PS6_PS9_PS4_
    .private_segment_fixed_size: 0
    .sgpr_count:     17
    .sgpr_spill_count: 0
    .symbol:         _ZN9rocsparseL32bsr2csr_block_per_row_2_7_kernelILj256ELj2E21rocsparse_complex_numIdEilEEv20rocsparse_direction_T3_S4_21rocsparse_index_base_PKT1_PKT2_PKS4_S4_S5_PS6_PS9_PS4_.kd
    .uniform_work_group_size: 1
    .uses_dynamic_stack: false
    .vgpr_count:     25
    .vgpr_spill_count: 0
    .wavefront_size: 32
    .workgroup_processor_mode: 1
  - .args:
      - .offset:         0
        .size:           4
        .value_kind:     by_value
      - .offset:         8
        .size:           8
        .value_kind:     by_value
      - .offset:         16
        .size:           8
        .value_kind:     by_value
      - .offset:         24
        .size:           4
        .value_kind:     by_value
      - .actual_access:  read_only
        .address_space:  global
        .offset:         32
        .size:           8
        .value_kind:     global_buffer
      - .actual_access:  read_only
        .address_space:  global
        .offset:         40
        .size:           8
        .value_kind:     global_buffer
      - .actual_access:  read_only
        .address_space:  global
        .offset:         48
        .size:           8
        .value_kind:     global_buffer
      - .offset:         56
        .size:           8
        .value_kind:     by_value
      - .offset:         64
        .size:           4
        .value_kind:     by_value
      - .actual_access:  write_only
        .address_space:  global
        .offset:         72
        .size:           8
        .value_kind:     global_buffer
      - .actual_access:  write_only
        .address_space:  global
        .offset:         80
        .size:           8
        .value_kind:     global_buffer
      - .actual_access:  write_only
        .address_space:  global
        .offset:         88
        .size:           8
        .value_kind:     global_buffer
    .group_segment_fixed_size: 0
    .kernarg_segment_align: 8
    .kernarg_segment_size: 96
    .language:       OpenCL C
    .language_version:
      - 2
      - 0
    .max_flat_workgroup_size: 256
    .name:           _ZN9rocsparseL32bsr2csr_block_per_row_2_7_kernelILj256ELj3E21rocsparse_complex_numIdEilEEv20rocsparse_direction_T3_S4_21rocsparse_index_base_PKT1_PKT2_PKS4_S4_S5_PS6_PS9_PS4_
    .private_segment_fixed_size: 0
    .sgpr_count:     16
    .sgpr_spill_count: 0
    .symbol:         _ZN9rocsparseL32bsr2csr_block_per_row_2_7_kernelILj256ELj3E21rocsparse_complex_numIdEilEEv20rocsparse_direction_T3_S4_21rocsparse_index_base_PKT1_PKT2_PKS4_S4_S5_PS6_PS9_PS4_.kd
    .uniform_work_group_size: 1
    .uses_dynamic_stack: false
    .vgpr_count:     32
    .vgpr_spill_count: 0
    .wavefront_size: 32
    .workgroup_processor_mode: 1
  - .args:
      - .offset:         0
        .size:           4
        .value_kind:     by_value
      - .offset:         8
        .size:           8
        .value_kind:     by_value
      - .offset:         16
        .size:           8
        .value_kind:     by_value
      - .offset:         24
        .size:           4
        .value_kind:     by_value
      - .actual_access:  read_only
        .address_space:  global
        .offset:         32
        .size:           8
        .value_kind:     global_buffer
      - .actual_access:  read_only
        .address_space:  global
        .offset:         40
        .size:           8
        .value_kind:     global_buffer
      - .actual_access:  read_only
        .address_space:  global
        .offset:         48
        .size:           8
        .value_kind:     global_buffer
      - .offset:         56
        .size:           8
        .value_kind:     by_value
      - .offset:         64
        .size:           4
        .value_kind:     by_value
      - .actual_access:  write_only
        .address_space:  global
        .offset:         72
        .size:           8
        .value_kind:     global_buffer
      - .actual_access:  write_only
        .address_space:  global
        .offset:         80
        .size:           8
        .value_kind:     global_buffer
      - .actual_access:  write_only
        .address_space:  global
        .offset:         88
        .size:           8
        .value_kind:     global_buffer
    .group_segment_fixed_size: 0
    .kernarg_segment_align: 8
    .kernarg_segment_size: 96
    .language:       OpenCL C
    .language_version:
      - 2
      - 0
    .max_flat_workgroup_size: 256
    .name:           _ZN9rocsparseL32bsr2csr_block_per_row_2_7_kernelILj256ELj4E21rocsparse_complex_numIdEilEEv20rocsparse_direction_T3_S4_21rocsparse_index_base_PKT1_PKT2_PKS4_S4_S5_PS6_PS9_PS4_
    .private_segment_fixed_size: 0
    .sgpr_count:     16
    .sgpr_spill_count: 0
    .symbol:         _ZN9rocsparseL32bsr2csr_block_per_row_2_7_kernelILj256ELj4E21rocsparse_complex_numIdEilEEv20rocsparse_direction_T3_S4_21rocsparse_index_base_PKT1_PKT2_PKS4_S4_S5_PS6_PS9_PS4_.kd
    .uniform_work_group_size: 1
    .uses_dynamic_stack: false
    .vgpr_count:     35
    .vgpr_spill_count: 0
    .wavefront_size: 32
    .workgroup_processor_mode: 1
  - .args:
      - .offset:         0
        .size:           4
        .value_kind:     by_value
      - .offset:         8
        .size:           8
        .value_kind:     by_value
      - .offset:         16
        .size:           8
        .value_kind:     by_value
      - .offset:         24
        .size:           4
        .value_kind:     by_value
      - .actual_access:  read_only
        .address_space:  global
        .offset:         32
        .size:           8
        .value_kind:     global_buffer
      - .actual_access:  read_only
        .address_space:  global
        .offset:         40
        .size:           8
        .value_kind:     global_buffer
      - .actual_access:  read_only
        .address_space:  global
        .offset:         48
        .size:           8
        .value_kind:     global_buffer
      - .offset:         56
        .size:           8
        .value_kind:     by_value
      - .offset:         64
        .size:           4
        .value_kind:     by_value
      - .actual_access:  write_only
        .address_space:  global
        .offset:         72
        .size:           8
        .value_kind:     global_buffer
      - .actual_access:  write_only
        .address_space:  global
        .offset:         80
        .size:           8
        .value_kind:     global_buffer
      - .actual_access:  write_only
        .address_space:  global
        .offset:         88
        .size:           8
        .value_kind:     global_buffer
    .group_segment_fixed_size: 0
    .kernarg_segment_align: 8
    .kernarg_segment_size: 96
    .language:       OpenCL C
    .language_version:
      - 2
      - 0
    .max_flat_workgroup_size: 256
    .name:           _ZN9rocsparseL32bsr2csr_block_per_row_2_7_kernelILj256ELj5E21rocsparse_complex_numIdEilEEv20rocsparse_direction_T3_S4_21rocsparse_index_base_PKT1_PKT2_PKS4_S4_S5_PS6_PS9_PS4_
    .private_segment_fixed_size: 0
    .sgpr_count:     17
    .sgpr_spill_count: 0
    .symbol:         _ZN9rocsparseL32bsr2csr_block_per_row_2_7_kernelILj256ELj5E21rocsparse_complex_numIdEilEEv20rocsparse_direction_T3_S4_21rocsparse_index_base_PKT1_PKT2_PKS4_S4_S5_PS6_PS9_PS4_.kd
    .uniform_work_group_size: 1
    .uses_dynamic_stack: false
    .vgpr_count:     36
    .vgpr_spill_count: 0
    .wavefront_size: 32
    .workgroup_processor_mode: 1
  - .args:
      - .offset:         0
        .size:           4
        .value_kind:     by_value
      - .offset:         8
        .size:           8
        .value_kind:     by_value
      - .offset:         16
        .size:           8
        .value_kind:     by_value
      - .offset:         24
        .size:           4
        .value_kind:     by_value
      - .actual_access:  read_only
        .address_space:  global
        .offset:         32
        .size:           8
        .value_kind:     global_buffer
      - .actual_access:  read_only
        .address_space:  global
        .offset:         40
        .size:           8
        .value_kind:     global_buffer
      - .actual_access:  read_only
        .address_space:  global
        .offset:         48
        .size:           8
        .value_kind:     global_buffer
      - .offset:         56
        .size:           8
        .value_kind:     by_value
      - .offset:         64
        .size:           4
        .value_kind:     by_value
      - .actual_access:  write_only
        .address_space:  global
        .offset:         72
        .size:           8
        .value_kind:     global_buffer
      - .actual_access:  write_only
        .address_space:  global
        .offset:         80
        .size:           8
        .value_kind:     global_buffer
      - .actual_access:  write_only
        .address_space:  global
        .offset:         88
        .size:           8
        .value_kind:     global_buffer
    .group_segment_fixed_size: 0
    .kernarg_segment_align: 8
    .kernarg_segment_size: 96
    .language:       OpenCL C
    .language_version:
      - 2
      - 0
    .max_flat_workgroup_size: 256
    .name:           _ZN9rocsparseL32bsr2csr_block_per_row_2_7_kernelILj256ELj6E21rocsparse_complex_numIdEilEEv20rocsparse_direction_T3_S4_21rocsparse_index_base_PKT1_PKT2_PKS4_S4_S5_PS6_PS9_PS4_
    .private_segment_fixed_size: 0
    .sgpr_count:     18
    .sgpr_spill_count: 0
    .symbol:         _ZN9rocsparseL32bsr2csr_block_per_row_2_7_kernelILj256ELj6E21rocsparse_complex_numIdEilEEv20rocsparse_direction_T3_S4_21rocsparse_index_base_PKT1_PKT2_PKS4_S4_S5_PS6_PS9_PS4_.kd
    .uniform_work_group_size: 1
    .uses_dynamic_stack: false
    .vgpr_count:     40
    .vgpr_spill_count: 0
    .wavefront_size: 32
    .workgroup_processor_mode: 1
  - .args:
      - .offset:         0
        .size:           4
        .value_kind:     by_value
      - .offset:         8
        .size:           8
        .value_kind:     by_value
      - .offset:         16
        .size:           8
        .value_kind:     by_value
      - .offset:         24
        .size:           4
        .value_kind:     by_value
      - .actual_access:  read_only
        .address_space:  global
        .offset:         32
        .size:           8
        .value_kind:     global_buffer
      - .actual_access:  read_only
        .address_space:  global
        .offset:         40
        .size:           8
        .value_kind:     global_buffer
      - .actual_access:  read_only
        .address_space:  global
        .offset:         48
        .size:           8
        .value_kind:     global_buffer
      - .offset:         56
        .size:           8
        .value_kind:     by_value
      - .offset:         64
        .size:           4
        .value_kind:     by_value
      - .actual_access:  write_only
        .address_space:  global
        .offset:         72
        .size:           8
        .value_kind:     global_buffer
      - .actual_access:  write_only
        .address_space:  global
        .offset:         80
        .size:           8
        .value_kind:     global_buffer
      - .actual_access:  write_only
        .address_space:  global
        .offset:         88
        .size:           8
        .value_kind:     global_buffer
    .group_segment_fixed_size: 0
    .kernarg_segment_align: 8
    .kernarg_segment_size: 96
    .language:       OpenCL C
    .language_version:
      - 2
      - 0
    .max_flat_workgroup_size: 256
    .name:           _ZN9rocsparseL32bsr2csr_block_per_row_2_7_kernelILj256ELj7E21rocsparse_complex_numIdEilEEv20rocsparse_direction_T3_S4_21rocsparse_index_base_PKT1_PKT2_PKS4_S4_S5_PS6_PS9_PS4_
    .private_segment_fixed_size: 0
    .sgpr_count:     19
    .sgpr_spill_count: 0
    .symbol:         _ZN9rocsparseL32bsr2csr_block_per_row_2_7_kernelILj256ELj7E21rocsparse_complex_numIdEilEEv20rocsparse_direction_T3_S4_21rocsparse_index_base_PKT1_PKT2_PKS4_S4_S5_PS6_PS9_PS4_.kd
    .uniform_work_group_size: 1
    .uses_dynamic_stack: false
    .vgpr_count:     44
    .vgpr_spill_count: 0
    .wavefront_size: 32
    .workgroup_processor_mode: 1
  - .args:
      - .offset:         0
        .size:           4
        .value_kind:     by_value
      - .offset:         8
        .size:           8
        .value_kind:     by_value
      - .offset:         16
        .size:           8
        .value_kind:     by_value
      - .offset:         24
        .size:           4
        .value_kind:     by_value
      - .actual_access:  read_only
        .address_space:  global
        .offset:         32
        .size:           8
        .value_kind:     global_buffer
      - .actual_access:  read_only
        .address_space:  global
        .offset:         40
        .size:           8
        .value_kind:     global_buffer
      - .actual_access:  read_only
        .address_space:  global
        .offset:         48
        .size:           8
        .value_kind:     global_buffer
      - .offset:         56
        .size:           8
        .value_kind:     by_value
      - .offset:         64
        .size:           4
        .value_kind:     by_value
      - .actual_access:  write_only
        .address_space:  global
        .offset:         72
        .size:           8
        .value_kind:     global_buffer
      - .actual_access:  write_only
        .address_space:  global
        .offset:         80
        .size:           8
        .value_kind:     global_buffer
      - .actual_access:  write_only
        .address_space:  global
        .offset:         88
        .size:           8
        .value_kind:     global_buffer
    .group_segment_fixed_size: 0
    .kernarg_segment_align: 8
    .kernarg_segment_size: 96
    .language:       OpenCL C
    .language_version:
      - 2
      - 0
    .max_flat_workgroup_size: 1024
    .name:           _ZN9rocsparseL33bsr2csr_block_per_row_8_32_kernelILj1024ELj8E21rocsparse_complex_numIdEilEEv20rocsparse_direction_T3_S4_21rocsparse_index_base_PKT1_PKT2_PKS4_S4_S5_PS6_PS9_PS4_
    .private_segment_fixed_size: 0
    .sgpr_count:     22
    .sgpr_spill_count: 0
    .symbol:         _ZN9rocsparseL33bsr2csr_block_per_row_8_32_kernelILj1024ELj8E21rocsparse_complex_numIdEilEEv20rocsparse_direction_T3_S4_21rocsparse_index_base_PKT1_PKT2_PKS4_S4_S5_PS6_PS9_PS4_.kd
    .uniform_work_group_size: 1
    .uses_dynamic_stack: false
    .vgpr_count:     20
    .vgpr_spill_count: 0
    .wavefront_size: 32
    .workgroup_processor_mode: 1
  - .args:
      - .offset:         0
        .size:           4
        .value_kind:     by_value
      - .offset:         8
        .size:           8
        .value_kind:     by_value
      - .offset:         16
        .size:           8
        .value_kind:     by_value
      - .offset:         24
        .size:           4
        .value_kind:     by_value
      - .actual_access:  read_only
        .address_space:  global
        .offset:         32
        .size:           8
        .value_kind:     global_buffer
      - .actual_access:  read_only
        .address_space:  global
        .offset:         40
        .size:           8
        .value_kind:     global_buffer
      - .actual_access:  read_only
        .address_space:  global
        .offset:         48
        .size:           8
        .value_kind:     global_buffer
      - .offset:         56
        .size:           8
        .value_kind:     by_value
      - .offset:         64
        .size:           4
        .value_kind:     by_value
      - .actual_access:  write_only
        .address_space:  global
        .offset:         72
        .size:           8
        .value_kind:     global_buffer
      - .actual_access:  write_only
        .address_space:  global
        .offset:         80
        .size:           8
        .value_kind:     global_buffer
      - .actual_access:  write_only
        .address_space:  global
        .offset:         88
        .size:           8
        .value_kind:     global_buffer
    .group_segment_fixed_size: 0
    .kernarg_segment_align: 8
    .kernarg_segment_size: 96
    .language:       OpenCL C
    .language_version:
      - 2
      - 0
    .max_flat_workgroup_size: 1024
    .name:           _ZN9rocsparseL33bsr2csr_block_per_row_8_32_kernelILj1024ELj16E21rocsparse_complex_numIdEilEEv20rocsparse_direction_T3_S4_21rocsparse_index_base_PKT1_PKT2_PKS4_S4_S5_PS6_PS9_PS4_
    .private_segment_fixed_size: 0
    .sgpr_count:     22
    .sgpr_spill_count: 0
    .symbol:         _ZN9rocsparseL33bsr2csr_block_per_row_8_32_kernelILj1024ELj16E21rocsparse_complex_numIdEilEEv20rocsparse_direction_T3_S4_21rocsparse_index_base_PKT1_PKT2_PKS4_S4_S5_PS6_PS9_PS4_.kd
    .uniform_work_group_size: 1
    .uses_dynamic_stack: false
    .vgpr_count:     20
    .vgpr_spill_count: 0
    .wavefront_size: 32
    .workgroup_processor_mode: 1
  - .args:
      - .offset:         0
        .size:           4
        .value_kind:     by_value
      - .offset:         8
        .size:           8
        .value_kind:     by_value
      - .offset:         16
        .size:           8
        .value_kind:     by_value
      - .offset:         24
        .size:           4
        .value_kind:     by_value
      - .actual_access:  read_only
        .address_space:  global
        .offset:         32
        .size:           8
        .value_kind:     global_buffer
      - .actual_access:  read_only
        .address_space:  global
        .offset:         40
        .size:           8
        .value_kind:     global_buffer
      - .actual_access:  read_only
        .address_space:  global
        .offset:         48
        .size:           8
        .value_kind:     global_buffer
      - .offset:         56
        .size:           8
        .value_kind:     by_value
      - .offset:         64
        .size:           4
        .value_kind:     by_value
      - .actual_access:  write_only
        .address_space:  global
        .offset:         72
        .size:           8
        .value_kind:     global_buffer
      - .actual_access:  write_only
        .address_space:  global
        .offset:         80
        .size:           8
        .value_kind:     global_buffer
      - .actual_access:  write_only
        .address_space:  global
        .offset:         88
        .size:           8
        .value_kind:     global_buffer
    .group_segment_fixed_size: 0
    .kernarg_segment_align: 8
    .kernarg_segment_size: 96
    .language:       OpenCL C
    .language_version:
      - 2
      - 0
    .max_flat_workgroup_size: 1024
    .name:           _ZN9rocsparseL33bsr2csr_block_per_row_8_32_kernelILj1024ELj32E21rocsparse_complex_numIdEilEEv20rocsparse_direction_T3_S4_21rocsparse_index_base_PKT1_PKT2_PKS4_S4_S5_PS6_PS9_PS4_
    .private_segment_fixed_size: 0
    .sgpr_count:     21
    .sgpr_spill_count: 0
    .symbol:         _ZN9rocsparseL33bsr2csr_block_per_row_8_32_kernelILj1024ELj32E21rocsparse_complex_numIdEilEEv20rocsparse_direction_T3_S4_21rocsparse_index_base_PKT1_PKT2_PKS4_S4_S5_PS6_PS9_PS4_.kd
    .uniform_work_group_size: 1
    .uses_dynamic_stack: false
    .vgpr_count:     17
    .vgpr_spill_count: 0
    .wavefront_size: 32
    .workgroup_processor_mode: 1
  - .args:
      - .offset:         0
        .size:           4
        .value_kind:     by_value
      - .offset:         8
        .size:           8
        .value_kind:     by_value
      - .offset:         16
        .size:           8
        .value_kind:     by_value
      - .offset:         24
        .size:           4
        .value_kind:     by_value
      - .actual_access:  read_only
        .address_space:  global
        .offset:         32
        .size:           8
        .value_kind:     global_buffer
      - .actual_access:  read_only
        .address_space:  global
        .offset:         40
        .size:           8
        .value_kind:     global_buffer
      - .actual_access:  read_only
        .address_space:  global
        .offset:         48
        .size:           8
        .value_kind:     global_buffer
      - .offset:         56
        .size:           8
        .value_kind:     by_value
      - .offset:         64
        .size:           4
        .value_kind:     by_value
      - .actual_access:  write_only
        .address_space:  global
        .offset:         72
        .size:           8
        .value_kind:     global_buffer
      - .actual_access:  write_only
        .address_space:  global
        .offset:         80
        .size:           8
        .value_kind:     global_buffer
      - .actual_access:  write_only
        .address_space:  global
        .offset:         88
        .size:           8
        .value_kind:     global_buffer
    .group_segment_fixed_size: 0
    .kernarg_segment_align: 8
    .kernarg_segment_size: 96
    .language:       OpenCL C
    .language_version:
      - 2
      - 0
    .max_flat_workgroup_size: 1024
    .name:           _ZN9rocsparseL35bsr2csr_block_per_row_33_256_kernelILj1024ELj64ELj32E21rocsparse_complex_numIdEilEEv20rocsparse_direction_T4_S4_21rocsparse_index_base_PKT2_PKT3_PKS4_S4_S5_PS6_PS9_PS4_
    .private_segment_fixed_size: 0
    .sgpr_count:     28
    .sgpr_spill_count: 0
    .symbol:         _ZN9rocsparseL35bsr2csr_block_per_row_33_256_kernelILj1024ELj64ELj32E21rocsparse_complex_numIdEilEEv20rocsparse_direction_T4_S4_21rocsparse_index_base_PKT2_PKT3_PKS4_S4_S5_PS6_PS9_PS4_.kd
    .uniform_work_group_size: 1
    .uses_dynamic_stack: false
    .vgpr_count:     24
    .vgpr_spill_count: 0
    .wavefront_size: 32
    .workgroup_processor_mode: 1
  - .args:
      - .offset:         0
        .size:           4
        .value_kind:     by_value
      - .offset:         8
        .size:           8
        .value_kind:     by_value
      - .offset:         16
        .size:           8
        .value_kind:     by_value
      - .offset:         24
        .size:           4
        .value_kind:     by_value
      - .actual_access:  read_only
        .address_space:  global
        .offset:         32
        .size:           8
        .value_kind:     global_buffer
      - .actual_access:  read_only
        .address_space:  global
        .offset:         40
        .size:           8
        .value_kind:     global_buffer
      - .actual_access:  read_only
        .address_space:  global
        .offset:         48
        .size:           8
        .value_kind:     global_buffer
      - .offset:         56
        .size:           8
        .value_kind:     by_value
      - .offset:         64
        .size:           4
        .value_kind:     by_value
      - .actual_access:  write_only
        .address_space:  global
        .offset:         72
        .size:           8
        .value_kind:     global_buffer
      - .actual_access:  write_only
        .address_space:  global
        .offset:         80
        .size:           8
        .value_kind:     global_buffer
      - .actual_access:  write_only
        .address_space:  global
        .offset:         88
        .size:           8
        .value_kind:     global_buffer
    .group_segment_fixed_size: 0
    .kernarg_segment_align: 8
    .kernarg_segment_size: 96
    .language:       OpenCL C
    .language_version:
      - 2
      - 0
    .max_flat_workgroup_size: 1024
    .name:           _ZN9rocsparseL35bsr2csr_block_per_row_33_256_kernelILj1024ELj128ELj32E21rocsparse_complex_numIdEilEEv20rocsparse_direction_T4_S4_21rocsparse_index_base_PKT2_PKT3_PKS4_S4_S5_PS6_PS9_PS4_
    .private_segment_fixed_size: 0
    .sgpr_count:     44
    .sgpr_spill_count: 0
    .symbol:         _ZN9rocsparseL35bsr2csr_block_per_row_33_256_kernelILj1024ELj128ELj32E21rocsparse_complex_numIdEilEEv20rocsparse_direction_T4_S4_21rocsparse_index_base_PKT2_PKT3_PKS4_S4_S5_PS6_PS9_PS4_.kd
    .uniform_work_group_size: 1
    .uses_dynamic_stack: false
    .vgpr_count:     46
    .vgpr_spill_count: 0
    .wavefront_size: 32
    .workgroup_processor_mode: 1
  - .args:
      - .offset:         0
        .size:           4
        .value_kind:     by_value
      - .offset:         8
        .size:           8
        .value_kind:     by_value
      - .offset:         16
        .size:           8
        .value_kind:     by_value
      - .offset:         24
        .size:           4
        .value_kind:     by_value
      - .actual_access:  read_only
        .address_space:  global
        .offset:         32
        .size:           8
        .value_kind:     global_buffer
      - .actual_access:  read_only
        .address_space:  global
        .offset:         40
        .size:           8
        .value_kind:     global_buffer
      - .actual_access:  read_only
        .address_space:  global
        .offset:         48
        .size:           8
        .value_kind:     global_buffer
      - .offset:         56
        .size:           8
        .value_kind:     by_value
      - .offset:         64
        .size:           4
        .value_kind:     by_value
      - .actual_access:  write_only
        .address_space:  global
        .offset:         72
        .size:           8
        .value_kind:     global_buffer
      - .actual_access:  write_only
        .address_space:  global
        .offset:         80
        .size:           8
        .value_kind:     global_buffer
      - .actual_access:  write_only
        .address_space:  global
        .offset:         88
        .size:           8
        .value_kind:     global_buffer
    .group_segment_fixed_size: 0
    .kernarg_segment_align: 8
    .kernarg_segment_size: 96
    .language:       OpenCL C
    .language_version:
      - 2
      - 0
    .max_flat_workgroup_size: 1024
    .name:           _ZN9rocsparseL35bsr2csr_block_per_row_33_256_kernelILj1024ELj256ELj32E21rocsparse_complex_numIdEilEEv20rocsparse_direction_T4_S4_21rocsparse_index_base_PKT2_PKT3_PKS4_S4_S5_PS6_PS9_PS4_
    .private_segment_fixed_size: 0
    .sgpr_count:     92
    .sgpr_spill_count: 0
    .symbol:         _ZN9rocsparseL35bsr2csr_block_per_row_33_256_kernelILj1024ELj256ELj32E21rocsparse_complex_numIdEilEEv20rocsparse_direction_T4_S4_21rocsparse_index_base_PKT2_PKT3_PKS4_S4_S5_PS6_PS9_PS4_.kd
    .uniform_work_group_size: 1
    .uses_dynamic_stack: false
    .vgpr_count:     81
    .vgpr_spill_count: 0
    .wavefront_size: 32
    .workgroup_processor_mode: 1
  - .args:
      - .offset:         0
        .size:           8
        .value_kind:     by_value
      - .offset:         8
        .size:           8
        .value_kind:     by_value
      - .offset:         16
        .size:           4
        .value_kind:     by_value
      - .actual_access:  read_only
        .address_space:  global
        .offset:         24
        .size:           8
        .value_kind:     global_buffer
      - .actual_access:  read_only
        .address_space:  global
        .offset:         32
        .size:           8
        .value_kind:     global_buffer
      - .actual_access:  read_only
        .address_space:  global
        .offset:         40
        .size:           8
        .value_kind:     global_buffer
      - .offset:         48
        .size:           4
        .value_kind:     by_value
      - .actual_access:  write_only
        .address_space:  global
        .offset:         56
        .size:           8
        .value_kind:     global_buffer
      - .actual_access:  write_only
        .address_space:  global
        .offset:         64
        .size:           8
        .value_kind:     global_buffer
      - .actual_access:  write_only
        .address_space:  global
        .offset:         72
        .size:           8
        .value_kind:     global_buffer
      - .offset:         80
        .size:           4
        .value_kind:     hidden_block_count_x
      - .offset:         84
        .size:           4
        .value_kind:     hidden_block_count_y
      - .offset:         88
        .size:           4
        .value_kind:     hidden_block_count_z
      - .offset:         92
        .size:           2
        .value_kind:     hidden_group_size_x
      - .offset:         94
        .size:           2
        .value_kind:     hidden_group_size_y
      - .offset:         96
        .size:           2
        .value_kind:     hidden_group_size_z
      - .offset:         98
        .size:           2
        .value_kind:     hidden_remainder_x
      - .offset:         100
        .size:           2
        .value_kind:     hidden_remainder_y
      - .offset:         102
        .size:           2
        .value_kind:     hidden_remainder_z
      - .offset:         120
        .size:           8
        .value_kind:     hidden_global_offset_x
      - .offset:         128
        .size:           8
        .value_kind:     hidden_global_offset_y
      - .offset:         136
        .size:           8
        .value_kind:     hidden_global_offset_z
      - .offset:         144
        .size:           2
        .value_kind:     hidden_grid_dims
    .group_segment_fixed_size: 0
    .kernarg_segment_align: 8
    .kernarg_segment_size: 336
    .language:       OpenCL C
    .language_version:
      - 2
      - 0
    .max_flat_workgroup_size: 1024
    .name:           _ZN9rocsparseL35bsr2csr_block_dim_equals_one_kernelILj1024E21rocsparse_complex_numIdEllEEvT2_S3_21rocsparse_index_base_PKT0_PKT1_PKS3_S4_PS5_PS8_PS3_
    .private_segment_fixed_size: 0
    .sgpr_count:     26
    .sgpr_spill_count: 0
    .symbol:         _ZN9rocsparseL35bsr2csr_block_dim_equals_one_kernelILj1024E21rocsparse_complex_numIdEllEEvT2_S3_21rocsparse_index_base_PKT0_PKT1_PKS3_S4_PS5_PS8_PS3_.kd
    .uniform_work_group_size: 1
    .uses_dynamic_stack: false
    .vgpr_count:     16
    .vgpr_spill_count: 0
    .wavefront_size: 32
    .workgroup_processor_mode: 1
  - .args:
      - .offset:         0
        .size:           4
        .value_kind:     by_value
      - .offset:         8
        .size:           8
        .value_kind:     by_value
      - .offset:         16
        .size:           8
        .value_kind:     by_value
      - .offset:         24
        .size:           4
        .value_kind:     by_value
      - .actual_access:  read_only
        .address_space:  global
        .offset:         32
        .size:           8
        .value_kind:     global_buffer
      - .actual_access:  read_only
        .address_space:  global
        .offset:         40
        .size:           8
        .value_kind:     global_buffer
      - .actual_access:  read_only
        .address_space:  global
        .offset:         48
        .size:           8
        .value_kind:     global_buffer
      - .offset:         56
        .size:           8
        .value_kind:     by_value
      - .offset:         64
        .size:           4
        .value_kind:     by_value
      - .actual_access:  write_only
        .address_space:  global
        .offset:         72
        .size:           8
        .value_kind:     global_buffer
      - .actual_access:  write_only
        .address_space:  global
        .offset:         80
        .size:           8
        .value_kind:     global_buffer
      - .actual_access:  write_only
        .address_space:  global
        .offset:         88
        .size:           8
        .value_kind:     global_buffer
    .group_segment_fixed_size: 0
    .kernarg_segment_align: 8
    .kernarg_segment_size: 96
    .language:       OpenCL C
    .language_version:
      - 2
      - 0
    .max_flat_workgroup_size: 256
    .name:           _ZN9rocsparseL32bsr2csr_block_per_row_2_7_kernelILj256ELj2E21rocsparse_complex_numIdEllEEv20rocsparse_direction_T3_S4_21rocsparse_index_base_PKT1_PKT2_PKS4_S4_S5_PS6_PS9_PS4_
    .private_segment_fixed_size: 0
    .sgpr_count:     22
    .sgpr_spill_count: 0
    .symbol:         _ZN9rocsparseL32bsr2csr_block_per_row_2_7_kernelILj256ELj2E21rocsparse_complex_numIdEllEEv20rocsparse_direction_T3_S4_21rocsparse_index_base_PKT1_PKT2_PKS4_S4_S5_PS6_PS9_PS4_.kd
    .uniform_work_group_size: 1
    .uses_dynamic_stack: false
    .vgpr_count:     22
    .vgpr_spill_count: 0
    .wavefront_size: 32
    .workgroup_processor_mode: 1
  - .args:
      - .offset:         0
        .size:           4
        .value_kind:     by_value
      - .offset:         8
        .size:           8
        .value_kind:     by_value
      - .offset:         16
        .size:           8
        .value_kind:     by_value
      - .offset:         24
        .size:           4
        .value_kind:     by_value
      - .actual_access:  read_only
        .address_space:  global
        .offset:         32
        .size:           8
        .value_kind:     global_buffer
      - .actual_access:  read_only
        .address_space:  global
        .offset:         40
        .size:           8
        .value_kind:     global_buffer
      - .actual_access:  read_only
        .address_space:  global
        .offset:         48
        .size:           8
        .value_kind:     global_buffer
      - .offset:         56
        .size:           8
        .value_kind:     by_value
      - .offset:         64
        .size:           4
        .value_kind:     by_value
      - .actual_access:  write_only
        .address_space:  global
        .offset:         72
        .size:           8
        .value_kind:     global_buffer
      - .actual_access:  write_only
        .address_space:  global
        .offset:         80
        .size:           8
        .value_kind:     global_buffer
      - .actual_access:  write_only
        .address_space:  global
        .offset:         88
        .size:           8
        .value_kind:     global_buffer
    .group_segment_fixed_size: 0
    .kernarg_segment_align: 8
    .kernarg_segment_size: 96
    .language:       OpenCL C
    .language_version:
      - 2
      - 0
    .max_flat_workgroup_size: 256
    .name:           _ZN9rocsparseL32bsr2csr_block_per_row_2_7_kernelILj256ELj3E21rocsparse_complex_numIdEllEEv20rocsparse_direction_T3_S4_21rocsparse_index_base_PKT1_PKT2_PKS4_S4_S5_PS6_PS9_PS4_
    .private_segment_fixed_size: 0
    .sgpr_count:     21
    .sgpr_spill_count: 0
    .symbol:         _ZN9rocsparseL32bsr2csr_block_per_row_2_7_kernelILj256ELj3E21rocsparse_complex_numIdEllEEv20rocsparse_direction_T3_S4_21rocsparse_index_base_PKT1_PKT2_PKS4_S4_S5_PS6_PS9_PS4_.kd
    .uniform_work_group_size: 1
    .uses_dynamic_stack: false
    .vgpr_count:     29
    .vgpr_spill_count: 0
    .wavefront_size: 32
    .workgroup_processor_mode: 1
  - .args:
      - .offset:         0
        .size:           4
        .value_kind:     by_value
      - .offset:         8
        .size:           8
        .value_kind:     by_value
      - .offset:         16
        .size:           8
        .value_kind:     by_value
      - .offset:         24
        .size:           4
        .value_kind:     by_value
      - .actual_access:  read_only
        .address_space:  global
        .offset:         32
        .size:           8
        .value_kind:     global_buffer
      - .actual_access:  read_only
        .address_space:  global
        .offset:         40
        .size:           8
        .value_kind:     global_buffer
      - .actual_access:  read_only
        .address_space:  global
        .offset:         48
        .size:           8
        .value_kind:     global_buffer
      - .offset:         56
        .size:           8
        .value_kind:     by_value
      - .offset:         64
        .size:           4
        .value_kind:     by_value
      - .actual_access:  write_only
        .address_space:  global
        .offset:         72
        .size:           8
        .value_kind:     global_buffer
      - .actual_access:  write_only
        .address_space:  global
        .offset:         80
        .size:           8
        .value_kind:     global_buffer
      - .actual_access:  write_only
        .address_space:  global
        .offset:         88
        .size:           8
        .value_kind:     global_buffer
    .group_segment_fixed_size: 0
    .kernarg_segment_align: 8
    .kernarg_segment_size: 96
    .language:       OpenCL C
    .language_version:
      - 2
      - 0
    .max_flat_workgroup_size: 256
    .name:           _ZN9rocsparseL32bsr2csr_block_per_row_2_7_kernelILj256ELj4E21rocsparse_complex_numIdEllEEv20rocsparse_direction_T3_S4_21rocsparse_index_base_PKT1_PKT2_PKS4_S4_S5_PS6_PS9_PS4_
    .private_segment_fixed_size: 0
    .sgpr_count:     24
    .sgpr_spill_count: 0
    .symbol:         _ZN9rocsparseL32bsr2csr_block_per_row_2_7_kernelILj256ELj4E21rocsparse_complex_numIdEllEEv20rocsparse_direction_T3_S4_21rocsparse_index_base_PKT1_PKT2_PKS4_S4_S5_PS6_PS9_PS4_.kd
    .uniform_work_group_size: 1
    .uses_dynamic_stack: false
    .vgpr_count:     30
    .vgpr_spill_count: 0
    .wavefront_size: 32
    .workgroup_processor_mode: 1
  - .args:
      - .offset:         0
        .size:           4
        .value_kind:     by_value
      - .offset:         8
        .size:           8
        .value_kind:     by_value
      - .offset:         16
        .size:           8
        .value_kind:     by_value
      - .offset:         24
        .size:           4
        .value_kind:     by_value
      - .actual_access:  read_only
        .address_space:  global
        .offset:         32
        .size:           8
        .value_kind:     global_buffer
      - .actual_access:  read_only
        .address_space:  global
        .offset:         40
        .size:           8
        .value_kind:     global_buffer
      - .actual_access:  read_only
        .address_space:  global
        .offset:         48
        .size:           8
        .value_kind:     global_buffer
      - .offset:         56
        .size:           8
        .value_kind:     by_value
      - .offset:         64
        .size:           4
        .value_kind:     by_value
      - .actual_access:  write_only
        .address_space:  global
        .offset:         72
        .size:           8
        .value_kind:     global_buffer
      - .actual_access:  write_only
        .address_space:  global
        .offset:         80
        .size:           8
        .value_kind:     global_buffer
      - .actual_access:  write_only
        .address_space:  global
        .offset:         88
        .size:           8
        .value_kind:     global_buffer
    .group_segment_fixed_size: 0
    .kernarg_segment_align: 8
    .kernarg_segment_size: 96
    .language:       OpenCL C
    .language_version:
      - 2
      - 0
    .max_flat_workgroup_size: 256
    .name:           _ZN9rocsparseL32bsr2csr_block_per_row_2_7_kernelILj256ELj5E21rocsparse_complex_numIdEllEEv20rocsparse_direction_T3_S4_21rocsparse_index_base_PKT1_PKT2_PKS4_S4_S5_PS6_PS9_PS4_
    .private_segment_fixed_size: 0
    .sgpr_count:     21
    .sgpr_spill_count: 0
    .symbol:         _ZN9rocsparseL32bsr2csr_block_per_row_2_7_kernelILj256ELj5E21rocsparse_complex_numIdEllEEv20rocsparse_direction_T3_S4_21rocsparse_index_base_PKT1_PKT2_PKS4_S4_S5_PS6_PS9_PS4_.kd
    .uniform_work_group_size: 1
    .uses_dynamic_stack: false
    .vgpr_count:     37
    .vgpr_spill_count: 0
    .wavefront_size: 32
    .workgroup_processor_mode: 1
  - .args:
      - .offset:         0
        .size:           4
        .value_kind:     by_value
      - .offset:         8
        .size:           8
        .value_kind:     by_value
      - .offset:         16
        .size:           8
        .value_kind:     by_value
      - .offset:         24
        .size:           4
        .value_kind:     by_value
      - .actual_access:  read_only
        .address_space:  global
        .offset:         32
        .size:           8
        .value_kind:     global_buffer
      - .actual_access:  read_only
        .address_space:  global
        .offset:         40
        .size:           8
        .value_kind:     global_buffer
      - .actual_access:  read_only
        .address_space:  global
        .offset:         48
        .size:           8
        .value_kind:     global_buffer
      - .offset:         56
        .size:           8
        .value_kind:     by_value
      - .offset:         64
        .size:           4
        .value_kind:     by_value
      - .actual_access:  write_only
        .address_space:  global
        .offset:         72
        .size:           8
        .value_kind:     global_buffer
      - .actual_access:  write_only
        .address_space:  global
        .offset:         80
        .size:           8
        .value_kind:     global_buffer
      - .actual_access:  write_only
        .address_space:  global
        .offset:         88
        .size:           8
        .value_kind:     global_buffer
    .group_segment_fixed_size: 0
    .kernarg_segment_align: 8
    .kernarg_segment_size: 96
    .language:       OpenCL C
    .language_version:
      - 2
      - 0
    .max_flat_workgroup_size: 256
    .name:           _ZN9rocsparseL32bsr2csr_block_per_row_2_7_kernelILj256ELj6E21rocsparse_complex_numIdEllEEv20rocsparse_direction_T3_S4_21rocsparse_index_base_PKT1_PKT2_PKS4_S4_S5_PS6_PS9_PS4_
    .private_segment_fixed_size: 0
    .sgpr_count:     21
    .sgpr_spill_count: 0
    .symbol:         _ZN9rocsparseL32bsr2csr_block_per_row_2_7_kernelILj256ELj6E21rocsparse_complex_numIdEllEEv20rocsparse_direction_T3_S4_21rocsparse_index_base_PKT1_PKT2_PKS4_S4_S5_PS6_PS9_PS4_.kd
    .uniform_work_group_size: 1
    .uses_dynamic_stack: false
    .vgpr_count:     40
    .vgpr_spill_count: 0
    .wavefront_size: 32
    .workgroup_processor_mode: 1
  - .args:
      - .offset:         0
        .size:           4
        .value_kind:     by_value
      - .offset:         8
        .size:           8
        .value_kind:     by_value
      - .offset:         16
        .size:           8
        .value_kind:     by_value
      - .offset:         24
        .size:           4
        .value_kind:     by_value
      - .actual_access:  read_only
        .address_space:  global
        .offset:         32
        .size:           8
        .value_kind:     global_buffer
      - .actual_access:  read_only
        .address_space:  global
        .offset:         40
        .size:           8
        .value_kind:     global_buffer
      - .actual_access:  read_only
        .address_space:  global
        .offset:         48
        .size:           8
        .value_kind:     global_buffer
      - .offset:         56
        .size:           8
        .value_kind:     by_value
      - .offset:         64
        .size:           4
        .value_kind:     by_value
      - .actual_access:  write_only
        .address_space:  global
        .offset:         72
        .size:           8
        .value_kind:     global_buffer
      - .actual_access:  write_only
        .address_space:  global
        .offset:         80
        .size:           8
        .value_kind:     global_buffer
      - .actual_access:  write_only
        .address_space:  global
        .offset:         88
        .size:           8
        .value_kind:     global_buffer
    .group_segment_fixed_size: 0
    .kernarg_segment_align: 8
    .kernarg_segment_size: 96
    .language:       OpenCL C
    .language_version:
      - 2
      - 0
    .max_flat_workgroup_size: 256
    .name:           _ZN9rocsparseL32bsr2csr_block_per_row_2_7_kernelILj256ELj7E21rocsparse_complex_numIdEllEEv20rocsparse_direction_T3_S4_21rocsparse_index_base_PKT1_PKT2_PKS4_S4_S5_PS6_PS9_PS4_
    .private_segment_fixed_size: 0
    .sgpr_count:     21
    .sgpr_spill_count: 0
    .symbol:         _ZN9rocsparseL32bsr2csr_block_per_row_2_7_kernelILj256ELj7E21rocsparse_complex_numIdEllEEv20rocsparse_direction_T3_S4_21rocsparse_index_base_PKT1_PKT2_PKS4_S4_S5_PS6_PS9_PS4_.kd
    .uniform_work_group_size: 1
    .uses_dynamic_stack: false
    .vgpr_count:     44
    .vgpr_spill_count: 0
    .wavefront_size: 32
    .workgroup_processor_mode: 1
  - .args:
      - .offset:         0
        .size:           4
        .value_kind:     by_value
      - .offset:         8
        .size:           8
        .value_kind:     by_value
      - .offset:         16
        .size:           8
        .value_kind:     by_value
      - .offset:         24
        .size:           4
        .value_kind:     by_value
      - .actual_access:  read_only
        .address_space:  global
        .offset:         32
        .size:           8
        .value_kind:     global_buffer
      - .actual_access:  read_only
        .address_space:  global
        .offset:         40
        .size:           8
        .value_kind:     global_buffer
      - .actual_access:  read_only
        .address_space:  global
        .offset:         48
        .size:           8
        .value_kind:     global_buffer
      - .offset:         56
        .size:           8
        .value_kind:     by_value
      - .offset:         64
        .size:           4
        .value_kind:     by_value
      - .actual_access:  write_only
        .address_space:  global
        .offset:         72
        .size:           8
        .value_kind:     global_buffer
      - .actual_access:  write_only
        .address_space:  global
        .offset:         80
        .size:           8
        .value_kind:     global_buffer
      - .actual_access:  write_only
        .address_space:  global
        .offset:         88
        .size:           8
        .value_kind:     global_buffer
    .group_segment_fixed_size: 0
    .kernarg_segment_align: 8
    .kernarg_segment_size: 96
    .language:       OpenCL C
    .language_version:
      - 2
      - 0
    .max_flat_workgroup_size: 1024
    .name:           _ZN9rocsparseL33bsr2csr_block_per_row_8_32_kernelILj1024ELj8E21rocsparse_complex_numIdEllEEv20rocsparse_direction_T3_S4_21rocsparse_index_base_PKT1_PKT2_PKS4_S4_S5_PS6_PS9_PS4_
    .private_segment_fixed_size: 0
    .sgpr_count:     25
    .sgpr_spill_count: 0
    .symbol:         _ZN9rocsparseL33bsr2csr_block_per_row_8_32_kernelILj1024ELj8E21rocsparse_complex_numIdEllEEv20rocsparse_direction_T3_S4_21rocsparse_index_base_PKT1_PKT2_PKS4_S4_S5_PS6_PS9_PS4_.kd
    .uniform_work_group_size: 1
    .uses_dynamic_stack: false
    .vgpr_count:     19
    .vgpr_spill_count: 0
    .wavefront_size: 32
    .workgroup_processor_mode: 1
  - .args:
      - .offset:         0
        .size:           4
        .value_kind:     by_value
      - .offset:         8
        .size:           8
        .value_kind:     by_value
      - .offset:         16
        .size:           8
        .value_kind:     by_value
      - .offset:         24
        .size:           4
        .value_kind:     by_value
      - .actual_access:  read_only
        .address_space:  global
        .offset:         32
        .size:           8
        .value_kind:     global_buffer
      - .actual_access:  read_only
        .address_space:  global
        .offset:         40
        .size:           8
        .value_kind:     global_buffer
      - .actual_access:  read_only
        .address_space:  global
        .offset:         48
        .size:           8
        .value_kind:     global_buffer
      - .offset:         56
        .size:           8
        .value_kind:     by_value
      - .offset:         64
        .size:           4
        .value_kind:     by_value
      - .actual_access:  write_only
        .address_space:  global
        .offset:         72
        .size:           8
        .value_kind:     global_buffer
      - .actual_access:  write_only
        .address_space:  global
        .offset:         80
        .size:           8
        .value_kind:     global_buffer
      - .actual_access:  write_only
        .address_space:  global
        .offset:         88
        .size:           8
        .value_kind:     global_buffer
    .group_segment_fixed_size: 0
    .kernarg_segment_align: 8
    .kernarg_segment_size: 96
    .language:       OpenCL C
    .language_version:
      - 2
      - 0
    .max_flat_workgroup_size: 1024
    .name:           _ZN9rocsparseL33bsr2csr_block_per_row_8_32_kernelILj1024ELj16E21rocsparse_complex_numIdEllEEv20rocsparse_direction_T3_S4_21rocsparse_index_base_PKT1_PKT2_PKS4_S4_S5_PS6_PS9_PS4_
    .private_segment_fixed_size: 0
    .sgpr_count:     25
    .sgpr_spill_count: 0
    .symbol:         _ZN9rocsparseL33bsr2csr_block_per_row_8_32_kernelILj1024ELj16E21rocsparse_complex_numIdEllEEv20rocsparse_direction_T3_S4_21rocsparse_index_base_PKT1_PKT2_PKS4_S4_S5_PS6_PS9_PS4_.kd
    .uniform_work_group_size: 1
    .uses_dynamic_stack: false
    .vgpr_count:     19
    .vgpr_spill_count: 0
    .wavefront_size: 32
    .workgroup_processor_mode: 1
  - .args:
      - .offset:         0
        .size:           4
        .value_kind:     by_value
      - .offset:         8
        .size:           8
        .value_kind:     by_value
      - .offset:         16
        .size:           8
        .value_kind:     by_value
      - .offset:         24
        .size:           4
        .value_kind:     by_value
      - .actual_access:  read_only
        .address_space:  global
        .offset:         32
        .size:           8
        .value_kind:     global_buffer
      - .actual_access:  read_only
        .address_space:  global
        .offset:         40
        .size:           8
        .value_kind:     global_buffer
      - .actual_access:  read_only
        .address_space:  global
        .offset:         48
        .size:           8
        .value_kind:     global_buffer
      - .offset:         56
        .size:           8
        .value_kind:     by_value
      - .offset:         64
        .size:           4
        .value_kind:     by_value
      - .actual_access:  write_only
        .address_space:  global
        .offset:         72
        .size:           8
        .value_kind:     global_buffer
      - .actual_access:  write_only
        .address_space:  global
        .offset:         80
        .size:           8
        .value_kind:     global_buffer
      - .actual_access:  write_only
        .address_space:  global
        .offset:         88
        .size:           8
        .value_kind:     global_buffer
    .group_segment_fixed_size: 0
    .kernarg_segment_align: 8
    .kernarg_segment_size: 96
    .language:       OpenCL C
    .language_version:
      - 2
      - 0
    .max_flat_workgroup_size: 1024
    .name:           _ZN9rocsparseL33bsr2csr_block_per_row_8_32_kernelILj1024ELj32E21rocsparse_complex_numIdEllEEv20rocsparse_direction_T3_S4_21rocsparse_index_base_PKT1_PKT2_PKS4_S4_S5_PS6_PS9_PS4_
    .private_segment_fixed_size: 0
    .sgpr_count:     29
    .sgpr_spill_count: 0
    .symbol:         _ZN9rocsparseL33bsr2csr_block_per_row_8_32_kernelILj1024ELj32E21rocsparse_complex_numIdEllEEv20rocsparse_direction_T3_S4_21rocsparse_index_base_PKT1_PKT2_PKS4_S4_S5_PS6_PS9_PS4_.kd
    .uniform_work_group_size: 1
    .uses_dynamic_stack: false
    .vgpr_count:     15
    .vgpr_spill_count: 0
    .wavefront_size: 32
    .workgroup_processor_mode: 1
  - .args:
      - .offset:         0
        .size:           4
        .value_kind:     by_value
      - .offset:         8
        .size:           8
        .value_kind:     by_value
      - .offset:         16
        .size:           8
        .value_kind:     by_value
      - .offset:         24
        .size:           4
        .value_kind:     by_value
      - .actual_access:  read_only
        .address_space:  global
        .offset:         32
        .size:           8
        .value_kind:     global_buffer
      - .actual_access:  read_only
        .address_space:  global
        .offset:         40
        .size:           8
        .value_kind:     global_buffer
      - .actual_access:  read_only
        .address_space:  global
        .offset:         48
        .size:           8
        .value_kind:     global_buffer
      - .offset:         56
        .size:           8
        .value_kind:     by_value
      - .offset:         64
        .size:           4
        .value_kind:     by_value
      - .actual_access:  write_only
        .address_space:  global
        .offset:         72
        .size:           8
        .value_kind:     global_buffer
      - .actual_access:  write_only
        .address_space:  global
        .offset:         80
        .size:           8
        .value_kind:     global_buffer
      - .actual_access:  write_only
        .address_space:  global
        .offset:         88
        .size:           8
        .value_kind:     global_buffer
    .group_segment_fixed_size: 0
    .kernarg_segment_align: 8
    .kernarg_segment_size: 96
    .language:       OpenCL C
    .language_version:
      - 2
      - 0
    .max_flat_workgroup_size: 1024
    .name:           _ZN9rocsparseL35bsr2csr_block_per_row_33_256_kernelILj1024ELj64ELj32E21rocsparse_complex_numIdEllEEv20rocsparse_direction_T4_S4_21rocsparse_index_base_PKT2_PKT3_PKS4_S4_S5_PS6_PS9_PS4_
    .private_segment_fixed_size: 0
    .sgpr_count:     38
    .sgpr_spill_count: 0
    .symbol:         _ZN9rocsparseL35bsr2csr_block_per_row_33_256_kernelILj1024ELj64ELj32E21rocsparse_complex_numIdEllEEv20rocsparse_direction_T4_S4_21rocsparse_index_base_PKT2_PKT3_PKS4_S4_S5_PS6_PS9_PS4_.kd
    .uniform_work_group_size: 1
    .uses_dynamic_stack: false
    .vgpr_count:     32
    .vgpr_spill_count: 0
    .wavefront_size: 32
    .workgroup_processor_mode: 1
  - .args:
      - .offset:         0
        .size:           4
        .value_kind:     by_value
      - .offset:         8
        .size:           8
        .value_kind:     by_value
      - .offset:         16
        .size:           8
        .value_kind:     by_value
      - .offset:         24
        .size:           4
        .value_kind:     by_value
      - .actual_access:  read_only
        .address_space:  global
        .offset:         32
        .size:           8
        .value_kind:     global_buffer
      - .actual_access:  read_only
        .address_space:  global
        .offset:         40
        .size:           8
        .value_kind:     global_buffer
      - .actual_access:  read_only
        .address_space:  global
        .offset:         48
        .size:           8
        .value_kind:     global_buffer
      - .offset:         56
        .size:           8
        .value_kind:     by_value
      - .offset:         64
        .size:           4
        .value_kind:     by_value
      - .actual_access:  write_only
        .address_space:  global
        .offset:         72
        .size:           8
        .value_kind:     global_buffer
      - .actual_access:  write_only
        .address_space:  global
        .offset:         80
        .size:           8
        .value_kind:     global_buffer
      - .actual_access:  write_only
        .address_space:  global
        .offset:         88
        .size:           8
        .value_kind:     global_buffer
    .group_segment_fixed_size: 0
    .kernarg_segment_align: 8
    .kernarg_segment_size: 96
    .language:       OpenCL C
    .language_version:
      - 2
      - 0
    .max_flat_workgroup_size: 1024
    .name:           _ZN9rocsparseL35bsr2csr_block_per_row_33_256_kernelILj1024ELj128ELj32E21rocsparse_complex_numIdEllEEv20rocsparse_direction_T4_S4_21rocsparse_index_base_PKT2_PKT3_PKS4_S4_S5_PS6_PS9_PS4_
    .private_segment_fixed_size: 0
    .sgpr_count:     53
    .sgpr_spill_count: 0
    .symbol:         _ZN9rocsparseL35bsr2csr_block_per_row_33_256_kernelILj1024ELj128ELj32E21rocsparse_complex_numIdEllEEv20rocsparse_direction_T4_S4_21rocsparse_index_base_PKT2_PKT3_PKS4_S4_S5_PS6_PS9_PS4_.kd
    .uniform_work_group_size: 1
    .uses_dynamic_stack: false
    .vgpr_count:     48
    .vgpr_spill_count: 0
    .wavefront_size: 32
    .workgroup_processor_mode: 1
  - .args:
      - .offset:         0
        .size:           4
        .value_kind:     by_value
      - .offset:         8
        .size:           8
        .value_kind:     by_value
      - .offset:         16
        .size:           8
        .value_kind:     by_value
      - .offset:         24
        .size:           4
        .value_kind:     by_value
      - .actual_access:  read_only
        .address_space:  global
        .offset:         32
        .size:           8
        .value_kind:     global_buffer
      - .actual_access:  read_only
        .address_space:  global
        .offset:         40
        .size:           8
        .value_kind:     global_buffer
      - .actual_access:  read_only
        .address_space:  global
        .offset:         48
        .size:           8
        .value_kind:     global_buffer
      - .offset:         56
        .size:           8
        .value_kind:     by_value
      - .offset:         64
        .size:           4
        .value_kind:     by_value
      - .actual_access:  write_only
        .address_space:  global
        .offset:         72
        .size:           8
        .value_kind:     global_buffer
      - .actual_access:  write_only
        .address_space:  global
        .offset:         80
        .size:           8
        .value_kind:     global_buffer
      - .actual_access:  write_only
        .address_space:  global
        .offset:         88
        .size:           8
        .value_kind:     global_buffer
    .group_segment_fixed_size: 0
    .kernarg_segment_align: 8
    .kernarg_segment_size: 96
    .language:       OpenCL C
    .language_version:
      - 2
      - 0
    .max_flat_workgroup_size: 1024
    .name:           _ZN9rocsparseL35bsr2csr_block_per_row_33_256_kernelILj1024ELj256ELj32E21rocsparse_complex_numIdEllEEv20rocsparse_direction_T4_S4_21rocsparse_index_base_PKT2_PKT3_PKS4_S4_S5_PS6_PS9_PS4_
    .private_segment_fixed_size: 0
    .sgpr_count:     102
    .sgpr_spill_count: 0
    .symbol:         _ZN9rocsparseL35bsr2csr_block_per_row_33_256_kernelILj1024ELj256ELj32E21rocsparse_complex_numIdEllEEv20rocsparse_direction_T4_S4_21rocsparse_index_base_PKT2_PKT3_PKS4_S4_S5_PS6_PS9_PS4_.kd
    .uniform_work_group_size: 1
    .uses_dynamic_stack: false
    .vgpr_count:     82
    .vgpr_spill_count: 0
    .wavefront_size: 32
    .workgroup_processor_mode: 1
amdhsa.target:   amdgcn-amd-amdhsa--gfx1030
amdhsa.version:
  - 1
  - 2
...

	.end_amdgpu_metadata
